;; amdgpu-corpus repo=ROCm/rocSPARSE kind=compiled arch=gfx942 opt=O3
	.text
	.amdgcn_target "amdgcn-amd-amdhsa--gfx942"
	.amdhsa_code_object_version 6
	.section	.text._ZN9rocsparseL18bsrxmvn_3x3_kernelILj256ELj4EfiifffEEvT3_20rocsparse_direction_NS_24const_host_device_scalarIT1_EES1_PKS1_PKT2_SA_S7_PKT4_PKT5_S5_PT6_21rocsparse_index_base_b,"axG",@progbits,_ZN9rocsparseL18bsrxmvn_3x3_kernelILj256ELj4EfiifffEEvT3_20rocsparse_direction_NS_24const_host_device_scalarIT1_EES1_PKS1_PKT2_SA_S7_PKT4_PKT5_S5_PT6_21rocsparse_index_base_b,comdat
	.globl	_ZN9rocsparseL18bsrxmvn_3x3_kernelILj256ELj4EfiifffEEvT3_20rocsparse_direction_NS_24const_host_device_scalarIT1_EES1_PKS1_PKT2_SA_S7_PKT4_PKT5_S5_PT6_21rocsparse_index_base_b ; -- Begin function _ZN9rocsparseL18bsrxmvn_3x3_kernelILj256ELj4EfiifffEEvT3_20rocsparse_direction_NS_24const_host_device_scalarIT1_EES1_PKS1_PKT2_SA_S7_PKT4_PKT5_S5_PT6_21rocsparse_index_base_b
	.p2align	8
	.type	_ZN9rocsparseL18bsrxmvn_3x3_kernelILj256ELj4EfiifffEEvT3_20rocsparse_direction_NS_24const_host_device_scalarIT1_EES1_PKS1_PKT2_SA_S7_PKT4_PKT5_S5_PT6_21rocsparse_index_base_b,@function
_ZN9rocsparseL18bsrxmvn_3x3_kernelILj256ELj4EfiifffEEvT3_20rocsparse_direction_NS_24const_host_device_scalarIT1_EES1_PKS1_PKT2_SA_S7_PKT4_PKT5_S5_PT6_21rocsparse_index_base_b: ; @_ZN9rocsparseL18bsrxmvn_3x3_kernelILj256ELj4EfiifffEEvT3_20rocsparse_direction_NS_24const_host_device_scalarIT1_EES1_PKS1_PKT2_SA_S7_PKT4_PKT5_S5_PT6_21rocsparse_index_base_b
; %bb.0:
	s_load_dwordx2 s[16:17], s[0:1], 0x58
	s_load_dwordx2 s[12:13], s[0:1], 0x8
	;; [unrolled: 1-line block ×3, first 2 shown]
	s_waitcnt lgkmcnt(0)
	s_bitcmp1_b32 s17, 0
	s_cselect_b64 s[6:7], -1, 0
	s_xor_b64 s[4:5], s[6:7], -1
	s_and_b64 vcc, exec, s[6:7]
	s_cbranch_vccnz .LBB0_2
; %bb.1:
	s_load_dword s12, s[12:13], 0x0
.LBB0_2:
	s_andn2_b64 vcc, exec, s[4:5]
	s_cbranch_vccnz .LBB0_4
; %bb.3:
	s_load_dword s14, s[14:15], 0x0
.LBB0_4:
	s_waitcnt lgkmcnt(0)
	v_cmp_neq_f32_e64 s[4:5], s12, 0
	v_cmp_neq_f32_e64 s[6:7], s14, 1.0
	s_or_b64 s[4:5], s[4:5], s[6:7]
	s_andn2_b64 vcc, exec, s[4:5]
	s_cbranch_vccnz .LBB0_10
; %bb.5:
	s_load_dwordx2 s[4:5], s[0:1], 0x18
	s_load_dwordx2 s[18:19], s[0:1], 0x0
	v_lshrrev_b32_e32 v1, 2, v0
	v_lshl_or_b32 v2, s2, 6, v1
	s_mov_b64 s[2:3], 0
	s_waitcnt lgkmcnt(0)
	s_cmp_lg_u64 s[4:5], 0
	s_cbranch_scc0 .LBB0_11
; %bb.6:
	s_load_dword s6, s[0:1], 0x10
                                        ; implicit-def: $vgpr1
	s_waitcnt lgkmcnt(0)
	v_cmp_gt_i32_e32 vcc, s6, v2
	s_and_saveexec_b64 s[6:7], vcc
	s_xor_b64 s[6:7], exec, s[6:7]
	s_cbranch_execz .LBB0_8
; %bb.7:
	v_ashrrev_i32_e32 v3, 31, v2
	v_lshl_add_u64 v[4:5], v[2:3], 2, s[4:5]
	global_load_dword v1, v[4:5], off
	s_mov_b64 s[2:3], exec
	s_waitcnt vmcnt(0)
	v_subrev_u32_e32 v1, s16, v1
.LBB0_8:
	s_or_b64 exec, exec, s[6:7]
	s_branch .LBB0_12
.LBB0_9:
	v_cmp_gt_i32_e32 vcc, s18, v2
	s_andn2_b64 s[2:3], s[2:3], exec
	s_and_b64 s[4:5], vcc, exec
	s_or_b64 s[2:3], s[2:3], s[4:5]
	s_and_saveexec_b64 s[4:5], s[2:3]
	s_cbranch_execnz .LBB0_13
.LBB0_10:
	s_endpgm
.LBB0_11:
                                        ; implicit-def: $vgpr1
	s_cbranch_execnz .LBB0_9
.LBB0_12:
	v_mov_b32_e32 v2, v1
	s_and_saveexec_b64 s[4:5], s[2:3]
	s_cbranch_execz .LBB0_10
.LBB0_13:
	s_load_dwordx8 s[4:11], s[0:1], 0x20
	v_ashrrev_i32_e32 v3, 31, v2
	v_lshlrev_b64 v[4:5], 2, v[2:3]
	v_and_b32_e32 v3, 3, v0
	s_waitcnt lgkmcnt(0)
	v_lshl_add_u64 v[6:7], s[4:5], 0, v[4:5]
	s_cmp_eq_u64 s[6:7], 0
	global_load_dword v1, v[6:7], off
	v_lshl_add_u64 v[6:7], v[6:7], 0, 4
	v_lshl_add_u64 v[4:5], s[6:7], 0, v[4:5]
	s_cselect_b64 vcc, -1, 0
	v_cndmask_b32_e32 v5, v5, v7, vcc
	v_cndmask_b32_e32 v4, v4, v6, vcc
	global_load_dword v4, v[4:5], off
	s_load_dwordx2 s[4:5], s[0:1], 0x40
	s_cmp_eq_u32 s19, 1
	s_waitcnt vmcnt(1)
	v_subrev_u32_e32 v0, s16, v1
	v_add_u32_e32 v0, v0, v3
	s_waitcnt vmcnt(0)
	v_subrev_u32_e32 v13, s16, v4
	v_mad_i64_i32 v[4:5], s[2:3], v0, 36, s[10:11]
	v_cmp_lt_i32_e64 s[2:3], v0, v13
	s_cbranch_scc1 .LBB0_19
; %bb.14:
	v_mov_b32_e32 v7, 0
	v_mov_b32_e32 v6, v7
	;; [unrolled: 1-line block ×3, first 2 shown]
	s_and_saveexec_b64 s[6:7], s[2:3]
	s_cbranch_execz .LBB0_18
; %bb.15:
	v_mov_b32_e32 v12, 0
	s_mov_b64 s[10:11], 0
	s_mov_b64 s[18:19], 0x90
	v_mov_b64_e32 v[8:9], v[4:5]
	v_mov_b32_e32 v10, v0
	v_mov_b32_e32 v6, 0
	;; [unrolled: 1-line block ×3, first 2 shown]
.LBB0_16:                               ; =>This Inner Loop Header: Depth=1
	v_ashrrev_i32_e32 v11, 31, v10
	v_lshl_add_u64 v[22:23], v[10:11], 2, s[8:9]
	global_load_dword v1, v[22:23], off
	global_load_dwordx4 v[14:17], v[8:9], off offset:16
	global_load_dwordx4 v[18:21], v[8:9], off
	v_add_u32_e32 v10, 4, v10
	v_cmp_ge_i32_e32 vcc, v10, v13
	s_or_b64 s[10:11], vcc, s[10:11]
	s_waitcnt vmcnt(2)
	v_subrev_u32_e32 v1, s16, v1
	v_lshl_add_u32 v22, v1, 1, v1
	v_ashrrev_i32_e32 v23, 31, v22
	s_waitcnt lgkmcnt(0)
	v_lshl_add_u64 v[26:27], v[22:23], 2, s[4:5]
	global_load_dwordx3 v[22:24], v[26:27], off
	global_load_dword v1, v[8:9], off offset:32
	s_waitcnt vmcnt(2)
	v_mov_b32_e32 v26, v18
	v_mov_b32_e32 v27, v21
	;; [unrolled: 1-line block ×5, first 2 shown]
	v_lshl_add_u64 v[8:9], v[8:9], 0, s[18:19]
	s_waitcnt vmcnt(1)
	v_pk_fma_f32 v[6:7], v[26:27], v[22:23], v[6:7] op_sel_hi:[1,0,1]
	v_fmac_f32_e32 v12, v16, v22
	v_mov_b32_e32 v14, v24
	v_pk_fma_f32 v[6:7], v[18:19], v[22:23], v[6:7] op_sel:[0,1,0]
	v_fmac_f32_e32 v12, v17, v23
	v_pk_fma_f32 v[6:7], v[20:21], v[14:15], v[6:7] op_sel_hi:[1,0,1]
	s_waitcnt vmcnt(0)
	v_fmac_f32_e32 v12, v1, v24
	s_andn2_b64 exec, exec, s[10:11]
	s_cbranch_execnz .LBB0_16
; %bb.17:
	s_or_b64 exec, exec, s[10:11]
.LBB0_18:
	s_or_b64 exec, exec, s[6:7]
	s_cbranch_execz .LBB0_20
	s_branch .LBB0_25
.LBB0_19:
                                        ; implicit-def: $vgpr7
                                        ; implicit-def: $vgpr12
.LBB0_20:
	v_mov_b32_e32 v7, 0
	v_mov_b32_e32 v6, v7
	;; [unrolled: 1-line block ×3, first 2 shown]
	s_and_saveexec_b64 s[6:7], s[2:3]
	s_cbranch_execz .LBB0_24
; %bb.21:
	v_mov_b32_e32 v12, 0
	s_mov_b64 s[2:3], 0
	s_mov_b64 s[10:11], 0x90
	v_mov_b32_e32 v6, 0
	v_mov_b32_e32 v7, v12
.LBB0_22:                               ; =>This Inner Loop Header: Depth=1
	v_ashrrev_i32_e32 v1, 31, v0
	v_lshl_add_u64 v[18:19], v[0:1], 2, s[8:9]
	global_load_dword v1, v[18:19], off
	global_load_dwordx4 v[8:11], v[4:5], off offset:16
	global_load_dwordx4 v[14:17], v[4:5], off
	v_add_u32_e32 v0, 4, v0
	v_cmp_ge_i32_e32 vcc, v0, v13
	s_or_b64 s[2:3], vcc, s[2:3]
	s_waitcnt vmcnt(2)
	v_subrev_u32_e32 v1, s16, v1
	v_lshl_add_u32 v18, v1, 1, v1
	v_ashrrev_i32_e32 v19, 31, v18
	s_waitcnt lgkmcnt(0)
	v_lshl_add_u64 v[22:23], v[18:19], 2, s[4:5]
	global_load_dwordx3 v[18:20], v[22:23], off
	global_load_dword v1, v[4:5], off offset:32
	s_waitcnt vmcnt(2)
	v_mov_b32_e32 v22, v17
	v_mov_b32_e32 v23, v8
	v_lshl_add_u64 v[4:5], v[4:5], 0, s[10:11]
	s_waitcnt vmcnt(1)
	v_fmac_f32_e32 v12, v16, v18
	v_pk_fma_f32 v[6:7], v[14:15], v[18:19], v[6:7] op_sel_hi:[1,0,1]
	v_mov_b32_e32 v8, v20
	v_fmac_f32_e32 v12, v9, v19
	v_pk_fma_f32 v[6:7], v[22:23], v[18:19], v[6:7] op_sel:[0,1,0]
	s_waitcnt vmcnt(0)
	v_fmac_f32_e32 v12, v1, v20
	v_pk_fma_f32 v[6:7], v[10:11], v[8:9], v[6:7] op_sel_hi:[1,0,1]
	s_andn2_b64 exec, exec, s[2:3]
	s_cbranch_execnz .LBB0_22
; %bb.23:
	s_or_b64 exec, exec, s[2:3]
.LBB0_24:
	s_or_b64 exec, exec, s[6:7]
.LBB0_25:
	v_mov_b32_dpp v0, v6 row_shr:1 row_mask:0xf bank_mask:0xf
	v_mov_b32_dpp v1, v7 row_shr:1 row_mask:0xf bank_mask:0xf
	v_pk_add_f32 v[0:1], v[6:7], v[0:1]
	v_mov_b32_dpp v6, v12 row_shr:1 row_mask:0xf bank_mask:0xf
	v_add_f32_e32 v6, v12, v6
	v_mov_b32_dpp v4, v0 row_shr:2 row_mask:0xf bank_mask:0xf
	v_mov_b32_dpp v5, v1 row_shr:2 row_mask:0xf bank_mask:0xf
	;; [unrolled: 1-line block ×3, first 2 shown]
	v_cmp_eq_u32_e32 vcc, 3, v3
	s_and_b64 exec, exec, vcc
	s_cbranch_execz .LBB0_10
; %bb.26:
	s_load_dwordx2 s[0:1], s[0:1], 0x50
	v_pk_add_f32 v[4:5], v[0:1], v[4:5]
	v_add_f32_e32 v0, v6, v7
	v_cmp_eq_f32_e64 s[2:3], s14, 0
	v_lshl_add_u32 v6, v2, 1, v2
	s_and_b64 vcc, exec, s[2:3]
	v_mul_f32_e32 v2, s12, v0
	v_ashrrev_i32_e32 v7, 31, v6
	s_cbranch_vccz .LBB0_28
; %bb.27:
	s_waitcnt lgkmcnt(0)
	v_lshl_add_u64 v[8:9], v[6:7], 2, s[0:1]
	v_pk_mul_f32 v[0:1], s[12:13], v[4:5] op_sel_hi:[0,1]
	global_store_dwordx3 v[8:9], v[0:2], off
	s_cbranch_execnz .LBB0_10
	s_branch .LBB0_29
.LBB0_28:
.LBB0_29:
	s_waitcnt lgkmcnt(0)
	v_lshl_add_u64 v[10:11], v[6:7], 2, s[0:1]
	global_load_dwordx3 v[6:8], v[10:11], off
	v_pk_mul_f32 v[0:1], s[12:13], v[4:5] op_sel_hi:[0,1]
	s_waitcnt vmcnt(0)
	v_pk_fma_f32 v[0:1], s[14:15], v[6:7], v[0:1] op_sel_hi:[0,1,1]
	v_fmac_f32_e32 v2, s14, v8
	global_store_dwordx3 v[10:11], v[0:2], off
	s_endpgm
	.section	.rodata,"a",@progbits
	.p2align	6, 0x0
	.amdhsa_kernel _ZN9rocsparseL18bsrxmvn_3x3_kernelILj256ELj4EfiifffEEvT3_20rocsparse_direction_NS_24const_host_device_scalarIT1_EES1_PKS1_PKT2_SA_S7_PKT4_PKT5_S5_PT6_21rocsparse_index_base_b
		.amdhsa_group_segment_fixed_size 0
		.amdhsa_private_segment_fixed_size 0
		.amdhsa_kernarg_size 96
		.amdhsa_user_sgpr_count 2
		.amdhsa_user_sgpr_dispatch_ptr 0
		.amdhsa_user_sgpr_queue_ptr 0
		.amdhsa_user_sgpr_kernarg_segment_ptr 1
		.amdhsa_user_sgpr_dispatch_id 0
		.amdhsa_user_sgpr_kernarg_preload_length 0
		.amdhsa_user_sgpr_kernarg_preload_offset 0
		.amdhsa_user_sgpr_private_segment_size 0
		.amdhsa_uses_dynamic_stack 0
		.amdhsa_enable_private_segment 0
		.amdhsa_system_sgpr_workgroup_id_x 1
		.amdhsa_system_sgpr_workgroup_id_y 0
		.amdhsa_system_sgpr_workgroup_id_z 0
		.amdhsa_system_sgpr_workgroup_info 0
		.amdhsa_system_vgpr_workitem_id 0
		.amdhsa_next_free_vgpr 28
		.amdhsa_next_free_sgpr 20
		.amdhsa_accum_offset 28
		.amdhsa_reserve_vcc 1
		.amdhsa_float_round_mode_32 0
		.amdhsa_float_round_mode_16_64 0
		.amdhsa_float_denorm_mode_32 3
		.amdhsa_float_denorm_mode_16_64 3
		.amdhsa_dx10_clamp 1
		.amdhsa_ieee_mode 1
		.amdhsa_fp16_overflow 0
		.amdhsa_tg_split 0
		.amdhsa_exception_fp_ieee_invalid_op 0
		.amdhsa_exception_fp_denorm_src 0
		.amdhsa_exception_fp_ieee_div_zero 0
		.amdhsa_exception_fp_ieee_overflow 0
		.amdhsa_exception_fp_ieee_underflow 0
		.amdhsa_exception_fp_ieee_inexact 0
		.amdhsa_exception_int_div_zero 0
	.end_amdhsa_kernel
	.section	.text._ZN9rocsparseL18bsrxmvn_3x3_kernelILj256ELj4EfiifffEEvT3_20rocsparse_direction_NS_24const_host_device_scalarIT1_EES1_PKS1_PKT2_SA_S7_PKT4_PKT5_S5_PT6_21rocsparse_index_base_b,"axG",@progbits,_ZN9rocsparseL18bsrxmvn_3x3_kernelILj256ELj4EfiifffEEvT3_20rocsparse_direction_NS_24const_host_device_scalarIT1_EES1_PKS1_PKT2_SA_S7_PKT4_PKT5_S5_PT6_21rocsparse_index_base_b,comdat
.Lfunc_end0:
	.size	_ZN9rocsparseL18bsrxmvn_3x3_kernelILj256ELj4EfiifffEEvT3_20rocsparse_direction_NS_24const_host_device_scalarIT1_EES1_PKS1_PKT2_SA_S7_PKT4_PKT5_S5_PT6_21rocsparse_index_base_b, .Lfunc_end0-_ZN9rocsparseL18bsrxmvn_3x3_kernelILj256ELj4EfiifffEEvT3_20rocsparse_direction_NS_24const_host_device_scalarIT1_EES1_PKS1_PKT2_SA_S7_PKT4_PKT5_S5_PT6_21rocsparse_index_base_b
                                        ; -- End function
	.section	.AMDGPU.csdata,"",@progbits
; Kernel info:
; codeLenInByte = 1088
; NumSgprs: 26
; NumVgprs: 28
; NumAgprs: 0
; TotalNumVgprs: 28
; ScratchSize: 0
; MemoryBound: 0
; FloatMode: 240
; IeeeMode: 1
; LDSByteSize: 0 bytes/workgroup (compile time only)
; SGPRBlocks: 3
; VGPRBlocks: 3
; NumSGPRsForWavesPerEU: 26
; NumVGPRsForWavesPerEU: 28
; AccumOffset: 28
; Occupancy: 8
; WaveLimiterHint : 1
; COMPUTE_PGM_RSRC2:SCRATCH_EN: 0
; COMPUTE_PGM_RSRC2:USER_SGPR: 2
; COMPUTE_PGM_RSRC2:TRAP_HANDLER: 0
; COMPUTE_PGM_RSRC2:TGID_X_EN: 1
; COMPUTE_PGM_RSRC2:TGID_Y_EN: 0
; COMPUTE_PGM_RSRC2:TGID_Z_EN: 0
; COMPUTE_PGM_RSRC2:TIDIG_COMP_CNT: 0
; COMPUTE_PGM_RSRC3_GFX90A:ACCUM_OFFSET: 6
; COMPUTE_PGM_RSRC3_GFX90A:TG_SPLIT: 0
	.section	.text._ZN9rocsparseL18bsrxmvn_3x3_kernelILj256ELj8EfiifffEEvT3_20rocsparse_direction_NS_24const_host_device_scalarIT1_EES1_PKS1_PKT2_SA_S7_PKT4_PKT5_S5_PT6_21rocsparse_index_base_b,"axG",@progbits,_ZN9rocsparseL18bsrxmvn_3x3_kernelILj256ELj8EfiifffEEvT3_20rocsparse_direction_NS_24const_host_device_scalarIT1_EES1_PKS1_PKT2_SA_S7_PKT4_PKT5_S5_PT6_21rocsparse_index_base_b,comdat
	.globl	_ZN9rocsparseL18bsrxmvn_3x3_kernelILj256ELj8EfiifffEEvT3_20rocsparse_direction_NS_24const_host_device_scalarIT1_EES1_PKS1_PKT2_SA_S7_PKT4_PKT5_S5_PT6_21rocsparse_index_base_b ; -- Begin function _ZN9rocsparseL18bsrxmvn_3x3_kernelILj256ELj8EfiifffEEvT3_20rocsparse_direction_NS_24const_host_device_scalarIT1_EES1_PKS1_PKT2_SA_S7_PKT4_PKT5_S5_PT6_21rocsparse_index_base_b
	.p2align	8
	.type	_ZN9rocsparseL18bsrxmvn_3x3_kernelILj256ELj8EfiifffEEvT3_20rocsparse_direction_NS_24const_host_device_scalarIT1_EES1_PKS1_PKT2_SA_S7_PKT4_PKT5_S5_PT6_21rocsparse_index_base_b,@function
_ZN9rocsparseL18bsrxmvn_3x3_kernelILj256ELj8EfiifffEEvT3_20rocsparse_direction_NS_24const_host_device_scalarIT1_EES1_PKS1_PKT2_SA_S7_PKT4_PKT5_S5_PT6_21rocsparse_index_base_b: ; @_ZN9rocsparseL18bsrxmvn_3x3_kernelILj256ELj8EfiifffEEvT3_20rocsparse_direction_NS_24const_host_device_scalarIT1_EES1_PKS1_PKT2_SA_S7_PKT4_PKT5_S5_PT6_21rocsparse_index_base_b
; %bb.0:
	s_load_dwordx2 s[16:17], s[0:1], 0x58
	s_load_dwordx2 s[12:13], s[0:1], 0x8
	;; [unrolled: 1-line block ×3, first 2 shown]
	s_waitcnt lgkmcnt(0)
	s_bitcmp1_b32 s17, 0
	s_cselect_b64 s[6:7], -1, 0
	s_xor_b64 s[4:5], s[6:7], -1
	s_and_b64 vcc, exec, s[6:7]
	s_cbranch_vccnz .LBB1_2
; %bb.1:
	s_load_dword s12, s[12:13], 0x0
.LBB1_2:
	s_andn2_b64 vcc, exec, s[4:5]
	s_cbranch_vccnz .LBB1_4
; %bb.3:
	s_load_dword s14, s[14:15], 0x0
.LBB1_4:
	s_waitcnt lgkmcnt(0)
	v_cmp_neq_f32_e64 s[4:5], s12, 0
	v_cmp_neq_f32_e64 s[6:7], s14, 1.0
	s_or_b64 s[4:5], s[4:5], s[6:7]
	s_andn2_b64 vcc, exec, s[4:5]
	s_cbranch_vccnz .LBB1_10
; %bb.5:
	s_load_dwordx2 s[4:5], s[0:1], 0x18
	s_load_dwordx2 s[18:19], s[0:1], 0x0
	v_lshrrev_b32_e32 v1, 3, v0
	v_lshl_or_b32 v2, s2, 5, v1
	s_mov_b64 s[2:3], 0
	s_waitcnt lgkmcnt(0)
	s_cmp_lg_u64 s[4:5], 0
	s_cbranch_scc0 .LBB1_11
; %bb.6:
	s_load_dword s6, s[0:1], 0x10
                                        ; implicit-def: $vgpr1
	s_waitcnt lgkmcnt(0)
	v_cmp_gt_i32_e32 vcc, s6, v2
	s_and_saveexec_b64 s[6:7], vcc
	s_xor_b64 s[6:7], exec, s[6:7]
	s_cbranch_execz .LBB1_8
; %bb.7:
	v_ashrrev_i32_e32 v3, 31, v2
	v_lshl_add_u64 v[4:5], v[2:3], 2, s[4:5]
	global_load_dword v1, v[4:5], off
	s_mov_b64 s[2:3], exec
	s_waitcnt vmcnt(0)
	v_subrev_u32_e32 v1, s16, v1
.LBB1_8:
	s_or_b64 exec, exec, s[6:7]
	s_branch .LBB1_12
.LBB1_9:
	v_cmp_gt_i32_e32 vcc, s18, v2
	s_andn2_b64 s[2:3], s[2:3], exec
	s_and_b64 s[4:5], vcc, exec
	s_or_b64 s[2:3], s[2:3], s[4:5]
	s_and_saveexec_b64 s[4:5], s[2:3]
	s_cbranch_execnz .LBB1_13
.LBB1_10:
	s_endpgm
.LBB1_11:
                                        ; implicit-def: $vgpr1
	s_cbranch_execnz .LBB1_9
.LBB1_12:
	v_mov_b32_e32 v2, v1
	s_and_saveexec_b64 s[4:5], s[2:3]
	s_cbranch_execz .LBB1_10
.LBB1_13:
	s_load_dwordx8 s[4:11], s[0:1], 0x20
	v_ashrrev_i32_e32 v3, 31, v2
	v_lshlrev_b64 v[4:5], 2, v[2:3]
	v_and_b32_e32 v3, 7, v0
	s_waitcnt lgkmcnt(0)
	v_lshl_add_u64 v[6:7], s[4:5], 0, v[4:5]
	s_cmp_eq_u64 s[6:7], 0
	global_load_dword v1, v[6:7], off
	v_lshl_add_u64 v[6:7], v[6:7], 0, 4
	v_lshl_add_u64 v[4:5], s[6:7], 0, v[4:5]
	s_cselect_b64 vcc, -1, 0
	v_cndmask_b32_e32 v5, v5, v7, vcc
	v_cndmask_b32_e32 v4, v4, v6, vcc
	global_load_dword v4, v[4:5], off
	s_load_dwordx2 s[4:5], s[0:1], 0x40
	s_cmp_eq_u32 s19, 1
	s_waitcnt vmcnt(1)
	v_subrev_u32_e32 v0, s16, v1
	v_add_u32_e32 v0, v0, v3
	s_waitcnt vmcnt(0)
	v_subrev_u32_e32 v13, s16, v4
	v_mad_i64_i32 v[4:5], s[2:3], v0, 36, s[10:11]
	v_cmp_lt_i32_e64 s[2:3], v0, v13
	s_cbranch_scc1 .LBB1_19
; %bb.14:
	v_mov_b32_e32 v7, 0
	v_mov_b32_e32 v6, v7
	;; [unrolled: 1-line block ×3, first 2 shown]
	s_and_saveexec_b64 s[6:7], s[2:3]
	s_cbranch_execz .LBB1_18
; %bb.15:
	v_mov_b32_e32 v12, 0
	s_mov_b64 s[10:11], 0
	s_mov_b64 s[18:19], 0x120
	v_mov_b64_e32 v[8:9], v[4:5]
	v_mov_b32_e32 v10, v0
	v_mov_b32_e32 v6, 0
	;; [unrolled: 1-line block ×3, first 2 shown]
.LBB1_16:                               ; =>This Inner Loop Header: Depth=1
	v_ashrrev_i32_e32 v11, 31, v10
	v_lshl_add_u64 v[22:23], v[10:11], 2, s[8:9]
	global_load_dword v1, v[22:23], off
	global_load_dwordx4 v[14:17], v[8:9], off offset:16
	global_load_dwordx4 v[18:21], v[8:9], off
	v_add_u32_e32 v10, 8, v10
	v_cmp_ge_i32_e32 vcc, v10, v13
	s_or_b64 s[10:11], vcc, s[10:11]
	s_waitcnt vmcnt(2)
	v_subrev_u32_e32 v1, s16, v1
	v_lshl_add_u32 v22, v1, 1, v1
	v_ashrrev_i32_e32 v23, 31, v22
	s_waitcnt lgkmcnt(0)
	v_lshl_add_u64 v[26:27], v[22:23], 2, s[4:5]
	global_load_dwordx3 v[22:24], v[26:27], off
	global_load_dword v1, v[8:9], off offset:32
	s_waitcnt vmcnt(2)
	v_mov_b32_e32 v26, v18
	v_mov_b32_e32 v27, v21
	;; [unrolled: 1-line block ×5, first 2 shown]
	v_lshl_add_u64 v[8:9], v[8:9], 0, s[18:19]
	s_waitcnt vmcnt(1)
	v_pk_fma_f32 v[6:7], v[26:27], v[22:23], v[6:7] op_sel_hi:[1,0,1]
	v_fmac_f32_e32 v12, v16, v22
	v_mov_b32_e32 v14, v24
	v_pk_fma_f32 v[6:7], v[18:19], v[22:23], v[6:7] op_sel:[0,1,0]
	v_fmac_f32_e32 v12, v17, v23
	v_pk_fma_f32 v[6:7], v[20:21], v[14:15], v[6:7] op_sel_hi:[1,0,1]
	s_waitcnt vmcnt(0)
	v_fmac_f32_e32 v12, v1, v24
	s_andn2_b64 exec, exec, s[10:11]
	s_cbranch_execnz .LBB1_16
; %bb.17:
	s_or_b64 exec, exec, s[10:11]
.LBB1_18:
	s_or_b64 exec, exec, s[6:7]
	s_cbranch_execz .LBB1_20
	s_branch .LBB1_25
.LBB1_19:
                                        ; implicit-def: $vgpr7
                                        ; implicit-def: $vgpr12
.LBB1_20:
	v_mov_b32_e32 v7, 0
	v_mov_b32_e32 v6, v7
	;; [unrolled: 1-line block ×3, first 2 shown]
	s_and_saveexec_b64 s[6:7], s[2:3]
	s_cbranch_execz .LBB1_24
; %bb.21:
	v_mov_b32_e32 v12, 0
	s_mov_b64 s[2:3], 0
	s_mov_b64 s[10:11], 0x120
	v_mov_b32_e32 v6, 0
	v_mov_b32_e32 v7, v12
.LBB1_22:                               ; =>This Inner Loop Header: Depth=1
	v_ashrrev_i32_e32 v1, 31, v0
	v_lshl_add_u64 v[18:19], v[0:1], 2, s[8:9]
	global_load_dword v1, v[18:19], off
	global_load_dwordx4 v[8:11], v[4:5], off offset:16
	global_load_dwordx4 v[14:17], v[4:5], off
	v_add_u32_e32 v0, 8, v0
	v_cmp_ge_i32_e32 vcc, v0, v13
	s_or_b64 s[2:3], vcc, s[2:3]
	s_waitcnt vmcnt(2)
	v_subrev_u32_e32 v1, s16, v1
	v_lshl_add_u32 v18, v1, 1, v1
	v_ashrrev_i32_e32 v19, 31, v18
	s_waitcnt lgkmcnt(0)
	v_lshl_add_u64 v[22:23], v[18:19], 2, s[4:5]
	global_load_dwordx3 v[18:20], v[22:23], off
	global_load_dword v1, v[4:5], off offset:32
	s_waitcnt vmcnt(2)
	v_mov_b32_e32 v22, v17
	v_mov_b32_e32 v23, v8
	v_lshl_add_u64 v[4:5], v[4:5], 0, s[10:11]
	s_waitcnt vmcnt(1)
	v_fmac_f32_e32 v12, v16, v18
	v_pk_fma_f32 v[6:7], v[14:15], v[18:19], v[6:7] op_sel_hi:[1,0,1]
	v_mov_b32_e32 v8, v20
	v_fmac_f32_e32 v12, v9, v19
	v_pk_fma_f32 v[6:7], v[22:23], v[18:19], v[6:7] op_sel:[0,1,0]
	s_waitcnt vmcnt(0)
	v_fmac_f32_e32 v12, v1, v20
	v_pk_fma_f32 v[6:7], v[10:11], v[8:9], v[6:7] op_sel_hi:[1,0,1]
	s_andn2_b64 exec, exec, s[2:3]
	s_cbranch_execnz .LBB1_22
; %bb.23:
	s_or_b64 exec, exec, s[2:3]
.LBB1_24:
	s_or_b64 exec, exec, s[6:7]
.LBB1_25:
	v_mov_b32_dpp v0, v6 row_shr:1 row_mask:0xf bank_mask:0xf
	v_mov_b32_dpp v1, v7 row_shr:1 row_mask:0xf bank_mask:0xf
	v_pk_add_f32 v[0:1], v[6:7], v[0:1]
	v_mov_b32_dpp v6, v12 row_shr:1 row_mask:0xf bank_mask:0xf
	v_add_f32_e32 v6, v12, v6
	v_mov_b32_dpp v4, v0 row_shr:2 row_mask:0xf bank_mask:0xf
	v_mov_b32_dpp v5, v1 row_shr:2 row_mask:0xf bank_mask:0xf
	;; [unrolled: 1-line block ×3, first 2 shown]
	v_pk_add_f32 v[0:1], v[0:1], v[4:5]
	v_add_f32_e32 v6, v6, v7
	v_cmp_eq_u32_e32 vcc, 7, v3
	v_mov_b32_dpp v4, v0 row_shr:4 row_mask:0xf bank_mask:0xe
	v_mov_b32_dpp v5, v1 row_shr:4 row_mask:0xf bank_mask:0xe
	;; [unrolled: 1-line block ×3, first 2 shown]
	s_and_b64 exec, exec, vcc
	s_cbranch_execz .LBB1_10
; %bb.26:
	s_load_dwordx2 s[0:1], s[0:1], 0x50
	v_pk_add_f32 v[4:5], v[0:1], v[4:5]
	v_add_f32_e32 v0, v6, v7
	v_cmp_eq_f32_e64 s[2:3], s14, 0
	v_lshl_add_u32 v6, v2, 1, v2
	s_and_b64 vcc, exec, s[2:3]
	v_mul_f32_e32 v2, s12, v0
	v_ashrrev_i32_e32 v7, 31, v6
	s_cbranch_vccz .LBB1_28
; %bb.27:
	s_waitcnt lgkmcnt(0)
	v_lshl_add_u64 v[8:9], v[6:7], 2, s[0:1]
	v_pk_mul_f32 v[0:1], s[12:13], v[4:5] op_sel_hi:[0,1]
	global_store_dwordx3 v[8:9], v[0:2], off
	s_cbranch_execnz .LBB1_10
	s_branch .LBB1_29
.LBB1_28:
.LBB1_29:
	s_waitcnt lgkmcnt(0)
	v_lshl_add_u64 v[10:11], v[6:7], 2, s[0:1]
	global_load_dwordx3 v[6:8], v[10:11], off
	v_pk_mul_f32 v[0:1], s[12:13], v[4:5] op_sel_hi:[0,1]
	s_waitcnt vmcnt(0)
	v_pk_fma_f32 v[0:1], s[14:15], v[6:7], v[0:1] op_sel_hi:[0,1,1]
	v_fmac_f32_e32 v2, s14, v8
	global_store_dwordx3 v[10:11], v[0:2], off
	s_endpgm
	.section	.rodata,"a",@progbits
	.p2align	6, 0x0
	.amdhsa_kernel _ZN9rocsparseL18bsrxmvn_3x3_kernelILj256ELj8EfiifffEEvT3_20rocsparse_direction_NS_24const_host_device_scalarIT1_EES1_PKS1_PKT2_SA_S7_PKT4_PKT5_S5_PT6_21rocsparse_index_base_b
		.amdhsa_group_segment_fixed_size 0
		.amdhsa_private_segment_fixed_size 0
		.amdhsa_kernarg_size 96
		.amdhsa_user_sgpr_count 2
		.amdhsa_user_sgpr_dispatch_ptr 0
		.amdhsa_user_sgpr_queue_ptr 0
		.amdhsa_user_sgpr_kernarg_segment_ptr 1
		.amdhsa_user_sgpr_dispatch_id 0
		.amdhsa_user_sgpr_kernarg_preload_length 0
		.amdhsa_user_sgpr_kernarg_preload_offset 0
		.amdhsa_user_sgpr_private_segment_size 0
		.amdhsa_uses_dynamic_stack 0
		.amdhsa_enable_private_segment 0
		.amdhsa_system_sgpr_workgroup_id_x 1
		.amdhsa_system_sgpr_workgroup_id_y 0
		.amdhsa_system_sgpr_workgroup_id_z 0
		.amdhsa_system_sgpr_workgroup_info 0
		.amdhsa_system_vgpr_workitem_id 0
		.amdhsa_next_free_vgpr 28
		.amdhsa_next_free_sgpr 20
		.amdhsa_accum_offset 28
		.amdhsa_reserve_vcc 1
		.amdhsa_float_round_mode_32 0
		.amdhsa_float_round_mode_16_64 0
		.amdhsa_float_denorm_mode_32 3
		.amdhsa_float_denorm_mode_16_64 3
		.amdhsa_dx10_clamp 1
		.amdhsa_ieee_mode 1
		.amdhsa_fp16_overflow 0
		.amdhsa_tg_split 0
		.amdhsa_exception_fp_ieee_invalid_op 0
		.amdhsa_exception_fp_denorm_src 0
		.amdhsa_exception_fp_ieee_div_zero 0
		.amdhsa_exception_fp_ieee_overflow 0
		.amdhsa_exception_fp_ieee_underflow 0
		.amdhsa_exception_fp_ieee_inexact 0
		.amdhsa_exception_int_div_zero 0
	.end_amdhsa_kernel
	.section	.text._ZN9rocsparseL18bsrxmvn_3x3_kernelILj256ELj8EfiifffEEvT3_20rocsparse_direction_NS_24const_host_device_scalarIT1_EES1_PKS1_PKT2_SA_S7_PKT4_PKT5_S5_PT6_21rocsparse_index_base_b,"axG",@progbits,_ZN9rocsparseL18bsrxmvn_3x3_kernelILj256ELj8EfiifffEEvT3_20rocsparse_direction_NS_24const_host_device_scalarIT1_EES1_PKS1_PKT2_SA_S7_PKT4_PKT5_S5_PT6_21rocsparse_index_base_b,comdat
.Lfunc_end1:
	.size	_ZN9rocsparseL18bsrxmvn_3x3_kernelILj256ELj8EfiifffEEvT3_20rocsparse_direction_NS_24const_host_device_scalarIT1_EES1_PKS1_PKT2_SA_S7_PKT4_PKT5_S5_PT6_21rocsparse_index_base_b, .Lfunc_end1-_ZN9rocsparseL18bsrxmvn_3x3_kernelILj256ELj8EfiifffEEvT3_20rocsparse_direction_NS_24const_host_device_scalarIT1_EES1_PKS1_PKT2_SA_S7_PKT4_PKT5_S5_PT6_21rocsparse_index_base_b
                                        ; -- End function
	.section	.AMDGPU.csdata,"",@progbits
; Kernel info:
; codeLenInByte = 1124
; NumSgprs: 26
; NumVgprs: 28
; NumAgprs: 0
; TotalNumVgprs: 28
; ScratchSize: 0
; MemoryBound: 0
; FloatMode: 240
; IeeeMode: 1
; LDSByteSize: 0 bytes/workgroup (compile time only)
; SGPRBlocks: 3
; VGPRBlocks: 3
; NumSGPRsForWavesPerEU: 26
; NumVGPRsForWavesPerEU: 28
; AccumOffset: 28
; Occupancy: 8
; WaveLimiterHint : 1
; COMPUTE_PGM_RSRC2:SCRATCH_EN: 0
; COMPUTE_PGM_RSRC2:USER_SGPR: 2
; COMPUTE_PGM_RSRC2:TRAP_HANDLER: 0
; COMPUTE_PGM_RSRC2:TGID_X_EN: 1
; COMPUTE_PGM_RSRC2:TGID_Y_EN: 0
; COMPUTE_PGM_RSRC2:TGID_Z_EN: 0
; COMPUTE_PGM_RSRC2:TIDIG_COMP_CNT: 0
; COMPUTE_PGM_RSRC3_GFX90A:ACCUM_OFFSET: 6
; COMPUTE_PGM_RSRC3_GFX90A:TG_SPLIT: 0
	.section	.text._ZN9rocsparseL18bsrxmvn_3x3_kernelILj256ELj16EfiifffEEvT3_20rocsparse_direction_NS_24const_host_device_scalarIT1_EES1_PKS1_PKT2_SA_S7_PKT4_PKT5_S5_PT6_21rocsparse_index_base_b,"axG",@progbits,_ZN9rocsparseL18bsrxmvn_3x3_kernelILj256ELj16EfiifffEEvT3_20rocsparse_direction_NS_24const_host_device_scalarIT1_EES1_PKS1_PKT2_SA_S7_PKT4_PKT5_S5_PT6_21rocsparse_index_base_b,comdat
	.globl	_ZN9rocsparseL18bsrxmvn_3x3_kernelILj256ELj16EfiifffEEvT3_20rocsparse_direction_NS_24const_host_device_scalarIT1_EES1_PKS1_PKT2_SA_S7_PKT4_PKT5_S5_PT6_21rocsparse_index_base_b ; -- Begin function _ZN9rocsparseL18bsrxmvn_3x3_kernelILj256ELj16EfiifffEEvT3_20rocsparse_direction_NS_24const_host_device_scalarIT1_EES1_PKS1_PKT2_SA_S7_PKT4_PKT5_S5_PT6_21rocsparse_index_base_b
	.p2align	8
	.type	_ZN9rocsparseL18bsrxmvn_3x3_kernelILj256ELj16EfiifffEEvT3_20rocsparse_direction_NS_24const_host_device_scalarIT1_EES1_PKS1_PKT2_SA_S7_PKT4_PKT5_S5_PT6_21rocsparse_index_base_b,@function
_ZN9rocsparseL18bsrxmvn_3x3_kernelILj256ELj16EfiifffEEvT3_20rocsparse_direction_NS_24const_host_device_scalarIT1_EES1_PKS1_PKT2_SA_S7_PKT4_PKT5_S5_PT6_21rocsparse_index_base_b: ; @_ZN9rocsparseL18bsrxmvn_3x3_kernelILj256ELj16EfiifffEEvT3_20rocsparse_direction_NS_24const_host_device_scalarIT1_EES1_PKS1_PKT2_SA_S7_PKT4_PKT5_S5_PT6_21rocsparse_index_base_b
; %bb.0:
	s_load_dwordx2 s[16:17], s[0:1], 0x58
	s_load_dwordx2 s[12:13], s[0:1], 0x8
	s_load_dwordx2 s[14:15], s[0:1], 0x48
	s_waitcnt lgkmcnt(0)
	s_bitcmp1_b32 s17, 0
	s_cselect_b64 s[6:7], -1, 0
	s_xor_b64 s[4:5], s[6:7], -1
	s_and_b64 vcc, exec, s[6:7]
	s_cbranch_vccnz .LBB2_2
; %bb.1:
	s_load_dword s12, s[12:13], 0x0
.LBB2_2:
	s_andn2_b64 vcc, exec, s[4:5]
	s_cbranch_vccnz .LBB2_4
; %bb.3:
	s_load_dword s14, s[14:15], 0x0
.LBB2_4:
	s_waitcnt lgkmcnt(0)
	v_cmp_neq_f32_e64 s[4:5], s12, 0
	v_cmp_neq_f32_e64 s[6:7], s14, 1.0
	s_or_b64 s[4:5], s[4:5], s[6:7]
	s_andn2_b64 vcc, exec, s[4:5]
	s_cbranch_vccnz .LBB2_10
; %bb.5:
	s_load_dwordx2 s[4:5], s[0:1], 0x18
	s_load_dwordx2 s[18:19], s[0:1], 0x0
	v_lshrrev_b32_e32 v1, 4, v0
	v_lshl_or_b32 v2, s2, 4, v1
	s_mov_b64 s[2:3], 0
	s_waitcnt lgkmcnt(0)
	s_cmp_lg_u64 s[4:5], 0
	s_cbranch_scc0 .LBB2_11
; %bb.6:
	s_load_dword s6, s[0:1], 0x10
                                        ; implicit-def: $vgpr1
	s_waitcnt lgkmcnt(0)
	v_cmp_gt_i32_e32 vcc, s6, v2
	s_and_saveexec_b64 s[6:7], vcc
	s_xor_b64 s[6:7], exec, s[6:7]
	s_cbranch_execz .LBB2_8
; %bb.7:
	v_ashrrev_i32_e32 v3, 31, v2
	v_lshl_add_u64 v[4:5], v[2:3], 2, s[4:5]
	global_load_dword v1, v[4:5], off
	s_mov_b64 s[2:3], exec
	s_waitcnt vmcnt(0)
	v_subrev_u32_e32 v1, s16, v1
.LBB2_8:
	s_or_b64 exec, exec, s[6:7]
	s_branch .LBB2_12
.LBB2_9:
	v_cmp_gt_i32_e32 vcc, s18, v2
	s_andn2_b64 s[2:3], s[2:3], exec
	s_and_b64 s[4:5], vcc, exec
	s_or_b64 s[2:3], s[2:3], s[4:5]
	s_and_saveexec_b64 s[4:5], s[2:3]
	s_cbranch_execnz .LBB2_13
.LBB2_10:
	s_endpgm
.LBB2_11:
                                        ; implicit-def: $vgpr1
	s_cbranch_execnz .LBB2_9
.LBB2_12:
	v_mov_b32_e32 v2, v1
	s_and_saveexec_b64 s[4:5], s[2:3]
	s_cbranch_execz .LBB2_10
.LBB2_13:
	s_load_dwordx8 s[4:11], s[0:1], 0x20
	v_ashrrev_i32_e32 v3, 31, v2
	v_lshlrev_b64 v[4:5], 2, v[2:3]
	v_and_b32_e32 v3, 15, v0
	s_waitcnt lgkmcnt(0)
	v_lshl_add_u64 v[6:7], s[4:5], 0, v[4:5]
	s_cmp_eq_u64 s[6:7], 0
	global_load_dword v1, v[6:7], off
	v_lshl_add_u64 v[6:7], v[6:7], 0, 4
	v_lshl_add_u64 v[4:5], s[6:7], 0, v[4:5]
	s_cselect_b64 vcc, -1, 0
	v_cndmask_b32_e32 v5, v5, v7, vcc
	v_cndmask_b32_e32 v4, v4, v6, vcc
	global_load_dword v4, v[4:5], off
	s_load_dwordx2 s[4:5], s[0:1], 0x40
	s_cmp_eq_u32 s19, 1
	s_waitcnt vmcnt(1)
	v_subrev_u32_e32 v0, s16, v1
	v_add_u32_e32 v0, v0, v3
	s_waitcnt vmcnt(0)
	v_subrev_u32_e32 v13, s16, v4
	v_mad_i64_i32 v[4:5], s[2:3], v0, 36, s[10:11]
	v_cmp_lt_i32_e64 s[2:3], v0, v13
	s_cbranch_scc1 .LBB2_19
; %bb.14:
	v_mov_b32_e32 v7, 0
	v_mov_b32_e32 v6, v7
	;; [unrolled: 1-line block ×3, first 2 shown]
	s_and_saveexec_b64 s[6:7], s[2:3]
	s_cbranch_execz .LBB2_18
; %bb.15:
	v_mov_b32_e32 v12, 0
	s_mov_b64 s[10:11], 0
	s_mov_b64 s[18:19], 0x240
	v_mov_b64_e32 v[8:9], v[4:5]
	v_mov_b32_e32 v10, v0
	v_mov_b32_e32 v6, 0
	;; [unrolled: 1-line block ×3, first 2 shown]
.LBB2_16:                               ; =>This Inner Loop Header: Depth=1
	v_ashrrev_i32_e32 v11, 31, v10
	v_lshl_add_u64 v[22:23], v[10:11], 2, s[8:9]
	global_load_dword v1, v[22:23], off
	global_load_dwordx4 v[14:17], v[8:9], off offset:16
	global_load_dwordx4 v[18:21], v[8:9], off
	v_add_u32_e32 v10, 16, v10
	v_cmp_ge_i32_e32 vcc, v10, v13
	s_or_b64 s[10:11], vcc, s[10:11]
	s_waitcnt vmcnt(2)
	v_subrev_u32_e32 v1, s16, v1
	v_lshl_add_u32 v22, v1, 1, v1
	v_ashrrev_i32_e32 v23, 31, v22
	s_waitcnt lgkmcnt(0)
	v_lshl_add_u64 v[26:27], v[22:23], 2, s[4:5]
	global_load_dwordx3 v[22:24], v[26:27], off
	global_load_dword v1, v[8:9], off offset:32
	s_waitcnt vmcnt(2)
	v_mov_b32_e32 v26, v18
	v_mov_b32_e32 v27, v21
	;; [unrolled: 1-line block ×5, first 2 shown]
	v_lshl_add_u64 v[8:9], v[8:9], 0, s[18:19]
	s_waitcnt vmcnt(1)
	v_pk_fma_f32 v[6:7], v[26:27], v[22:23], v[6:7] op_sel_hi:[1,0,1]
	v_fmac_f32_e32 v12, v16, v22
	v_mov_b32_e32 v14, v24
	v_pk_fma_f32 v[6:7], v[18:19], v[22:23], v[6:7] op_sel:[0,1,0]
	v_fmac_f32_e32 v12, v17, v23
	v_pk_fma_f32 v[6:7], v[20:21], v[14:15], v[6:7] op_sel_hi:[1,0,1]
	s_waitcnt vmcnt(0)
	v_fmac_f32_e32 v12, v1, v24
	s_andn2_b64 exec, exec, s[10:11]
	s_cbranch_execnz .LBB2_16
; %bb.17:
	s_or_b64 exec, exec, s[10:11]
.LBB2_18:
	s_or_b64 exec, exec, s[6:7]
	s_cbranch_execz .LBB2_20
	s_branch .LBB2_25
.LBB2_19:
                                        ; implicit-def: $vgpr7
                                        ; implicit-def: $vgpr12
.LBB2_20:
	v_mov_b32_e32 v7, 0
	v_mov_b32_e32 v6, v7
	;; [unrolled: 1-line block ×3, first 2 shown]
	s_and_saveexec_b64 s[6:7], s[2:3]
	s_cbranch_execz .LBB2_24
; %bb.21:
	v_mov_b32_e32 v12, 0
	s_mov_b64 s[2:3], 0
	s_mov_b64 s[10:11], 0x240
	v_mov_b32_e32 v6, 0
	v_mov_b32_e32 v7, v12
.LBB2_22:                               ; =>This Inner Loop Header: Depth=1
	v_ashrrev_i32_e32 v1, 31, v0
	v_lshl_add_u64 v[18:19], v[0:1], 2, s[8:9]
	global_load_dword v1, v[18:19], off
	global_load_dwordx4 v[8:11], v[4:5], off offset:16
	global_load_dwordx4 v[14:17], v[4:5], off
	v_add_u32_e32 v0, 16, v0
	v_cmp_ge_i32_e32 vcc, v0, v13
	s_or_b64 s[2:3], vcc, s[2:3]
	s_waitcnt vmcnt(2)
	v_subrev_u32_e32 v1, s16, v1
	v_lshl_add_u32 v18, v1, 1, v1
	v_ashrrev_i32_e32 v19, 31, v18
	s_waitcnt lgkmcnt(0)
	v_lshl_add_u64 v[22:23], v[18:19], 2, s[4:5]
	global_load_dwordx3 v[18:20], v[22:23], off
	global_load_dword v1, v[4:5], off offset:32
	s_waitcnt vmcnt(2)
	v_mov_b32_e32 v22, v17
	v_mov_b32_e32 v23, v8
	v_lshl_add_u64 v[4:5], v[4:5], 0, s[10:11]
	s_waitcnt vmcnt(1)
	v_fmac_f32_e32 v12, v16, v18
	v_pk_fma_f32 v[6:7], v[14:15], v[18:19], v[6:7] op_sel_hi:[1,0,1]
	v_mov_b32_e32 v8, v20
	v_fmac_f32_e32 v12, v9, v19
	v_pk_fma_f32 v[6:7], v[22:23], v[18:19], v[6:7] op_sel:[0,1,0]
	s_waitcnt vmcnt(0)
	v_fmac_f32_e32 v12, v1, v20
	v_pk_fma_f32 v[6:7], v[10:11], v[8:9], v[6:7] op_sel_hi:[1,0,1]
	s_andn2_b64 exec, exec, s[2:3]
	s_cbranch_execnz .LBB2_22
; %bb.23:
	s_or_b64 exec, exec, s[2:3]
.LBB2_24:
	s_or_b64 exec, exec, s[6:7]
.LBB2_25:
	v_mov_b32_dpp v0, v6 row_shr:1 row_mask:0xf bank_mask:0xf
	v_mov_b32_dpp v1, v7 row_shr:1 row_mask:0xf bank_mask:0xf
	v_pk_add_f32 v[0:1], v[6:7], v[0:1]
	v_mov_b32_dpp v6, v12 row_shr:1 row_mask:0xf bank_mask:0xf
	v_add_f32_e32 v6, v12, v6
	v_mov_b32_dpp v4, v0 row_shr:2 row_mask:0xf bank_mask:0xf
	v_mov_b32_dpp v5, v1 row_shr:2 row_mask:0xf bank_mask:0xf
	;; [unrolled: 1-line block ×3, first 2 shown]
	v_pk_add_f32 v[0:1], v[0:1], v[4:5]
	v_add_f32_e32 v6, v6, v7
	v_cmp_eq_u32_e32 vcc, 15, v3
	v_mov_b32_dpp v4, v0 row_shr:4 row_mask:0xf bank_mask:0xe
	v_mov_b32_dpp v5, v1 row_shr:4 row_mask:0xf bank_mask:0xe
	;; [unrolled: 1-line block ×3, first 2 shown]
	v_pk_add_f32 v[0:1], v[0:1], v[4:5]
	v_add_f32_e32 v6, v6, v7
	s_nop 0
	v_mov_b32_dpp v4, v0 row_shr:8 row_mask:0xf bank_mask:0xc
	v_mov_b32_dpp v5, v1 row_shr:8 row_mask:0xf bank_mask:0xc
	;; [unrolled: 1-line block ×3, first 2 shown]
	s_and_b64 exec, exec, vcc
	s_cbranch_execz .LBB2_10
; %bb.26:
	s_load_dwordx2 s[0:1], s[0:1], 0x50
	v_pk_add_f32 v[4:5], v[0:1], v[4:5]
	v_add_f32_e32 v0, v6, v7
	v_cmp_eq_f32_e64 s[2:3], s14, 0
	v_lshl_add_u32 v6, v2, 1, v2
	s_and_b64 vcc, exec, s[2:3]
	v_mul_f32_e32 v2, s12, v0
	v_ashrrev_i32_e32 v7, 31, v6
	s_cbranch_vccz .LBB2_28
; %bb.27:
	s_waitcnt lgkmcnt(0)
	v_lshl_add_u64 v[8:9], v[6:7], 2, s[0:1]
	v_pk_mul_f32 v[0:1], s[12:13], v[4:5] op_sel_hi:[0,1]
	global_store_dwordx3 v[8:9], v[0:2], off
	s_cbranch_execnz .LBB2_10
	s_branch .LBB2_29
.LBB2_28:
.LBB2_29:
	s_waitcnt lgkmcnt(0)
	v_lshl_add_u64 v[10:11], v[6:7], 2, s[0:1]
	global_load_dwordx3 v[6:8], v[10:11], off
	v_pk_mul_f32 v[0:1], s[12:13], v[4:5] op_sel_hi:[0,1]
	s_waitcnt vmcnt(0)
	v_pk_fma_f32 v[0:1], s[14:15], v[6:7], v[0:1] op_sel_hi:[0,1,1]
	v_fmac_f32_e32 v2, s14, v8
	global_store_dwordx3 v[10:11], v[0:2], off
	s_endpgm
	.section	.rodata,"a",@progbits
	.p2align	6, 0x0
	.amdhsa_kernel _ZN9rocsparseL18bsrxmvn_3x3_kernelILj256ELj16EfiifffEEvT3_20rocsparse_direction_NS_24const_host_device_scalarIT1_EES1_PKS1_PKT2_SA_S7_PKT4_PKT5_S5_PT6_21rocsparse_index_base_b
		.amdhsa_group_segment_fixed_size 0
		.amdhsa_private_segment_fixed_size 0
		.amdhsa_kernarg_size 96
		.amdhsa_user_sgpr_count 2
		.amdhsa_user_sgpr_dispatch_ptr 0
		.amdhsa_user_sgpr_queue_ptr 0
		.amdhsa_user_sgpr_kernarg_segment_ptr 1
		.amdhsa_user_sgpr_dispatch_id 0
		.amdhsa_user_sgpr_kernarg_preload_length 0
		.amdhsa_user_sgpr_kernarg_preload_offset 0
		.amdhsa_user_sgpr_private_segment_size 0
		.amdhsa_uses_dynamic_stack 0
		.amdhsa_enable_private_segment 0
		.amdhsa_system_sgpr_workgroup_id_x 1
		.amdhsa_system_sgpr_workgroup_id_y 0
		.amdhsa_system_sgpr_workgroup_id_z 0
		.amdhsa_system_sgpr_workgroup_info 0
		.amdhsa_system_vgpr_workitem_id 0
		.amdhsa_next_free_vgpr 28
		.amdhsa_next_free_sgpr 20
		.amdhsa_accum_offset 28
		.amdhsa_reserve_vcc 1
		.amdhsa_float_round_mode_32 0
		.amdhsa_float_round_mode_16_64 0
		.amdhsa_float_denorm_mode_32 3
		.amdhsa_float_denorm_mode_16_64 3
		.amdhsa_dx10_clamp 1
		.amdhsa_ieee_mode 1
		.amdhsa_fp16_overflow 0
		.amdhsa_tg_split 0
		.amdhsa_exception_fp_ieee_invalid_op 0
		.amdhsa_exception_fp_denorm_src 0
		.amdhsa_exception_fp_ieee_div_zero 0
		.amdhsa_exception_fp_ieee_overflow 0
		.amdhsa_exception_fp_ieee_underflow 0
		.amdhsa_exception_fp_ieee_inexact 0
		.amdhsa_exception_int_div_zero 0
	.end_amdhsa_kernel
	.section	.text._ZN9rocsparseL18bsrxmvn_3x3_kernelILj256ELj16EfiifffEEvT3_20rocsparse_direction_NS_24const_host_device_scalarIT1_EES1_PKS1_PKT2_SA_S7_PKT4_PKT5_S5_PT6_21rocsparse_index_base_b,"axG",@progbits,_ZN9rocsparseL18bsrxmvn_3x3_kernelILj256ELj16EfiifffEEvT3_20rocsparse_direction_NS_24const_host_device_scalarIT1_EES1_PKS1_PKT2_SA_S7_PKT4_PKT5_S5_PT6_21rocsparse_index_base_b,comdat
.Lfunc_end2:
	.size	_ZN9rocsparseL18bsrxmvn_3x3_kernelILj256ELj16EfiifffEEvT3_20rocsparse_direction_NS_24const_host_device_scalarIT1_EES1_PKS1_PKT2_SA_S7_PKT4_PKT5_S5_PT6_21rocsparse_index_base_b, .Lfunc_end2-_ZN9rocsparseL18bsrxmvn_3x3_kernelILj256ELj16EfiifffEEvT3_20rocsparse_direction_NS_24const_host_device_scalarIT1_EES1_PKS1_PKT2_SA_S7_PKT4_PKT5_S5_PT6_21rocsparse_index_base_b
                                        ; -- End function
	.section	.AMDGPU.csdata,"",@progbits
; Kernel info:
; codeLenInByte = 1164
; NumSgprs: 26
; NumVgprs: 28
; NumAgprs: 0
; TotalNumVgprs: 28
; ScratchSize: 0
; MemoryBound: 0
; FloatMode: 240
; IeeeMode: 1
; LDSByteSize: 0 bytes/workgroup (compile time only)
; SGPRBlocks: 3
; VGPRBlocks: 3
; NumSGPRsForWavesPerEU: 26
; NumVGPRsForWavesPerEU: 28
; AccumOffset: 28
; Occupancy: 8
; WaveLimiterHint : 1
; COMPUTE_PGM_RSRC2:SCRATCH_EN: 0
; COMPUTE_PGM_RSRC2:USER_SGPR: 2
; COMPUTE_PGM_RSRC2:TRAP_HANDLER: 0
; COMPUTE_PGM_RSRC2:TGID_X_EN: 1
; COMPUTE_PGM_RSRC2:TGID_Y_EN: 0
; COMPUTE_PGM_RSRC2:TGID_Z_EN: 0
; COMPUTE_PGM_RSRC2:TIDIG_COMP_CNT: 0
; COMPUTE_PGM_RSRC3_GFX90A:ACCUM_OFFSET: 6
; COMPUTE_PGM_RSRC3_GFX90A:TG_SPLIT: 0
	.section	.text._ZN9rocsparseL18bsrxmvn_3x3_kernelILj256ELj32EfiifffEEvT3_20rocsparse_direction_NS_24const_host_device_scalarIT1_EES1_PKS1_PKT2_SA_S7_PKT4_PKT5_S5_PT6_21rocsparse_index_base_b,"axG",@progbits,_ZN9rocsparseL18bsrxmvn_3x3_kernelILj256ELj32EfiifffEEvT3_20rocsparse_direction_NS_24const_host_device_scalarIT1_EES1_PKS1_PKT2_SA_S7_PKT4_PKT5_S5_PT6_21rocsparse_index_base_b,comdat
	.globl	_ZN9rocsparseL18bsrxmvn_3x3_kernelILj256ELj32EfiifffEEvT3_20rocsparse_direction_NS_24const_host_device_scalarIT1_EES1_PKS1_PKT2_SA_S7_PKT4_PKT5_S5_PT6_21rocsparse_index_base_b ; -- Begin function _ZN9rocsparseL18bsrxmvn_3x3_kernelILj256ELj32EfiifffEEvT3_20rocsparse_direction_NS_24const_host_device_scalarIT1_EES1_PKS1_PKT2_SA_S7_PKT4_PKT5_S5_PT6_21rocsparse_index_base_b
	.p2align	8
	.type	_ZN9rocsparseL18bsrxmvn_3x3_kernelILj256ELj32EfiifffEEvT3_20rocsparse_direction_NS_24const_host_device_scalarIT1_EES1_PKS1_PKT2_SA_S7_PKT4_PKT5_S5_PT6_21rocsparse_index_base_b,@function
_ZN9rocsparseL18bsrxmvn_3x3_kernelILj256ELj32EfiifffEEvT3_20rocsparse_direction_NS_24const_host_device_scalarIT1_EES1_PKS1_PKT2_SA_S7_PKT4_PKT5_S5_PT6_21rocsparse_index_base_b: ; @_ZN9rocsparseL18bsrxmvn_3x3_kernelILj256ELj32EfiifffEEvT3_20rocsparse_direction_NS_24const_host_device_scalarIT1_EES1_PKS1_PKT2_SA_S7_PKT4_PKT5_S5_PT6_21rocsparse_index_base_b
; %bb.0:
	s_load_dwordx2 s[16:17], s[0:1], 0x58
	s_load_dwordx2 s[12:13], s[0:1], 0x8
	;; [unrolled: 1-line block ×3, first 2 shown]
	s_waitcnt lgkmcnt(0)
	s_bitcmp1_b32 s17, 0
	s_cselect_b64 s[6:7], -1, 0
	s_xor_b64 s[4:5], s[6:7], -1
	s_and_b64 vcc, exec, s[6:7]
	s_cbranch_vccnz .LBB3_2
; %bb.1:
	s_load_dword s12, s[12:13], 0x0
.LBB3_2:
	s_andn2_b64 vcc, exec, s[4:5]
	s_cbranch_vccnz .LBB3_4
; %bb.3:
	s_load_dword s14, s[14:15], 0x0
.LBB3_4:
	s_waitcnt lgkmcnt(0)
	v_cmp_neq_f32_e64 s[4:5], s12, 0
	v_cmp_neq_f32_e64 s[6:7], s14, 1.0
	s_or_b64 s[4:5], s[4:5], s[6:7]
	s_andn2_b64 vcc, exec, s[4:5]
	s_cbranch_vccnz .LBB3_10
; %bb.5:
	s_load_dwordx2 s[4:5], s[0:1], 0x18
	s_load_dwordx2 s[18:19], s[0:1], 0x0
	v_lshrrev_b32_e32 v1, 5, v0
	v_lshl_or_b32 v2, s2, 3, v1
	s_mov_b64 s[2:3], 0
	s_waitcnt lgkmcnt(0)
	s_cmp_lg_u64 s[4:5], 0
	s_cbranch_scc0 .LBB3_11
; %bb.6:
	s_load_dword s6, s[0:1], 0x10
                                        ; implicit-def: $vgpr1
	s_waitcnt lgkmcnt(0)
	v_cmp_gt_i32_e32 vcc, s6, v2
	s_and_saveexec_b64 s[6:7], vcc
	s_xor_b64 s[6:7], exec, s[6:7]
	s_cbranch_execz .LBB3_8
; %bb.7:
	v_ashrrev_i32_e32 v3, 31, v2
	v_lshl_add_u64 v[4:5], v[2:3], 2, s[4:5]
	global_load_dword v1, v[4:5], off
	s_mov_b64 s[2:3], exec
	s_waitcnt vmcnt(0)
	v_subrev_u32_e32 v1, s16, v1
.LBB3_8:
	s_or_b64 exec, exec, s[6:7]
	s_branch .LBB3_12
.LBB3_9:
	v_cmp_gt_i32_e32 vcc, s18, v2
	s_andn2_b64 s[2:3], s[2:3], exec
	s_and_b64 s[4:5], vcc, exec
	s_or_b64 s[2:3], s[2:3], s[4:5]
	s_and_saveexec_b64 s[4:5], s[2:3]
	s_cbranch_execnz .LBB3_13
.LBB3_10:
	s_endpgm
.LBB3_11:
                                        ; implicit-def: $vgpr1
	s_cbranch_execnz .LBB3_9
.LBB3_12:
	v_mov_b32_e32 v2, v1
	s_and_saveexec_b64 s[4:5], s[2:3]
	s_cbranch_execz .LBB3_10
.LBB3_13:
	s_load_dwordx8 s[4:11], s[0:1], 0x20
	v_ashrrev_i32_e32 v3, 31, v2
	v_lshlrev_b64 v[4:5], 2, v[2:3]
	v_and_b32_e32 v3, 31, v0
	s_waitcnt lgkmcnt(0)
	v_lshl_add_u64 v[6:7], s[4:5], 0, v[4:5]
	s_cmp_eq_u64 s[6:7], 0
	global_load_dword v1, v[6:7], off
	v_lshl_add_u64 v[6:7], v[6:7], 0, 4
	v_lshl_add_u64 v[4:5], s[6:7], 0, v[4:5]
	s_cselect_b64 vcc, -1, 0
	v_cndmask_b32_e32 v5, v5, v7, vcc
	v_cndmask_b32_e32 v4, v4, v6, vcc
	global_load_dword v4, v[4:5], off
	s_load_dwordx2 s[4:5], s[0:1], 0x40
	s_cmp_eq_u32 s19, 1
	s_waitcnt vmcnt(1)
	v_subrev_u32_e32 v0, s16, v1
	v_add_u32_e32 v0, v0, v3
	s_waitcnt vmcnt(0)
	v_subrev_u32_e32 v13, s16, v4
	v_mad_i64_i32 v[4:5], s[2:3], v0, 36, s[10:11]
	v_cmp_lt_i32_e64 s[2:3], v0, v13
	s_cbranch_scc1 .LBB3_19
; %bb.14:
	v_mov_b32_e32 v7, 0
	v_mov_b32_e32 v6, v7
	;; [unrolled: 1-line block ×3, first 2 shown]
	s_and_saveexec_b64 s[6:7], s[2:3]
	s_cbranch_execz .LBB3_18
; %bb.15:
	v_mov_b32_e32 v12, 0
	s_mov_b64 s[10:11], 0
	s_mov_b64 s[18:19], 0x480
	v_mov_b64_e32 v[8:9], v[4:5]
	v_mov_b32_e32 v10, v0
	v_mov_b32_e32 v7, 0
	v_mov_b32_e32 v6, v12
.LBB3_16:                               ; =>This Inner Loop Header: Depth=1
	v_ashrrev_i32_e32 v11, 31, v10
	v_lshl_add_u64 v[22:23], v[10:11], 2, s[8:9]
	global_load_dword v1, v[22:23], off
	global_load_dwordx4 v[14:17], v[8:9], off offset:16
	global_load_dwordx4 v[18:21], v[8:9], off
	v_add_u32_e32 v10, 32, v10
	v_cmp_ge_i32_e32 vcc, v10, v13
	s_or_b64 s[10:11], vcc, s[10:11]
	s_waitcnt vmcnt(2)
	v_subrev_u32_e32 v1, s16, v1
	v_lshl_add_u32 v22, v1, 1, v1
	v_ashrrev_i32_e32 v23, 31, v22
	s_waitcnt lgkmcnt(0)
	v_lshl_add_u64 v[26:27], v[22:23], 2, s[4:5]
	global_load_dwordx3 v[22:24], v[26:27], off
	global_load_dword v1, v[8:9], off offset:32
	s_waitcnt vmcnt(2)
	v_mov_b32_e32 v26, v18
	v_mov_b32_e32 v27, v21
	;; [unrolled: 1-line block ×5, first 2 shown]
	v_lshl_add_u64 v[8:9], v[8:9], 0, s[18:19]
	s_waitcnt vmcnt(1)
	v_pk_fma_f32 v[6:7], v[26:27], v[22:23], v[6:7] op_sel_hi:[1,0,1]
	v_fmac_f32_e32 v12, v16, v22
	v_mov_b32_e32 v14, v24
	v_pk_fma_f32 v[6:7], v[18:19], v[22:23], v[6:7] op_sel:[0,1,0]
	v_fmac_f32_e32 v12, v17, v23
	v_pk_fma_f32 v[6:7], v[20:21], v[14:15], v[6:7] op_sel_hi:[1,0,1]
	s_waitcnt vmcnt(0)
	v_fmac_f32_e32 v12, v1, v24
	s_andn2_b64 exec, exec, s[10:11]
	s_cbranch_execnz .LBB3_16
; %bb.17:
	s_or_b64 exec, exec, s[10:11]
.LBB3_18:
	s_or_b64 exec, exec, s[6:7]
	s_cbranch_execz .LBB3_20
	s_branch .LBB3_25
.LBB3_19:
                                        ; implicit-def: $vgpr7
                                        ; implicit-def: $vgpr12
.LBB3_20:
	v_mov_b32_e32 v7, 0
	v_mov_b32_e32 v6, v7
	;; [unrolled: 1-line block ×3, first 2 shown]
	s_and_saveexec_b64 s[6:7], s[2:3]
	s_cbranch_execz .LBB3_24
; %bb.21:
	v_mov_b32_e32 v12, 0
	s_mov_b64 s[2:3], 0
	s_mov_b64 s[10:11], 0x480
	v_mov_b32_e32 v7, 0
	v_mov_b32_e32 v6, v12
.LBB3_22:                               ; =>This Inner Loop Header: Depth=1
	v_ashrrev_i32_e32 v1, 31, v0
	v_lshl_add_u64 v[18:19], v[0:1], 2, s[8:9]
	global_load_dword v1, v[18:19], off
	global_load_dwordx4 v[8:11], v[4:5], off offset:16
	global_load_dwordx4 v[14:17], v[4:5], off
	v_add_u32_e32 v0, 32, v0
	v_cmp_ge_i32_e32 vcc, v0, v13
	s_or_b64 s[2:3], vcc, s[2:3]
	s_waitcnt vmcnt(2)
	v_subrev_u32_e32 v1, s16, v1
	v_lshl_add_u32 v18, v1, 1, v1
	v_ashrrev_i32_e32 v19, 31, v18
	s_waitcnt lgkmcnt(0)
	v_lshl_add_u64 v[22:23], v[18:19], 2, s[4:5]
	global_load_dwordx3 v[18:20], v[22:23], off
	global_load_dword v1, v[4:5], off offset:32
	s_waitcnt vmcnt(2)
	v_mov_b32_e32 v22, v17
	v_mov_b32_e32 v23, v8
	v_lshl_add_u64 v[4:5], v[4:5], 0, s[10:11]
	s_waitcnt vmcnt(1)
	v_fmac_f32_e32 v12, v16, v18
	v_pk_fma_f32 v[6:7], v[14:15], v[18:19], v[6:7] op_sel_hi:[1,0,1]
	v_mov_b32_e32 v8, v20
	v_fmac_f32_e32 v12, v9, v19
	v_pk_fma_f32 v[6:7], v[22:23], v[18:19], v[6:7] op_sel:[0,1,0]
	s_waitcnt vmcnt(0)
	v_fmac_f32_e32 v12, v1, v20
	v_pk_fma_f32 v[6:7], v[10:11], v[8:9], v[6:7] op_sel_hi:[1,0,1]
	s_andn2_b64 exec, exec, s[2:3]
	s_cbranch_execnz .LBB3_22
; %bb.23:
	s_or_b64 exec, exec, s[2:3]
.LBB3_24:
	s_or_b64 exec, exec, s[6:7]
.LBB3_25:
	v_mov_b32_dpp v0, v6 row_shr:1 row_mask:0xf bank_mask:0xf
	v_mov_b32_dpp v1, v7 row_shr:1 row_mask:0xf bank_mask:0xf
	v_pk_add_f32 v[0:1], v[6:7], v[0:1]
	v_mov_b32_dpp v6, v12 row_shr:1 row_mask:0xf bank_mask:0xf
	v_add_f32_e32 v6, v12, v6
	v_mov_b32_dpp v4, v0 row_shr:2 row_mask:0xf bank_mask:0xf
	v_mov_b32_dpp v5, v1 row_shr:2 row_mask:0xf bank_mask:0xf
	;; [unrolled: 1-line block ×3, first 2 shown]
	v_pk_add_f32 v[0:1], v[0:1], v[4:5]
	v_add_f32_e32 v6, v6, v7
	v_cmp_eq_u32_e32 vcc, 31, v3
	v_mov_b32_dpp v4, v0 row_shr:4 row_mask:0xf bank_mask:0xe
	v_mov_b32_dpp v5, v1 row_shr:4 row_mask:0xf bank_mask:0xe
	;; [unrolled: 1-line block ×3, first 2 shown]
	v_pk_add_f32 v[0:1], v[0:1], v[4:5]
	v_add_f32_e32 v6, v6, v7
	s_nop 0
	v_mov_b32_dpp v4, v0 row_shr:8 row_mask:0xf bank_mask:0xc
	v_mov_b32_dpp v5, v1 row_shr:8 row_mask:0xf bank_mask:0xc
	;; [unrolled: 1-line block ×3, first 2 shown]
	v_pk_add_f32 v[0:1], v[0:1], v[4:5]
	v_add_f32_e32 v6, v6, v7
	s_nop 0
	v_mov_b32_dpp v4, v0 row_bcast:15 row_mask:0xa bank_mask:0xf
	v_mov_b32_dpp v5, v1 row_bcast:15 row_mask:0xa bank_mask:0xf
	;; [unrolled: 1-line block ×3, first 2 shown]
	s_and_b64 exec, exec, vcc
	s_cbranch_execz .LBB3_10
; %bb.26:
	s_load_dwordx2 s[0:1], s[0:1], 0x50
	v_pk_add_f32 v[4:5], v[0:1], v[4:5]
	v_add_f32_e32 v0, v6, v7
	v_cmp_eq_f32_e64 s[2:3], s14, 0
	v_lshl_add_u32 v6, v2, 1, v2
	s_and_b64 vcc, exec, s[2:3]
	v_mul_f32_e32 v2, s12, v0
	v_ashrrev_i32_e32 v7, 31, v6
	s_cbranch_vccz .LBB3_28
; %bb.27:
	s_waitcnt lgkmcnt(0)
	v_lshl_add_u64 v[8:9], v[6:7], 2, s[0:1]
	v_pk_mul_f32 v[0:1], s[12:13], v[4:5] op_sel_hi:[0,1]
	global_store_dwordx3 v[8:9], v[0:2], off
	s_cbranch_execnz .LBB3_10
	s_branch .LBB3_29
.LBB3_28:
.LBB3_29:
	s_waitcnt lgkmcnt(0)
	v_lshl_add_u64 v[10:11], v[6:7], 2, s[0:1]
	global_load_dwordx3 v[6:8], v[10:11], off
	v_pk_mul_f32 v[0:1], s[12:13], v[4:5] op_sel_hi:[0,1]
	s_waitcnt vmcnt(0)
	v_pk_fma_f32 v[0:1], s[14:15], v[6:7], v[0:1] op_sel_hi:[0,1,1]
	v_fmac_f32_e32 v2, s14, v8
	global_store_dwordx3 v[10:11], v[0:2], off
	s_endpgm
	.section	.rodata,"a",@progbits
	.p2align	6, 0x0
	.amdhsa_kernel _ZN9rocsparseL18bsrxmvn_3x3_kernelILj256ELj32EfiifffEEvT3_20rocsparse_direction_NS_24const_host_device_scalarIT1_EES1_PKS1_PKT2_SA_S7_PKT4_PKT5_S5_PT6_21rocsparse_index_base_b
		.amdhsa_group_segment_fixed_size 0
		.amdhsa_private_segment_fixed_size 0
		.amdhsa_kernarg_size 96
		.amdhsa_user_sgpr_count 2
		.amdhsa_user_sgpr_dispatch_ptr 0
		.amdhsa_user_sgpr_queue_ptr 0
		.amdhsa_user_sgpr_kernarg_segment_ptr 1
		.amdhsa_user_sgpr_dispatch_id 0
		.amdhsa_user_sgpr_kernarg_preload_length 0
		.amdhsa_user_sgpr_kernarg_preload_offset 0
		.amdhsa_user_sgpr_private_segment_size 0
		.amdhsa_uses_dynamic_stack 0
		.amdhsa_enable_private_segment 0
		.amdhsa_system_sgpr_workgroup_id_x 1
		.amdhsa_system_sgpr_workgroup_id_y 0
		.amdhsa_system_sgpr_workgroup_id_z 0
		.amdhsa_system_sgpr_workgroup_info 0
		.amdhsa_system_vgpr_workitem_id 0
		.amdhsa_next_free_vgpr 28
		.amdhsa_next_free_sgpr 20
		.amdhsa_accum_offset 28
		.amdhsa_reserve_vcc 1
		.amdhsa_float_round_mode_32 0
		.amdhsa_float_round_mode_16_64 0
		.amdhsa_float_denorm_mode_32 3
		.amdhsa_float_denorm_mode_16_64 3
		.amdhsa_dx10_clamp 1
		.amdhsa_ieee_mode 1
		.amdhsa_fp16_overflow 0
		.amdhsa_tg_split 0
		.amdhsa_exception_fp_ieee_invalid_op 0
		.amdhsa_exception_fp_denorm_src 0
		.amdhsa_exception_fp_ieee_div_zero 0
		.amdhsa_exception_fp_ieee_overflow 0
		.amdhsa_exception_fp_ieee_underflow 0
		.amdhsa_exception_fp_ieee_inexact 0
		.amdhsa_exception_int_div_zero 0
	.end_amdhsa_kernel
	.section	.text._ZN9rocsparseL18bsrxmvn_3x3_kernelILj256ELj32EfiifffEEvT3_20rocsparse_direction_NS_24const_host_device_scalarIT1_EES1_PKS1_PKT2_SA_S7_PKT4_PKT5_S5_PT6_21rocsparse_index_base_b,"axG",@progbits,_ZN9rocsparseL18bsrxmvn_3x3_kernelILj256ELj32EfiifffEEvT3_20rocsparse_direction_NS_24const_host_device_scalarIT1_EES1_PKS1_PKT2_SA_S7_PKT4_PKT5_S5_PT6_21rocsparse_index_base_b,comdat
.Lfunc_end3:
	.size	_ZN9rocsparseL18bsrxmvn_3x3_kernelILj256ELj32EfiifffEEvT3_20rocsparse_direction_NS_24const_host_device_scalarIT1_EES1_PKS1_PKT2_SA_S7_PKT4_PKT5_S5_PT6_21rocsparse_index_base_b, .Lfunc_end3-_ZN9rocsparseL18bsrxmvn_3x3_kernelILj256ELj32EfiifffEEvT3_20rocsparse_direction_NS_24const_host_device_scalarIT1_EES1_PKS1_PKT2_SA_S7_PKT4_PKT5_S5_PT6_21rocsparse_index_base_b
                                        ; -- End function
	.section	.AMDGPU.csdata,"",@progbits
; Kernel info:
; codeLenInByte = 1204
; NumSgprs: 26
; NumVgprs: 28
; NumAgprs: 0
; TotalNumVgprs: 28
; ScratchSize: 0
; MemoryBound: 0
; FloatMode: 240
; IeeeMode: 1
; LDSByteSize: 0 bytes/workgroup (compile time only)
; SGPRBlocks: 3
; VGPRBlocks: 3
; NumSGPRsForWavesPerEU: 26
; NumVGPRsForWavesPerEU: 28
; AccumOffset: 28
; Occupancy: 8
; WaveLimiterHint : 1
; COMPUTE_PGM_RSRC2:SCRATCH_EN: 0
; COMPUTE_PGM_RSRC2:USER_SGPR: 2
; COMPUTE_PGM_RSRC2:TRAP_HANDLER: 0
; COMPUTE_PGM_RSRC2:TGID_X_EN: 1
; COMPUTE_PGM_RSRC2:TGID_Y_EN: 0
; COMPUTE_PGM_RSRC2:TGID_Z_EN: 0
; COMPUTE_PGM_RSRC2:TIDIG_COMP_CNT: 0
; COMPUTE_PGM_RSRC3_GFX90A:ACCUM_OFFSET: 6
; COMPUTE_PGM_RSRC3_GFX90A:TG_SPLIT: 0
	.section	.text._ZN9rocsparseL18bsrxmvn_3x3_kernelILj256ELj64EfiifffEEvT3_20rocsparse_direction_NS_24const_host_device_scalarIT1_EES1_PKS1_PKT2_SA_S7_PKT4_PKT5_S5_PT6_21rocsparse_index_base_b,"axG",@progbits,_ZN9rocsparseL18bsrxmvn_3x3_kernelILj256ELj64EfiifffEEvT3_20rocsparse_direction_NS_24const_host_device_scalarIT1_EES1_PKS1_PKT2_SA_S7_PKT4_PKT5_S5_PT6_21rocsparse_index_base_b,comdat
	.globl	_ZN9rocsparseL18bsrxmvn_3x3_kernelILj256ELj64EfiifffEEvT3_20rocsparse_direction_NS_24const_host_device_scalarIT1_EES1_PKS1_PKT2_SA_S7_PKT4_PKT5_S5_PT6_21rocsparse_index_base_b ; -- Begin function _ZN9rocsparseL18bsrxmvn_3x3_kernelILj256ELj64EfiifffEEvT3_20rocsparse_direction_NS_24const_host_device_scalarIT1_EES1_PKS1_PKT2_SA_S7_PKT4_PKT5_S5_PT6_21rocsparse_index_base_b
	.p2align	8
	.type	_ZN9rocsparseL18bsrxmvn_3x3_kernelILj256ELj64EfiifffEEvT3_20rocsparse_direction_NS_24const_host_device_scalarIT1_EES1_PKS1_PKT2_SA_S7_PKT4_PKT5_S5_PT6_21rocsparse_index_base_b,@function
_ZN9rocsparseL18bsrxmvn_3x3_kernelILj256ELj64EfiifffEEvT3_20rocsparse_direction_NS_24const_host_device_scalarIT1_EES1_PKS1_PKT2_SA_S7_PKT4_PKT5_S5_PT6_21rocsparse_index_base_b: ; @_ZN9rocsparseL18bsrxmvn_3x3_kernelILj256ELj64EfiifffEEvT3_20rocsparse_direction_NS_24const_host_device_scalarIT1_EES1_PKS1_PKT2_SA_S7_PKT4_PKT5_S5_PT6_21rocsparse_index_base_b
; %bb.0:
	s_load_dwordx2 s[16:17], s[0:1], 0x58
	s_load_dwordx2 s[12:13], s[0:1], 0x8
	;; [unrolled: 1-line block ×3, first 2 shown]
	s_waitcnt lgkmcnt(0)
	s_bitcmp1_b32 s17, 0
	s_cselect_b64 s[6:7], -1, 0
	s_xor_b64 s[4:5], s[6:7], -1
	s_and_b64 vcc, exec, s[6:7]
	s_cbranch_vccnz .LBB4_2
; %bb.1:
	s_load_dword s12, s[12:13], 0x0
.LBB4_2:
	s_andn2_b64 vcc, exec, s[4:5]
	s_cbranch_vccnz .LBB4_4
; %bb.3:
	s_load_dword s14, s[14:15], 0x0
.LBB4_4:
	s_waitcnt lgkmcnt(0)
	v_cmp_neq_f32_e64 s[4:5], s12, 0
	v_cmp_neq_f32_e64 s[6:7], s14, 1.0
	s_or_b64 s[4:5], s[4:5], s[6:7]
	s_andn2_b64 vcc, exec, s[4:5]
	s_cbranch_vccnz .LBB4_10
; %bb.5:
	s_load_dwordx2 s[4:5], s[0:1], 0x18
	s_load_dwordx2 s[18:19], s[0:1], 0x0
	v_lshrrev_b32_e32 v1, 6, v0
	v_lshl_or_b32 v2, s2, 2, v1
	s_mov_b64 s[2:3], 0
	s_waitcnt lgkmcnt(0)
	s_cmp_lg_u64 s[4:5], 0
	s_cbranch_scc0 .LBB4_11
; %bb.6:
	s_load_dword s6, s[0:1], 0x10
                                        ; implicit-def: $vgpr1
	s_waitcnt lgkmcnt(0)
	v_cmp_gt_i32_e32 vcc, s6, v2
	s_and_saveexec_b64 s[6:7], vcc
	s_xor_b64 s[6:7], exec, s[6:7]
	s_cbranch_execz .LBB4_8
; %bb.7:
	v_ashrrev_i32_e32 v3, 31, v2
	v_lshl_add_u64 v[4:5], v[2:3], 2, s[4:5]
	global_load_dword v1, v[4:5], off
	s_mov_b64 s[2:3], exec
	s_waitcnt vmcnt(0)
	v_subrev_u32_e32 v1, s16, v1
.LBB4_8:
	s_or_b64 exec, exec, s[6:7]
	s_branch .LBB4_12
.LBB4_9:
	v_cmp_gt_i32_e32 vcc, s18, v2
	s_andn2_b64 s[2:3], s[2:3], exec
	s_and_b64 s[4:5], vcc, exec
	s_or_b64 s[2:3], s[2:3], s[4:5]
	s_and_saveexec_b64 s[4:5], s[2:3]
	s_cbranch_execnz .LBB4_13
.LBB4_10:
	s_endpgm
.LBB4_11:
                                        ; implicit-def: $vgpr1
	s_cbranch_execnz .LBB4_9
.LBB4_12:
	v_mov_b32_e32 v2, v1
	s_and_saveexec_b64 s[4:5], s[2:3]
	s_cbranch_execz .LBB4_10
.LBB4_13:
	s_load_dwordx8 s[4:11], s[0:1], 0x20
	v_ashrrev_i32_e32 v3, 31, v2
	v_lshlrev_b64 v[4:5], 2, v[2:3]
	v_and_b32_e32 v3, 63, v0
	s_waitcnt lgkmcnt(0)
	v_lshl_add_u64 v[6:7], s[4:5], 0, v[4:5]
	s_cmp_eq_u64 s[6:7], 0
	global_load_dword v1, v[6:7], off
	v_lshl_add_u64 v[6:7], v[6:7], 0, 4
	v_lshl_add_u64 v[4:5], s[6:7], 0, v[4:5]
	s_cselect_b64 vcc, -1, 0
	v_cndmask_b32_e32 v5, v5, v7, vcc
	v_cndmask_b32_e32 v4, v4, v6, vcc
	global_load_dword v4, v[4:5], off
	s_load_dwordx2 s[4:5], s[0:1], 0x40
	s_cmp_eq_u32 s19, 1
	s_waitcnt vmcnt(1)
	v_subrev_u32_e32 v0, s16, v1
	v_add_u32_e32 v0, v0, v3
	s_waitcnt vmcnt(0)
	v_subrev_u32_e32 v13, s16, v4
	v_mad_i64_i32 v[4:5], s[2:3], v0, 36, s[10:11]
	v_cmp_lt_i32_e64 s[2:3], v0, v13
	s_cbranch_scc1 .LBB4_19
; %bb.14:
	v_mov_b32_e32 v7, 0
	v_mov_b32_e32 v6, v7
	;; [unrolled: 1-line block ×3, first 2 shown]
	s_and_saveexec_b64 s[6:7], s[2:3]
	s_cbranch_execz .LBB4_18
; %bb.15:
	v_mov_b32_e32 v12, 0
	s_mov_b64 s[10:11], 0
	s_mov_b64 s[18:19], 0x900
	v_mov_b64_e32 v[8:9], v[4:5]
	v_mov_b32_e32 v10, v0
	v_mov_b32_e32 v6, 0
	;; [unrolled: 1-line block ×3, first 2 shown]
.LBB4_16:                               ; =>This Inner Loop Header: Depth=1
	v_ashrrev_i32_e32 v11, 31, v10
	v_lshl_add_u64 v[22:23], v[10:11], 2, s[8:9]
	global_load_dword v1, v[22:23], off
	global_load_dwordx4 v[14:17], v[8:9], off offset:16
	global_load_dwordx4 v[18:21], v[8:9], off
	v_add_u32_e32 v10, 64, v10
	v_cmp_ge_i32_e32 vcc, v10, v13
	s_or_b64 s[10:11], vcc, s[10:11]
	s_waitcnt vmcnt(2)
	v_subrev_u32_e32 v1, s16, v1
	v_lshl_add_u32 v22, v1, 1, v1
	v_ashrrev_i32_e32 v23, 31, v22
	s_waitcnt lgkmcnt(0)
	v_lshl_add_u64 v[26:27], v[22:23], 2, s[4:5]
	global_load_dwordx3 v[22:24], v[26:27], off
	global_load_dword v1, v[8:9], off offset:32
	s_waitcnt vmcnt(2)
	v_mov_b32_e32 v26, v18
	v_mov_b32_e32 v27, v21
	;; [unrolled: 1-line block ×5, first 2 shown]
	v_lshl_add_u64 v[8:9], v[8:9], 0, s[18:19]
	s_waitcnt vmcnt(1)
	v_pk_fma_f32 v[6:7], v[26:27], v[22:23], v[6:7] op_sel_hi:[1,0,1]
	v_fmac_f32_e32 v12, v16, v22
	v_mov_b32_e32 v14, v24
	v_pk_fma_f32 v[6:7], v[18:19], v[22:23], v[6:7] op_sel:[0,1,0]
	v_fmac_f32_e32 v12, v17, v23
	v_pk_fma_f32 v[6:7], v[20:21], v[14:15], v[6:7] op_sel_hi:[1,0,1]
	s_waitcnt vmcnt(0)
	v_fmac_f32_e32 v12, v1, v24
	s_andn2_b64 exec, exec, s[10:11]
	s_cbranch_execnz .LBB4_16
; %bb.17:
	s_or_b64 exec, exec, s[10:11]
.LBB4_18:
	s_or_b64 exec, exec, s[6:7]
	s_cbranch_execz .LBB4_20
	s_branch .LBB4_25
.LBB4_19:
                                        ; implicit-def: $vgpr7
                                        ; implicit-def: $vgpr12
.LBB4_20:
	v_mov_b32_e32 v7, 0
	v_mov_b32_e32 v6, v7
	v_mov_b32_e32 v12, v7
	s_and_saveexec_b64 s[6:7], s[2:3]
	s_cbranch_execz .LBB4_24
; %bb.21:
	v_mov_b32_e32 v12, 0
	s_mov_b64 s[2:3], 0
	s_mov_b64 s[10:11], 0x900
	v_mov_b32_e32 v6, 0
	v_mov_b32_e32 v7, v12
.LBB4_22:                               ; =>This Inner Loop Header: Depth=1
	v_ashrrev_i32_e32 v1, 31, v0
	v_lshl_add_u64 v[18:19], v[0:1], 2, s[8:9]
	global_load_dword v1, v[18:19], off
	global_load_dwordx4 v[8:11], v[4:5], off offset:16
	global_load_dwordx4 v[14:17], v[4:5], off
	v_add_u32_e32 v0, 64, v0
	v_cmp_ge_i32_e32 vcc, v0, v13
	s_or_b64 s[2:3], vcc, s[2:3]
	s_waitcnt vmcnt(2)
	v_subrev_u32_e32 v1, s16, v1
	v_lshl_add_u32 v18, v1, 1, v1
	v_ashrrev_i32_e32 v19, 31, v18
	s_waitcnt lgkmcnt(0)
	v_lshl_add_u64 v[22:23], v[18:19], 2, s[4:5]
	global_load_dwordx3 v[18:20], v[22:23], off
	global_load_dword v1, v[4:5], off offset:32
	s_waitcnt vmcnt(2)
	v_mov_b32_e32 v22, v17
	v_mov_b32_e32 v23, v8
	v_lshl_add_u64 v[4:5], v[4:5], 0, s[10:11]
	s_waitcnt vmcnt(1)
	v_pk_fma_f32 v[6:7], v[14:15], v[18:19], v[6:7] op_sel_hi:[1,0,1]
	v_fmac_f32_e32 v12, v16, v18
	v_mov_b32_e32 v8, v20
	v_fmac_f32_e32 v12, v9, v19
	v_pk_fma_f32 v[6:7], v[22:23], v[18:19], v[6:7] op_sel:[0,1,0]
	s_waitcnt vmcnt(0)
	v_fmac_f32_e32 v12, v1, v20
	v_pk_fma_f32 v[6:7], v[10:11], v[8:9], v[6:7] op_sel_hi:[1,0,1]
	s_andn2_b64 exec, exec, s[2:3]
	s_cbranch_execnz .LBB4_22
; %bb.23:
	s_or_b64 exec, exec, s[2:3]
.LBB4_24:
	s_or_b64 exec, exec, s[6:7]
.LBB4_25:
	v_mov_b32_dpp v0, v6 row_shr:1 row_mask:0xf bank_mask:0xf
	v_mov_b32_dpp v1, v7 row_shr:1 row_mask:0xf bank_mask:0xf
	v_pk_add_f32 v[0:1], v[6:7], v[0:1]
	v_mov_b32_dpp v6, v12 row_shr:1 row_mask:0xf bank_mask:0xf
	v_add_f32_e32 v6, v12, v6
	v_mov_b32_dpp v4, v0 row_shr:2 row_mask:0xf bank_mask:0xf
	v_mov_b32_dpp v5, v1 row_shr:2 row_mask:0xf bank_mask:0xf
	;; [unrolled: 1-line block ×3, first 2 shown]
	v_pk_add_f32 v[0:1], v[0:1], v[4:5]
	v_add_f32_e32 v6, v6, v7
	v_cmp_eq_u32_e32 vcc, 63, v3
	v_mov_b32_dpp v4, v0 row_shr:4 row_mask:0xf bank_mask:0xe
	v_mov_b32_dpp v5, v1 row_shr:4 row_mask:0xf bank_mask:0xe
	;; [unrolled: 1-line block ×3, first 2 shown]
	v_pk_add_f32 v[0:1], v[0:1], v[4:5]
	v_add_f32_e32 v6, v6, v7
	s_nop 0
	v_mov_b32_dpp v4, v0 row_shr:8 row_mask:0xf bank_mask:0xc
	v_mov_b32_dpp v5, v1 row_shr:8 row_mask:0xf bank_mask:0xc
	v_mov_b32_dpp v7, v6 row_shr:8 row_mask:0xf bank_mask:0xc
	v_pk_add_f32 v[0:1], v[0:1], v[4:5]
	v_add_f32_e32 v6, v6, v7
	s_nop 0
	v_mov_b32_dpp v4, v0 row_bcast:15 row_mask:0xa bank_mask:0xf
	v_mov_b32_dpp v5, v1 row_bcast:15 row_mask:0xa bank_mask:0xf
	v_mov_b32_dpp v7, v6 row_bcast:15 row_mask:0xa bank_mask:0xf
	v_pk_add_f32 v[0:1], v[0:1], v[4:5]
	v_add_f32_e32 v6, v6, v7
	s_nop 0
	v_mov_b32_dpp v4, v0 row_bcast:31 row_mask:0xc bank_mask:0xf
	v_mov_b32_dpp v5, v1 row_bcast:31 row_mask:0xc bank_mask:0xf
	;; [unrolled: 1-line block ×3, first 2 shown]
	s_and_b64 exec, exec, vcc
	s_cbranch_execz .LBB4_10
; %bb.26:
	s_load_dwordx2 s[0:1], s[0:1], 0x50
	v_pk_add_f32 v[4:5], v[0:1], v[4:5]
	v_add_f32_e32 v0, v6, v7
	v_cmp_eq_f32_e64 s[2:3], s14, 0
	v_lshl_add_u32 v6, v2, 1, v2
	s_and_b64 vcc, exec, s[2:3]
	v_mul_f32_e32 v2, s12, v0
	v_ashrrev_i32_e32 v7, 31, v6
	s_cbranch_vccz .LBB4_28
; %bb.27:
	s_waitcnt lgkmcnt(0)
	v_lshl_add_u64 v[8:9], v[6:7], 2, s[0:1]
	v_pk_mul_f32 v[0:1], s[12:13], v[4:5] op_sel_hi:[0,1]
	global_store_dwordx3 v[8:9], v[0:2], off
	s_cbranch_execnz .LBB4_10
	s_branch .LBB4_29
.LBB4_28:
.LBB4_29:
	s_waitcnt lgkmcnt(0)
	v_lshl_add_u64 v[10:11], v[6:7], 2, s[0:1]
	global_load_dwordx3 v[6:8], v[10:11], off
	v_pk_mul_f32 v[0:1], s[12:13], v[4:5] op_sel_hi:[0,1]
	s_waitcnt vmcnt(0)
	v_pk_fma_f32 v[0:1], s[14:15], v[6:7], v[0:1] op_sel_hi:[0,1,1]
	v_fmac_f32_e32 v2, s14, v8
	global_store_dwordx3 v[10:11], v[0:2], off
	s_endpgm
	.section	.rodata,"a",@progbits
	.p2align	6, 0x0
	.amdhsa_kernel _ZN9rocsparseL18bsrxmvn_3x3_kernelILj256ELj64EfiifffEEvT3_20rocsparse_direction_NS_24const_host_device_scalarIT1_EES1_PKS1_PKT2_SA_S7_PKT4_PKT5_S5_PT6_21rocsparse_index_base_b
		.amdhsa_group_segment_fixed_size 0
		.amdhsa_private_segment_fixed_size 0
		.amdhsa_kernarg_size 96
		.amdhsa_user_sgpr_count 2
		.amdhsa_user_sgpr_dispatch_ptr 0
		.amdhsa_user_sgpr_queue_ptr 0
		.amdhsa_user_sgpr_kernarg_segment_ptr 1
		.amdhsa_user_sgpr_dispatch_id 0
		.amdhsa_user_sgpr_kernarg_preload_length 0
		.amdhsa_user_sgpr_kernarg_preload_offset 0
		.amdhsa_user_sgpr_private_segment_size 0
		.amdhsa_uses_dynamic_stack 0
		.amdhsa_enable_private_segment 0
		.amdhsa_system_sgpr_workgroup_id_x 1
		.amdhsa_system_sgpr_workgroup_id_y 0
		.amdhsa_system_sgpr_workgroup_id_z 0
		.amdhsa_system_sgpr_workgroup_info 0
		.amdhsa_system_vgpr_workitem_id 0
		.amdhsa_next_free_vgpr 28
		.amdhsa_next_free_sgpr 20
		.amdhsa_accum_offset 28
		.amdhsa_reserve_vcc 1
		.amdhsa_float_round_mode_32 0
		.amdhsa_float_round_mode_16_64 0
		.amdhsa_float_denorm_mode_32 3
		.amdhsa_float_denorm_mode_16_64 3
		.amdhsa_dx10_clamp 1
		.amdhsa_ieee_mode 1
		.amdhsa_fp16_overflow 0
		.amdhsa_tg_split 0
		.amdhsa_exception_fp_ieee_invalid_op 0
		.amdhsa_exception_fp_denorm_src 0
		.amdhsa_exception_fp_ieee_div_zero 0
		.amdhsa_exception_fp_ieee_overflow 0
		.amdhsa_exception_fp_ieee_underflow 0
		.amdhsa_exception_fp_ieee_inexact 0
		.amdhsa_exception_int_div_zero 0
	.end_amdhsa_kernel
	.section	.text._ZN9rocsparseL18bsrxmvn_3x3_kernelILj256ELj64EfiifffEEvT3_20rocsparse_direction_NS_24const_host_device_scalarIT1_EES1_PKS1_PKT2_SA_S7_PKT4_PKT5_S5_PT6_21rocsparse_index_base_b,"axG",@progbits,_ZN9rocsparseL18bsrxmvn_3x3_kernelILj256ELj64EfiifffEEvT3_20rocsparse_direction_NS_24const_host_device_scalarIT1_EES1_PKS1_PKT2_SA_S7_PKT4_PKT5_S5_PT6_21rocsparse_index_base_b,comdat
.Lfunc_end4:
	.size	_ZN9rocsparseL18bsrxmvn_3x3_kernelILj256ELj64EfiifffEEvT3_20rocsparse_direction_NS_24const_host_device_scalarIT1_EES1_PKS1_PKT2_SA_S7_PKT4_PKT5_S5_PT6_21rocsparse_index_base_b, .Lfunc_end4-_ZN9rocsparseL18bsrxmvn_3x3_kernelILj256ELj64EfiifffEEvT3_20rocsparse_direction_NS_24const_host_device_scalarIT1_EES1_PKS1_PKT2_SA_S7_PKT4_PKT5_S5_PT6_21rocsparse_index_base_b
                                        ; -- End function
	.section	.AMDGPU.csdata,"",@progbits
; Kernel info:
; codeLenInByte = 1244
; NumSgprs: 26
; NumVgprs: 28
; NumAgprs: 0
; TotalNumVgprs: 28
; ScratchSize: 0
; MemoryBound: 0
; FloatMode: 240
; IeeeMode: 1
; LDSByteSize: 0 bytes/workgroup (compile time only)
; SGPRBlocks: 3
; VGPRBlocks: 3
; NumSGPRsForWavesPerEU: 26
; NumVGPRsForWavesPerEU: 28
; AccumOffset: 28
; Occupancy: 8
; WaveLimiterHint : 1
; COMPUTE_PGM_RSRC2:SCRATCH_EN: 0
; COMPUTE_PGM_RSRC2:USER_SGPR: 2
; COMPUTE_PGM_RSRC2:TRAP_HANDLER: 0
; COMPUTE_PGM_RSRC2:TGID_X_EN: 1
; COMPUTE_PGM_RSRC2:TGID_Y_EN: 0
; COMPUTE_PGM_RSRC2:TGID_Z_EN: 0
; COMPUTE_PGM_RSRC2:TIDIG_COMP_CNT: 0
; COMPUTE_PGM_RSRC3_GFX90A:ACCUM_OFFSET: 6
; COMPUTE_PGM_RSRC3_GFX90A:TG_SPLIT: 0
	.section	.text._ZN9rocsparseL18bsrxmvn_3x3_kernelILj256ELj4EdiidddEEvT3_20rocsparse_direction_NS_24const_host_device_scalarIT1_EES1_PKS1_PKT2_SA_S7_PKT4_PKT5_S5_PT6_21rocsparse_index_base_b,"axG",@progbits,_ZN9rocsparseL18bsrxmvn_3x3_kernelILj256ELj4EdiidddEEvT3_20rocsparse_direction_NS_24const_host_device_scalarIT1_EES1_PKS1_PKT2_SA_S7_PKT4_PKT5_S5_PT6_21rocsparse_index_base_b,comdat
	.globl	_ZN9rocsparseL18bsrxmvn_3x3_kernelILj256ELj4EdiidddEEvT3_20rocsparse_direction_NS_24const_host_device_scalarIT1_EES1_PKS1_PKT2_SA_S7_PKT4_PKT5_S5_PT6_21rocsparse_index_base_b ; -- Begin function _ZN9rocsparseL18bsrxmvn_3x3_kernelILj256ELj4EdiidddEEvT3_20rocsparse_direction_NS_24const_host_device_scalarIT1_EES1_PKS1_PKT2_SA_S7_PKT4_PKT5_S5_PT6_21rocsparse_index_base_b
	.p2align	8
	.type	_ZN9rocsparseL18bsrxmvn_3x3_kernelILj256ELj4EdiidddEEvT3_20rocsparse_direction_NS_24const_host_device_scalarIT1_EES1_PKS1_PKT2_SA_S7_PKT4_PKT5_S5_PT6_21rocsparse_index_base_b,@function
_ZN9rocsparseL18bsrxmvn_3x3_kernelILj256ELj4EdiidddEEvT3_20rocsparse_direction_NS_24const_host_device_scalarIT1_EES1_PKS1_PKT2_SA_S7_PKT4_PKT5_S5_PT6_21rocsparse_index_base_b: ; @_ZN9rocsparseL18bsrxmvn_3x3_kernelILj256ELj4EdiidddEEvT3_20rocsparse_direction_NS_24const_host_device_scalarIT1_EES1_PKS1_PKT2_SA_S7_PKT4_PKT5_S5_PT6_21rocsparse_index_base_b
; %bb.0:
	s_load_dwordx2 s[12:13], s[0:1], 0x58
	s_load_dwordx2 s[8:9], s[0:1], 0x8
	s_load_dwordx2 s[4:5], s[0:1], 0x48
	s_waitcnt lgkmcnt(0)
	s_bitcmp1_b32 s13, 0
	s_cselect_b64 s[10:11], -1, 0
	s_xor_b64 s[6:7], s[10:11], -1
	s_and_b64 vcc, exec, s[10:11]
	v_mov_b64_e32 v[6:7], s[8:9]
	s_cbranch_vccnz .LBB5_2
; %bb.1:
	v_mov_b64_e32 v[2:3], s[8:9]
	flat_load_dwordx2 v[6:7], v[2:3]
.LBB5_2:
	s_andn2_b64 vcc, exec, s[6:7]
	v_mov_b64_e32 v[4:5], s[4:5]
	s_cbranch_vccnz .LBB5_4
; %bb.3:
	v_mov_b64_e32 v[2:3], s[4:5]
	flat_load_dwordx2 v[4:5], v[2:3]
.LBB5_4:
	s_waitcnt vmcnt(0) lgkmcnt(0)
	v_cmp_neq_f64_e32 vcc, 0, v[6:7]
	v_cmp_neq_f64_e64 s[4:5], 1.0, v[4:5]
	s_mov_b64 s[6:7], 0
	s_or_b64 s[4:5], vcc, s[4:5]
	s_and_saveexec_b64 s[8:9], s[4:5]
	s_cbranch_execz .LBB5_10
; %bb.5:
	s_load_dwordx2 s[4:5], s[0:1], 0x18
	s_load_dwordx2 s[14:15], s[0:1], 0x0
	v_lshrrev_b32_e32 v1, 2, v0
	v_lshl_or_b32 v2, s2, 6, v1
	s_mov_b64 s[2:3], 0
	s_waitcnt lgkmcnt(0)
	s_cmp_lg_u64 s[4:5], 0
	s_cbranch_scc0 .LBB5_11
; %bb.6:
	s_load_dword s6, s[0:1], 0x10
                                        ; implicit-def: $vgpr1
	s_waitcnt lgkmcnt(0)
	v_cmp_gt_i32_e32 vcc, s6, v2
	s_and_saveexec_b64 s[6:7], vcc
	s_xor_b64 s[6:7], exec, s[6:7]
	s_cbranch_execz .LBB5_8
; %bb.7:
	v_ashrrev_i32_e32 v3, 31, v2
	v_lshl_add_u64 v[8:9], v[2:3], 2, s[4:5]
	global_load_dword v1, v[8:9], off
	s_mov_b64 s[2:3], exec
	s_waitcnt vmcnt(0)
	v_subrev_u32_e32 v1, s12, v1
.LBB5_8:
	s_or_b64 exec, exec, s[6:7]
	s_mov_b64 s[6:7], s[2:3]
	s_branch .LBB5_12
.LBB5_9:
	v_cmp_gt_i32_e32 vcc, s14, v2
	s_andn2_b64 s[2:3], s[6:7], exec
	s_and_b64 s[4:5], vcc, exec
	s_or_b64 s[6:7], s[2:3], s[4:5]
	s_and_b64 exec, exec, s[6:7]
	s_cbranch_execnz .LBB5_13
.LBB5_10:
	s_endpgm
.LBB5_11:
                                        ; implicit-def: $vgpr1
	s_cbranch_execnz .LBB5_9
.LBB5_12:
	v_mov_b32_e32 v2, v1
	s_and_b64 exec, exec, s[6:7]
	s_cbranch_execz .LBB5_10
.LBB5_13:
	s_load_dwordx8 s[4:11], s[0:1], 0x20
	v_ashrrev_i32_e32 v3, 31, v2
	v_lshlrev_b64 v[8:9], 2, v[2:3]
	v_and_b32_e32 v3, 3, v0
	s_movk_i32 s2, 0x48
	s_waitcnt lgkmcnt(0)
	v_lshl_add_u64 v[10:11], s[4:5], 0, v[8:9]
	s_cmp_eq_u64 s[6:7], 0
	global_load_dword v12, v[10:11], off
	v_lshl_add_u64 v[10:11], v[10:11], 0, 4
	v_lshl_add_u64 v[8:9], s[6:7], 0, v[8:9]
	s_cselect_b64 vcc, -1, 0
	v_cndmask_b32_e32 v9, v9, v11, vcc
	v_cndmask_b32_e32 v8, v8, v10, vcc
	global_load_dword v9, v[8:9], off
	s_load_dwordx2 s[4:5], s[0:1], 0x40
	v_mov_b64_e32 v[0:1], s[10:11]
	s_cmp_eq_u32 s15, 1
	s_waitcnt vmcnt(1)
	v_subrev_u32_e32 v8, s12, v12
	v_add_u32_e32 v8, v8, v3
	v_mad_i64_i32 v[10:11], s[2:3], v8, s2, v[0:1]
	s_waitcnt vmcnt(0)
	v_subrev_u32_e32 v20, s12, v9
	v_cmp_lt_i32_e64 s[2:3], v8, v20
	s_cbranch_scc1 .LBB5_19
; %bb.14:
	v_mov_b64_e32 v[0:1], 0
	s_mov_b64 s[6:7], 0
	v_mov_b64_e32 v[12:13], v[0:1]
	v_mov_b64_e32 v[14:15], v[0:1]
	s_and_saveexec_b64 s[10:11], s[2:3]
	s_cbranch_execz .LBB5_18
; %bb.15:
	v_mov_b64_e32 v[0:1], 0
	s_mov_b64 s[14:15], 0
	s_mov_b64 s[16:17], 0x120
	v_mov_b64_e32 v[16:17], v[10:11]
	v_mov_b32_e32 v18, v8
	v_mov_b64_e32 v[12:13], v[0:1]
	v_mov_b64_e32 v[14:15], v[0:1]
.LBB5_16:                               ; =>This Inner Loop Header: Depth=1
	v_ashrrev_i32_e32 v19, 31, v18
	v_lshl_add_u64 v[34:35], v[18:19], 2, s[8:9]
	global_load_dword v9, v[34:35], off
	global_load_dwordx4 v[22:25], v[16:17], off offset:48
	global_load_dwordx4 v[26:29], v[16:17], off offset:16
	global_load_dwordx4 v[30:33], v[16:17], off
	v_add_u32_e32 v18, 4, v18
	v_cmp_ge_i32_e32 vcc, v18, v20
	s_or_b64 s[14:15], vcc, s[14:15]
	s_waitcnt vmcnt(3)
	v_subrev_u32_e32 v9, s12, v9
	v_lshl_add_u32 v34, v9, 1, v9
	v_ashrrev_i32_e32 v35, 31, v34
	s_waitcnt lgkmcnt(0)
	v_lshl_add_u64 v[42:43], v[34:35], 3, s[4:5]
	global_load_dwordx4 v[34:37], v[42:43], off
	global_load_dwordx2 v[44:45], v[42:43], off offset:16
	global_load_dwordx4 v[38:41], v[16:17], off offset:32
	global_load_dwordx2 v[46:47], v[16:17], off offset:64
	v_lshl_add_u64 v[16:17], v[16:17], 0, s[16:17]
	s_waitcnt vmcnt(3)
	v_fmac_f64_e32 v[14:15], v[30:31], v[34:35]
	v_fmac_f64_e32 v[12:13], v[28:29], v[34:35]
	;; [unrolled: 1-line block ×4, first 2 shown]
	s_waitcnt vmcnt(1)
	v_fmac_f64_e32 v[12:13], v[38:39], v[36:37]
	v_fmac_f64_e32 v[0:1], v[24:25], v[36:37]
	;; [unrolled: 1-line block ×4, first 2 shown]
	s_waitcnt vmcnt(0)
	v_fmac_f64_e32 v[0:1], v[46:47], v[44:45]
	s_andn2_b64 exec, exec, s[14:15]
	s_cbranch_execnz .LBB5_16
; %bb.17:
	s_or_b64 exec, exec, s[14:15]
.LBB5_18:
	s_or_b64 exec, exec, s[10:11]
	s_andn2_b64 vcc, exec, s[6:7]
	s_cbranch_vccz .LBB5_20
	s_branch .LBB5_25
.LBB5_19:
                                        ; implicit-def: $vgpr0_vgpr1
                                        ; implicit-def: $vgpr12_vgpr13
                                        ; implicit-def: $vgpr14_vgpr15
.LBB5_20:
	v_mov_b64_e32 v[0:1], 0
	v_mov_b64_e32 v[12:13], v[0:1]
	;; [unrolled: 1-line block ×3, first 2 shown]
	s_and_saveexec_b64 s[6:7], s[2:3]
	s_cbranch_execz .LBB5_24
; %bb.21:
	v_mov_b64_e32 v[0:1], 0
	s_mov_b64 s[2:3], 0
	s_mov_b64 s[10:11], 0x120
	v_mov_b64_e32 v[12:13], v[0:1]
	v_mov_b64_e32 v[14:15], v[0:1]
.LBB5_22:                               ; =>This Inner Loop Header: Depth=1
	v_ashrrev_i32_e32 v9, 31, v8
	v_lshl_add_u64 v[30:31], v[8:9], 2, s[8:9]
	global_load_dword v9, v[30:31], off
	global_load_dwordx4 v[16:19], v[10:11], off offset:32
	global_load_dwordx4 v[22:25], v[10:11], off offset:16
	global_load_dwordx4 v[26:29], v[10:11], off
	v_add_u32_e32 v8, 4, v8
	v_cmp_ge_i32_e32 vcc, v8, v20
	s_or_b64 s[2:3], vcc, s[2:3]
	s_waitcnt vmcnt(3)
	v_subrev_u32_e32 v9, s12, v9
	v_lshl_add_u32 v30, v9, 1, v9
	v_ashrrev_i32_e32 v31, 31, v30
	s_waitcnt lgkmcnt(0)
	v_lshl_add_u64 v[38:39], v[30:31], 3, s[4:5]
	global_load_dwordx4 v[30:33], v[38:39], off
	global_load_dwordx2 v[40:41], v[38:39], off offset:16
	global_load_dwordx4 v[34:37], v[10:11], off offset:48
	global_load_dwordx2 v[42:43], v[10:11], off offset:64
	v_lshl_add_u64 v[10:11], v[10:11], 0, s[10:11]
	s_waitcnt vmcnt(3)
	v_fmac_f64_e32 v[14:15], v[26:27], v[30:31]
	v_fmac_f64_e32 v[12:13], v[28:29], v[30:31]
	;; [unrolled: 1-line block ×6, first 2 shown]
	s_waitcnt vmcnt(1)
	v_fmac_f64_e32 v[14:15], v[34:35], v[40:41]
	v_fmac_f64_e32 v[12:13], v[36:37], v[40:41]
	s_waitcnt vmcnt(0)
	v_fmac_f64_e32 v[0:1], v[42:43], v[40:41]
	s_andn2_b64 exec, exec, s[2:3]
	s_cbranch_execnz .LBB5_22
; %bb.23:
	s_or_b64 exec, exec, s[2:3]
.LBB5_24:
	s_or_b64 exec, exec, s[6:7]
.LBB5_25:
	v_mov_b32_dpp v8, v14 row_shr:1 row_mask:0xf bank_mask:0xf
	v_mov_b32_dpp v9, v15 row_shr:1 row_mask:0xf bank_mask:0xf
	v_add_f64 v[8:9], v[14:15], v[8:9]
	v_mov_b32_dpp v14, v12 row_shr:1 row_mask:0xf bank_mask:0xf
	v_mov_b32_dpp v15, v13 row_shr:1 row_mask:0xf bank_mask:0xf
	;; [unrolled: 1-line block ×4, first 2 shown]
	v_add_f64 v[12:13], v[12:13], v[14:15]
	v_add_f64 v[0:1], v[0:1], v[16:17]
	v_mov_b32_dpp v10, v8 row_shr:2 row_mask:0xf bank_mask:0xf
	v_mov_b32_dpp v11, v9 row_shr:2 row_mask:0xf bank_mask:0xf
	;; [unrolled: 1-line block ×6, first 2 shown]
	v_cmp_eq_u32_e32 vcc, 3, v3
	s_and_b64 exec, exec, vcc
	s_cbranch_execz .LBB5_10
; %bb.26:
	s_load_dwordx2 s[0:1], s[0:1], 0x50
	v_add_f64 v[8:9], v[8:9], v[10:11]
	v_add_f64 v[10:11], v[12:13], v[14:15]
	;; [unrolled: 1-line block ×3, first 2 shown]
	v_mul_f64 v[0:1], v[6:7], v[8:9]
	v_lshl_add_u32 v8, v2, 1, v2
	v_cmp_eq_f64_e32 vcc, 0, v[4:5]
	v_mul_f64 v[2:3], v[6:7], v[10:11]
	v_mul_f64 v[6:7], v[6:7], v[12:13]
	v_ashrrev_i32_e32 v9, 31, v8
	s_and_saveexec_b64 s[2:3], vcc
	s_xor_b64 s[2:3], exec, s[2:3]
	s_cbranch_execz .LBB5_28
; %bb.27:
	s_waitcnt lgkmcnt(0)
	v_lshl_add_u64 v[4:5], v[8:9], 3, s[0:1]
	global_store_dwordx4 v[4:5], v[0:3], off
	global_store_dwordx2 v[4:5], v[6:7], off offset:16
                                        ; implicit-def: $vgpr8
                                        ; implicit-def: $vgpr4_vgpr5
                                        ; implicit-def: $vgpr0_vgpr1
                                        ; implicit-def: $vgpr6_vgpr7
.LBB5_28:
	s_andn2_saveexec_b64 s[2:3], s[2:3]
	s_cbranch_execz .LBB5_10
; %bb.29:
	s_waitcnt lgkmcnt(0)
	v_lshl_add_u64 v[12:13], v[8:9], 3, s[0:1]
	global_load_dwordx4 v[8:11], v[12:13], off
	global_load_dwordx2 v[14:15], v[12:13], off offset:16
	s_waitcnt vmcnt(1)
	v_fmac_f64_e32 v[0:1], v[4:5], v[8:9]
	v_fmac_f64_e32 v[2:3], v[4:5], v[10:11]
	s_waitcnt vmcnt(0)
	v_fmac_f64_e32 v[6:7], v[4:5], v[14:15]
	global_store_dwordx4 v[12:13], v[0:3], off
	global_store_dwordx2 v[12:13], v[6:7], off offset:16
	s_endpgm
	.section	.rodata,"a",@progbits
	.p2align	6, 0x0
	.amdhsa_kernel _ZN9rocsparseL18bsrxmvn_3x3_kernelILj256ELj4EdiidddEEvT3_20rocsparse_direction_NS_24const_host_device_scalarIT1_EES1_PKS1_PKT2_SA_S7_PKT4_PKT5_S5_PT6_21rocsparse_index_base_b
		.amdhsa_group_segment_fixed_size 0
		.amdhsa_private_segment_fixed_size 0
		.amdhsa_kernarg_size 96
		.amdhsa_user_sgpr_count 2
		.amdhsa_user_sgpr_dispatch_ptr 0
		.amdhsa_user_sgpr_queue_ptr 0
		.amdhsa_user_sgpr_kernarg_segment_ptr 1
		.amdhsa_user_sgpr_dispatch_id 0
		.amdhsa_user_sgpr_kernarg_preload_length 0
		.amdhsa_user_sgpr_kernarg_preload_offset 0
		.amdhsa_user_sgpr_private_segment_size 0
		.amdhsa_uses_dynamic_stack 0
		.amdhsa_enable_private_segment 0
		.amdhsa_system_sgpr_workgroup_id_x 1
		.amdhsa_system_sgpr_workgroup_id_y 0
		.amdhsa_system_sgpr_workgroup_id_z 0
		.amdhsa_system_sgpr_workgroup_info 0
		.amdhsa_system_vgpr_workitem_id 0
		.amdhsa_next_free_vgpr 48
		.amdhsa_next_free_sgpr 18
		.amdhsa_accum_offset 48
		.amdhsa_reserve_vcc 1
		.amdhsa_float_round_mode_32 0
		.amdhsa_float_round_mode_16_64 0
		.amdhsa_float_denorm_mode_32 3
		.amdhsa_float_denorm_mode_16_64 3
		.amdhsa_dx10_clamp 1
		.amdhsa_ieee_mode 1
		.amdhsa_fp16_overflow 0
		.amdhsa_tg_split 0
		.amdhsa_exception_fp_ieee_invalid_op 0
		.amdhsa_exception_fp_denorm_src 0
		.amdhsa_exception_fp_ieee_div_zero 0
		.amdhsa_exception_fp_ieee_overflow 0
		.amdhsa_exception_fp_ieee_underflow 0
		.amdhsa_exception_fp_ieee_inexact 0
		.amdhsa_exception_int_div_zero 0
	.end_amdhsa_kernel
	.section	.text._ZN9rocsparseL18bsrxmvn_3x3_kernelILj256ELj4EdiidddEEvT3_20rocsparse_direction_NS_24const_host_device_scalarIT1_EES1_PKS1_PKT2_SA_S7_PKT4_PKT5_S5_PT6_21rocsparse_index_base_b,"axG",@progbits,_ZN9rocsparseL18bsrxmvn_3x3_kernelILj256ELj4EdiidddEEvT3_20rocsparse_direction_NS_24const_host_device_scalarIT1_EES1_PKS1_PKT2_SA_S7_PKT4_PKT5_S5_PT6_21rocsparse_index_base_b,comdat
.Lfunc_end5:
	.size	_ZN9rocsparseL18bsrxmvn_3x3_kernelILj256ELj4EdiidddEEvT3_20rocsparse_direction_NS_24const_host_device_scalarIT1_EES1_PKS1_PKT2_SA_S7_PKT4_PKT5_S5_PT6_21rocsparse_index_base_b, .Lfunc_end5-_ZN9rocsparseL18bsrxmvn_3x3_kernelILj256ELj4EdiidddEEvT3_20rocsparse_direction_NS_24const_host_device_scalarIT1_EES1_PKS1_PKT2_SA_S7_PKT4_PKT5_S5_PT6_21rocsparse_index_base_b
                                        ; -- End function
	.section	.AMDGPU.csdata,"",@progbits
; Kernel info:
; codeLenInByte = 1240
; NumSgprs: 24
; NumVgprs: 48
; NumAgprs: 0
; TotalNumVgprs: 48
; ScratchSize: 0
; MemoryBound: 1
; FloatMode: 240
; IeeeMode: 1
; LDSByteSize: 0 bytes/workgroup (compile time only)
; SGPRBlocks: 2
; VGPRBlocks: 5
; NumSGPRsForWavesPerEU: 24
; NumVGPRsForWavesPerEU: 48
; AccumOffset: 48
; Occupancy: 8
; WaveLimiterHint : 1
; COMPUTE_PGM_RSRC2:SCRATCH_EN: 0
; COMPUTE_PGM_RSRC2:USER_SGPR: 2
; COMPUTE_PGM_RSRC2:TRAP_HANDLER: 0
; COMPUTE_PGM_RSRC2:TGID_X_EN: 1
; COMPUTE_PGM_RSRC2:TGID_Y_EN: 0
; COMPUTE_PGM_RSRC2:TGID_Z_EN: 0
; COMPUTE_PGM_RSRC2:TIDIG_COMP_CNT: 0
; COMPUTE_PGM_RSRC3_GFX90A:ACCUM_OFFSET: 11
; COMPUTE_PGM_RSRC3_GFX90A:TG_SPLIT: 0
	.section	.text._ZN9rocsparseL18bsrxmvn_3x3_kernelILj256ELj8EdiidddEEvT3_20rocsparse_direction_NS_24const_host_device_scalarIT1_EES1_PKS1_PKT2_SA_S7_PKT4_PKT5_S5_PT6_21rocsparse_index_base_b,"axG",@progbits,_ZN9rocsparseL18bsrxmvn_3x3_kernelILj256ELj8EdiidddEEvT3_20rocsparse_direction_NS_24const_host_device_scalarIT1_EES1_PKS1_PKT2_SA_S7_PKT4_PKT5_S5_PT6_21rocsparse_index_base_b,comdat
	.globl	_ZN9rocsparseL18bsrxmvn_3x3_kernelILj256ELj8EdiidddEEvT3_20rocsparse_direction_NS_24const_host_device_scalarIT1_EES1_PKS1_PKT2_SA_S7_PKT4_PKT5_S5_PT6_21rocsparse_index_base_b ; -- Begin function _ZN9rocsparseL18bsrxmvn_3x3_kernelILj256ELj8EdiidddEEvT3_20rocsparse_direction_NS_24const_host_device_scalarIT1_EES1_PKS1_PKT2_SA_S7_PKT4_PKT5_S5_PT6_21rocsparse_index_base_b
	.p2align	8
	.type	_ZN9rocsparseL18bsrxmvn_3x3_kernelILj256ELj8EdiidddEEvT3_20rocsparse_direction_NS_24const_host_device_scalarIT1_EES1_PKS1_PKT2_SA_S7_PKT4_PKT5_S5_PT6_21rocsparse_index_base_b,@function
_ZN9rocsparseL18bsrxmvn_3x3_kernelILj256ELj8EdiidddEEvT3_20rocsparse_direction_NS_24const_host_device_scalarIT1_EES1_PKS1_PKT2_SA_S7_PKT4_PKT5_S5_PT6_21rocsparse_index_base_b: ; @_ZN9rocsparseL18bsrxmvn_3x3_kernelILj256ELj8EdiidddEEvT3_20rocsparse_direction_NS_24const_host_device_scalarIT1_EES1_PKS1_PKT2_SA_S7_PKT4_PKT5_S5_PT6_21rocsparse_index_base_b
; %bb.0:
	s_load_dwordx2 s[12:13], s[0:1], 0x58
	s_load_dwordx2 s[8:9], s[0:1], 0x8
	;; [unrolled: 1-line block ×3, first 2 shown]
	s_waitcnt lgkmcnt(0)
	s_bitcmp1_b32 s13, 0
	s_cselect_b64 s[10:11], -1, 0
	s_xor_b64 s[6:7], s[10:11], -1
	s_and_b64 vcc, exec, s[10:11]
	v_mov_b64_e32 v[6:7], s[8:9]
	s_cbranch_vccnz .LBB6_2
; %bb.1:
	v_mov_b64_e32 v[2:3], s[8:9]
	flat_load_dwordx2 v[6:7], v[2:3]
.LBB6_2:
	s_andn2_b64 vcc, exec, s[6:7]
	v_mov_b64_e32 v[4:5], s[4:5]
	s_cbranch_vccnz .LBB6_4
; %bb.3:
	v_mov_b64_e32 v[2:3], s[4:5]
	flat_load_dwordx2 v[4:5], v[2:3]
.LBB6_4:
	s_waitcnt vmcnt(0) lgkmcnt(0)
	v_cmp_neq_f64_e32 vcc, 0, v[6:7]
	v_cmp_neq_f64_e64 s[4:5], 1.0, v[4:5]
	s_mov_b64 s[6:7], 0
	s_or_b64 s[4:5], vcc, s[4:5]
	s_and_saveexec_b64 s[8:9], s[4:5]
	s_cbranch_execz .LBB6_10
; %bb.5:
	s_load_dwordx2 s[4:5], s[0:1], 0x18
	s_load_dwordx2 s[14:15], s[0:1], 0x0
	v_lshrrev_b32_e32 v1, 3, v0
	v_lshl_or_b32 v2, s2, 5, v1
	s_mov_b64 s[2:3], 0
	s_waitcnt lgkmcnt(0)
	s_cmp_lg_u64 s[4:5], 0
	s_cbranch_scc0 .LBB6_11
; %bb.6:
	s_load_dword s6, s[0:1], 0x10
                                        ; implicit-def: $vgpr1
	s_waitcnt lgkmcnt(0)
	v_cmp_gt_i32_e32 vcc, s6, v2
	s_and_saveexec_b64 s[6:7], vcc
	s_xor_b64 s[6:7], exec, s[6:7]
	s_cbranch_execz .LBB6_8
; %bb.7:
	v_ashrrev_i32_e32 v3, 31, v2
	v_lshl_add_u64 v[8:9], v[2:3], 2, s[4:5]
	global_load_dword v1, v[8:9], off
	s_mov_b64 s[2:3], exec
	s_waitcnt vmcnt(0)
	v_subrev_u32_e32 v1, s12, v1
.LBB6_8:
	s_or_b64 exec, exec, s[6:7]
	s_mov_b64 s[6:7], s[2:3]
	s_branch .LBB6_12
.LBB6_9:
	v_cmp_gt_i32_e32 vcc, s14, v2
	s_andn2_b64 s[2:3], s[6:7], exec
	s_and_b64 s[4:5], vcc, exec
	s_or_b64 s[6:7], s[2:3], s[4:5]
	s_and_b64 exec, exec, s[6:7]
	s_cbranch_execnz .LBB6_13
.LBB6_10:
	s_endpgm
.LBB6_11:
                                        ; implicit-def: $vgpr1
	s_cbranch_execnz .LBB6_9
.LBB6_12:
	v_mov_b32_e32 v2, v1
	s_and_b64 exec, exec, s[6:7]
	s_cbranch_execz .LBB6_10
.LBB6_13:
	s_load_dwordx8 s[4:11], s[0:1], 0x20
	v_ashrrev_i32_e32 v3, 31, v2
	v_lshlrev_b64 v[8:9], 2, v[2:3]
	v_and_b32_e32 v3, 7, v0
	s_movk_i32 s2, 0x48
	s_waitcnt lgkmcnt(0)
	v_lshl_add_u64 v[10:11], s[4:5], 0, v[8:9]
	s_cmp_eq_u64 s[6:7], 0
	global_load_dword v12, v[10:11], off
	v_lshl_add_u64 v[10:11], v[10:11], 0, 4
	v_lshl_add_u64 v[8:9], s[6:7], 0, v[8:9]
	s_cselect_b64 vcc, -1, 0
	v_cndmask_b32_e32 v9, v9, v11, vcc
	v_cndmask_b32_e32 v8, v8, v10, vcc
	global_load_dword v8, v[8:9], off
	s_load_dwordx2 s[4:5], s[0:1], 0x40
	v_mov_b64_e32 v[0:1], s[10:11]
	s_cmp_eq_u32 s15, 1
	s_waitcnt vmcnt(1)
	v_subrev_u32_e32 v9, s12, v12
	v_add_u32_e32 v10, v9, v3
	v_mad_i64_i32 v[12:13], s[2:3], v10, s2, v[0:1]
	s_waitcnt vmcnt(0)
	v_subrev_u32_e32 v20, s12, v8
	v_cmp_lt_i32_e64 s[2:3], v10, v20
	s_cbranch_scc1 .LBB6_19
; %bb.14:
	v_mov_b64_e32 v[0:1], 0
	s_mov_b64 s[6:7], 0
	v_mov_b64_e32 v[8:9], v[0:1]
	v_mov_b64_e32 v[14:15], v[0:1]
	s_and_saveexec_b64 s[10:11], s[2:3]
	s_cbranch_execz .LBB6_18
; %bb.15:
	v_mov_b64_e32 v[0:1], 0
	s_mov_b64 s[14:15], 0
	s_mov_b64 s[16:17], 0x240
	v_mov_b64_e32 v[16:17], v[12:13]
	v_mov_b32_e32 v18, v10
	v_mov_b64_e32 v[8:9], v[0:1]
	v_mov_b64_e32 v[14:15], v[0:1]
.LBB6_16:                               ; =>This Inner Loop Header: Depth=1
	v_ashrrev_i32_e32 v19, 31, v18
	v_lshl_add_u64 v[34:35], v[18:19], 2, s[8:9]
	global_load_dword v11, v[34:35], off
	global_load_dwordx4 v[22:25], v[16:17], off offset:48
	global_load_dwordx4 v[26:29], v[16:17], off offset:16
	global_load_dwordx4 v[30:33], v[16:17], off
	v_add_u32_e32 v18, 8, v18
	v_cmp_ge_i32_e32 vcc, v18, v20
	s_or_b64 s[14:15], vcc, s[14:15]
	s_waitcnt vmcnt(3)
	v_subrev_u32_e32 v11, s12, v11
	v_lshl_add_u32 v34, v11, 1, v11
	v_ashrrev_i32_e32 v35, 31, v34
	s_waitcnt lgkmcnt(0)
	v_lshl_add_u64 v[42:43], v[34:35], 3, s[4:5]
	global_load_dwordx4 v[34:37], v[42:43], off
	global_load_dwordx2 v[44:45], v[42:43], off offset:16
	global_load_dwordx4 v[38:41], v[16:17], off offset:32
	global_load_dwordx2 v[46:47], v[16:17], off offset:64
	v_lshl_add_u64 v[16:17], v[16:17], 0, s[16:17]
	s_waitcnt vmcnt(3)
	v_fmac_f64_e32 v[14:15], v[30:31], v[34:35]
	v_fmac_f64_e32 v[8:9], v[28:29], v[34:35]
	;; [unrolled: 1-line block ×4, first 2 shown]
	s_waitcnt vmcnt(1)
	v_fmac_f64_e32 v[8:9], v[38:39], v[36:37]
	v_fmac_f64_e32 v[0:1], v[24:25], v[36:37]
	;; [unrolled: 1-line block ×4, first 2 shown]
	s_waitcnt vmcnt(0)
	v_fmac_f64_e32 v[0:1], v[46:47], v[44:45]
	s_andn2_b64 exec, exec, s[14:15]
	s_cbranch_execnz .LBB6_16
; %bb.17:
	s_or_b64 exec, exec, s[14:15]
.LBB6_18:
	s_or_b64 exec, exec, s[10:11]
	s_andn2_b64 vcc, exec, s[6:7]
	s_cbranch_vccz .LBB6_20
	s_branch .LBB6_25
.LBB6_19:
                                        ; implicit-def: $vgpr0_vgpr1
                                        ; implicit-def: $vgpr8_vgpr9
                                        ; implicit-def: $vgpr14_vgpr15
.LBB6_20:
	v_mov_b64_e32 v[0:1], 0
	v_mov_b64_e32 v[8:9], v[0:1]
	;; [unrolled: 1-line block ×3, first 2 shown]
	s_and_saveexec_b64 s[6:7], s[2:3]
	s_cbranch_execz .LBB6_24
; %bb.21:
	v_mov_b64_e32 v[0:1], 0
	s_mov_b64 s[2:3], 0
	s_mov_b64 s[10:11], 0x240
	v_mov_b64_e32 v[8:9], v[0:1]
	v_mov_b64_e32 v[14:15], v[0:1]
.LBB6_22:                               ; =>This Inner Loop Header: Depth=1
	v_ashrrev_i32_e32 v11, 31, v10
	v_lshl_add_u64 v[30:31], v[10:11], 2, s[8:9]
	global_load_dword v11, v[30:31], off
	global_load_dwordx4 v[16:19], v[12:13], off offset:32
	global_load_dwordx4 v[22:25], v[12:13], off offset:16
	global_load_dwordx4 v[26:29], v[12:13], off
	v_add_u32_e32 v10, 8, v10
	v_cmp_ge_i32_e32 vcc, v10, v20
	s_or_b64 s[2:3], vcc, s[2:3]
	s_waitcnt vmcnt(3)
	v_subrev_u32_e32 v11, s12, v11
	v_lshl_add_u32 v30, v11, 1, v11
	v_ashrrev_i32_e32 v31, 31, v30
	s_waitcnt lgkmcnt(0)
	v_lshl_add_u64 v[38:39], v[30:31], 3, s[4:5]
	global_load_dwordx4 v[30:33], v[38:39], off
	global_load_dwordx2 v[40:41], v[38:39], off offset:16
	global_load_dwordx4 v[34:37], v[12:13], off offset:48
	global_load_dwordx2 v[42:43], v[12:13], off offset:64
	v_lshl_add_u64 v[12:13], v[12:13], 0, s[10:11]
	s_waitcnt vmcnt(3)
	v_fmac_f64_e32 v[14:15], v[26:27], v[30:31]
	v_fmac_f64_e32 v[8:9], v[28:29], v[30:31]
	;; [unrolled: 1-line block ×6, first 2 shown]
	s_waitcnt vmcnt(1)
	v_fmac_f64_e32 v[14:15], v[34:35], v[40:41]
	v_fmac_f64_e32 v[8:9], v[36:37], v[40:41]
	s_waitcnt vmcnt(0)
	v_fmac_f64_e32 v[0:1], v[42:43], v[40:41]
	s_andn2_b64 exec, exec, s[2:3]
	s_cbranch_execnz .LBB6_22
; %bb.23:
	s_or_b64 exec, exec, s[2:3]
.LBB6_24:
	s_or_b64 exec, exec, s[6:7]
.LBB6_25:
	v_mov_b32_dpp v10, v14 row_shr:1 row_mask:0xf bank_mask:0xf
	v_mov_b32_dpp v11, v15 row_shr:1 row_mask:0xf bank_mask:0xf
	v_add_f64 v[10:11], v[14:15], v[10:11]
	v_mov_b32_dpp v14, v8 row_shr:1 row_mask:0xf bank_mask:0xf
	v_mov_b32_dpp v15, v9 row_shr:1 row_mask:0xf bank_mask:0xf
	;; [unrolled: 1-line block ×4, first 2 shown]
	v_add_f64 v[8:9], v[8:9], v[14:15]
	v_add_f64 v[0:1], v[0:1], v[16:17]
	v_mov_b32_dpp v12, v10 row_shr:2 row_mask:0xf bank_mask:0xf
	v_mov_b32_dpp v13, v11 row_shr:2 row_mask:0xf bank_mask:0xf
	;; [unrolled: 1-line block ×6, first 2 shown]
	v_add_f64 v[10:11], v[10:11], v[12:13]
	v_add_f64 v[8:9], v[8:9], v[14:15]
	;; [unrolled: 1-line block ×3, first 2 shown]
	v_mov_b32_dpp v12, v10 row_shr:4 row_mask:0xf bank_mask:0xe
	v_mov_b32_dpp v13, v11 row_shr:4 row_mask:0xf bank_mask:0xe
	;; [unrolled: 1-line block ×6, first 2 shown]
	v_cmp_eq_u32_e32 vcc, 7, v3
	s_and_b64 exec, exec, vcc
	s_cbranch_execz .LBB6_10
; %bb.26:
	s_load_dwordx2 s[0:1], s[0:1], 0x50
	v_add_f64 v[10:11], v[10:11], v[12:13]
	v_add_f64 v[12:13], v[8:9], v[14:15]
	;; [unrolled: 1-line block ×3, first 2 shown]
	v_lshl_add_u32 v8, v2, 1, v2
	v_cmp_eq_f64_e32 vcc, 0, v[4:5]
	v_mul_f64 v[0:1], v[6:7], v[10:11]
	v_mul_f64 v[2:3], v[6:7], v[12:13]
	;; [unrolled: 1-line block ×3, first 2 shown]
	v_ashrrev_i32_e32 v9, 31, v8
	s_and_saveexec_b64 s[2:3], vcc
	s_xor_b64 s[2:3], exec, s[2:3]
	s_cbranch_execz .LBB6_28
; %bb.27:
	s_waitcnt lgkmcnt(0)
	v_lshl_add_u64 v[4:5], v[8:9], 3, s[0:1]
	global_store_dwordx4 v[4:5], v[0:3], off
	global_store_dwordx2 v[4:5], v[6:7], off offset:16
                                        ; implicit-def: $vgpr8
                                        ; implicit-def: $vgpr4_vgpr5
                                        ; implicit-def: $vgpr0_vgpr1
                                        ; implicit-def: $vgpr6_vgpr7
.LBB6_28:
	s_andn2_saveexec_b64 s[2:3], s[2:3]
	s_cbranch_execz .LBB6_10
; %bb.29:
	s_waitcnt lgkmcnt(0)
	v_lshl_add_u64 v[12:13], v[8:9], 3, s[0:1]
	global_load_dwordx4 v[8:11], v[12:13], off
	global_load_dwordx2 v[14:15], v[12:13], off offset:16
	s_waitcnt vmcnt(1)
	v_fmac_f64_e32 v[0:1], v[4:5], v[8:9]
	v_fmac_f64_e32 v[2:3], v[4:5], v[10:11]
	s_waitcnt vmcnt(0)
	v_fmac_f64_e32 v[6:7], v[4:5], v[14:15]
	global_store_dwordx4 v[12:13], v[0:3], off
	global_store_dwordx2 v[12:13], v[6:7], off offset:16
	s_endpgm
	.section	.rodata,"a",@progbits
	.p2align	6, 0x0
	.amdhsa_kernel _ZN9rocsparseL18bsrxmvn_3x3_kernelILj256ELj8EdiidddEEvT3_20rocsparse_direction_NS_24const_host_device_scalarIT1_EES1_PKS1_PKT2_SA_S7_PKT4_PKT5_S5_PT6_21rocsparse_index_base_b
		.amdhsa_group_segment_fixed_size 0
		.amdhsa_private_segment_fixed_size 0
		.amdhsa_kernarg_size 96
		.amdhsa_user_sgpr_count 2
		.amdhsa_user_sgpr_dispatch_ptr 0
		.amdhsa_user_sgpr_queue_ptr 0
		.amdhsa_user_sgpr_kernarg_segment_ptr 1
		.amdhsa_user_sgpr_dispatch_id 0
		.amdhsa_user_sgpr_kernarg_preload_length 0
		.amdhsa_user_sgpr_kernarg_preload_offset 0
		.amdhsa_user_sgpr_private_segment_size 0
		.amdhsa_uses_dynamic_stack 0
		.amdhsa_enable_private_segment 0
		.amdhsa_system_sgpr_workgroup_id_x 1
		.amdhsa_system_sgpr_workgroup_id_y 0
		.amdhsa_system_sgpr_workgroup_id_z 0
		.amdhsa_system_sgpr_workgroup_info 0
		.amdhsa_system_vgpr_workitem_id 0
		.amdhsa_next_free_vgpr 48
		.amdhsa_next_free_sgpr 18
		.amdhsa_accum_offset 48
		.amdhsa_reserve_vcc 1
		.amdhsa_float_round_mode_32 0
		.amdhsa_float_round_mode_16_64 0
		.amdhsa_float_denorm_mode_32 3
		.amdhsa_float_denorm_mode_16_64 3
		.amdhsa_dx10_clamp 1
		.amdhsa_ieee_mode 1
		.amdhsa_fp16_overflow 0
		.amdhsa_tg_split 0
		.amdhsa_exception_fp_ieee_invalid_op 0
		.amdhsa_exception_fp_denorm_src 0
		.amdhsa_exception_fp_ieee_div_zero 0
		.amdhsa_exception_fp_ieee_overflow 0
		.amdhsa_exception_fp_ieee_underflow 0
		.amdhsa_exception_fp_ieee_inexact 0
		.amdhsa_exception_int_div_zero 0
	.end_amdhsa_kernel
	.section	.text._ZN9rocsparseL18bsrxmvn_3x3_kernelILj256ELj8EdiidddEEvT3_20rocsparse_direction_NS_24const_host_device_scalarIT1_EES1_PKS1_PKT2_SA_S7_PKT4_PKT5_S5_PT6_21rocsparse_index_base_b,"axG",@progbits,_ZN9rocsparseL18bsrxmvn_3x3_kernelILj256ELj8EdiidddEEvT3_20rocsparse_direction_NS_24const_host_device_scalarIT1_EES1_PKS1_PKT2_SA_S7_PKT4_PKT5_S5_PT6_21rocsparse_index_base_b,comdat
.Lfunc_end6:
	.size	_ZN9rocsparseL18bsrxmvn_3x3_kernelILj256ELj8EdiidddEEvT3_20rocsparse_direction_NS_24const_host_device_scalarIT1_EES1_PKS1_PKT2_SA_S7_PKT4_PKT5_S5_PT6_21rocsparse_index_base_b, .Lfunc_end6-_ZN9rocsparseL18bsrxmvn_3x3_kernelILj256ELj8EdiidddEEvT3_20rocsparse_direction_NS_24const_host_device_scalarIT1_EES1_PKS1_PKT2_SA_S7_PKT4_PKT5_S5_PT6_21rocsparse_index_base_b
                                        ; -- End function
	.section	.AMDGPU.csdata,"",@progbits
; Kernel info:
; codeLenInByte = 1312
; NumSgprs: 24
; NumVgprs: 48
; NumAgprs: 0
; TotalNumVgprs: 48
; ScratchSize: 0
; MemoryBound: 1
; FloatMode: 240
; IeeeMode: 1
; LDSByteSize: 0 bytes/workgroup (compile time only)
; SGPRBlocks: 2
; VGPRBlocks: 5
; NumSGPRsForWavesPerEU: 24
; NumVGPRsForWavesPerEU: 48
; AccumOffset: 48
; Occupancy: 8
; WaveLimiterHint : 1
; COMPUTE_PGM_RSRC2:SCRATCH_EN: 0
; COMPUTE_PGM_RSRC2:USER_SGPR: 2
; COMPUTE_PGM_RSRC2:TRAP_HANDLER: 0
; COMPUTE_PGM_RSRC2:TGID_X_EN: 1
; COMPUTE_PGM_RSRC2:TGID_Y_EN: 0
; COMPUTE_PGM_RSRC2:TGID_Z_EN: 0
; COMPUTE_PGM_RSRC2:TIDIG_COMP_CNT: 0
; COMPUTE_PGM_RSRC3_GFX90A:ACCUM_OFFSET: 11
; COMPUTE_PGM_RSRC3_GFX90A:TG_SPLIT: 0
	.section	.text._ZN9rocsparseL18bsrxmvn_3x3_kernelILj256ELj16EdiidddEEvT3_20rocsparse_direction_NS_24const_host_device_scalarIT1_EES1_PKS1_PKT2_SA_S7_PKT4_PKT5_S5_PT6_21rocsparse_index_base_b,"axG",@progbits,_ZN9rocsparseL18bsrxmvn_3x3_kernelILj256ELj16EdiidddEEvT3_20rocsparse_direction_NS_24const_host_device_scalarIT1_EES1_PKS1_PKT2_SA_S7_PKT4_PKT5_S5_PT6_21rocsparse_index_base_b,comdat
	.globl	_ZN9rocsparseL18bsrxmvn_3x3_kernelILj256ELj16EdiidddEEvT3_20rocsparse_direction_NS_24const_host_device_scalarIT1_EES1_PKS1_PKT2_SA_S7_PKT4_PKT5_S5_PT6_21rocsparse_index_base_b ; -- Begin function _ZN9rocsparseL18bsrxmvn_3x3_kernelILj256ELj16EdiidddEEvT3_20rocsparse_direction_NS_24const_host_device_scalarIT1_EES1_PKS1_PKT2_SA_S7_PKT4_PKT5_S5_PT6_21rocsparse_index_base_b
	.p2align	8
	.type	_ZN9rocsparseL18bsrxmvn_3x3_kernelILj256ELj16EdiidddEEvT3_20rocsparse_direction_NS_24const_host_device_scalarIT1_EES1_PKS1_PKT2_SA_S7_PKT4_PKT5_S5_PT6_21rocsparse_index_base_b,@function
_ZN9rocsparseL18bsrxmvn_3x3_kernelILj256ELj16EdiidddEEvT3_20rocsparse_direction_NS_24const_host_device_scalarIT1_EES1_PKS1_PKT2_SA_S7_PKT4_PKT5_S5_PT6_21rocsparse_index_base_b: ; @_ZN9rocsparseL18bsrxmvn_3x3_kernelILj256ELj16EdiidddEEvT3_20rocsparse_direction_NS_24const_host_device_scalarIT1_EES1_PKS1_PKT2_SA_S7_PKT4_PKT5_S5_PT6_21rocsparse_index_base_b
; %bb.0:
	s_load_dwordx2 s[12:13], s[0:1], 0x58
	s_load_dwordx2 s[8:9], s[0:1], 0x8
	;; [unrolled: 1-line block ×3, first 2 shown]
	s_waitcnt lgkmcnt(0)
	s_bitcmp1_b32 s13, 0
	s_cselect_b64 s[10:11], -1, 0
	s_xor_b64 s[6:7], s[10:11], -1
	s_and_b64 vcc, exec, s[10:11]
	v_mov_b64_e32 v[6:7], s[8:9]
	s_cbranch_vccnz .LBB7_2
; %bb.1:
	v_mov_b64_e32 v[2:3], s[8:9]
	flat_load_dwordx2 v[6:7], v[2:3]
.LBB7_2:
	s_andn2_b64 vcc, exec, s[6:7]
	v_mov_b64_e32 v[4:5], s[4:5]
	s_cbranch_vccnz .LBB7_4
; %bb.3:
	v_mov_b64_e32 v[2:3], s[4:5]
	flat_load_dwordx2 v[4:5], v[2:3]
.LBB7_4:
	s_waitcnt vmcnt(0) lgkmcnt(0)
	v_cmp_neq_f64_e32 vcc, 0, v[6:7]
	v_cmp_neq_f64_e64 s[4:5], 1.0, v[4:5]
	s_mov_b64 s[6:7], 0
	s_or_b64 s[4:5], vcc, s[4:5]
	s_and_saveexec_b64 s[8:9], s[4:5]
	s_cbranch_execz .LBB7_10
; %bb.5:
	s_load_dwordx2 s[4:5], s[0:1], 0x18
	s_load_dwordx2 s[14:15], s[0:1], 0x0
	v_lshrrev_b32_e32 v1, 4, v0
	v_lshl_or_b32 v2, s2, 4, v1
	s_mov_b64 s[2:3], 0
	s_waitcnt lgkmcnt(0)
	s_cmp_lg_u64 s[4:5], 0
	s_cbranch_scc0 .LBB7_11
; %bb.6:
	s_load_dword s6, s[0:1], 0x10
                                        ; implicit-def: $vgpr1
	s_waitcnt lgkmcnt(0)
	v_cmp_gt_i32_e32 vcc, s6, v2
	s_and_saveexec_b64 s[6:7], vcc
	s_xor_b64 s[6:7], exec, s[6:7]
	s_cbranch_execz .LBB7_8
; %bb.7:
	v_ashrrev_i32_e32 v3, 31, v2
	v_lshl_add_u64 v[8:9], v[2:3], 2, s[4:5]
	global_load_dword v1, v[8:9], off
	s_mov_b64 s[2:3], exec
	s_waitcnt vmcnt(0)
	v_subrev_u32_e32 v1, s12, v1
.LBB7_8:
	s_or_b64 exec, exec, s[6:7]
	s_mov_b64 s[6:7], s[2:3]
	s_branch .LBB7_12
.LBB7_9:
	v_cmp_gt_i32_e32 vcc, s14, v2
	s_andn2_b64 s[2:3], s[6:7], exec
	s_and_b64 s[4:5], vcc, exec
	s_or_b64 s[6:7], s[2:3], s[4:5]
	s_and_b64 exec, exec, s[6:7]
	s_cbranch_execnz .LBB7_13
.LBB7_10:
	s_endpgm
.LBB7_11:
                                        ; implicit-def: $vgpr1
	s_cbranch_execnz .LBB7_9
.LBB7_12:
	v_mov_b32_e32 v2, v1
	s_and_b64 exec, exec, s[6:7]
	s_cbranch_execz .LBB7_10
.LBB7_13:
	s_load_dwordx8 s[4:11], s[0:1], 0x20
	v_ashrrev_i32_e32 v3, 31, v2
	v_lshlrev_b64 v[8:9], 2, v[2:3]
	v_and_b32_e32 v3, 15, v0
	s_movk_i32 s2, 0x48
	s_waitcnt lgkmcnt(0)
	v_lshl_add_u64 v[10:11], s[4:5], 0, v[8:9]
	s_cmp_eq_u64 s[6:7], 0
	global_load_dword v12, v[10:11], off
	v_lshl_add_u64 v[10:11], v[10:11], 0, 4
	v_lshl_add_u64 v[8:9], s[6:7], 0, v[8:9]
	s_cselect_b64 vcc, -1, 0
	v_cndmask_b32_e32 v9, v9, v11, vcc
	v_cndmask_b32_e32 v8, v8, v10, vcc
	global_load_dword v8, v[8:9], off
	s_load_dwordx2 s[4:5], s[0:1], 0x40
	v_mov_b64_e32 v[0:1], s[10:11]
	s_cmp_eq_u32 s15, 1
	s_waitcnt vmcnt(1)
	v_subrev_u32_e32 v9, s12, v12
	v_add_u32_e32 v10, v9, v3
	v_mad_i64_i32 v[12:13], s[2:3], v10, s2, v[0:1]
	s_waitcnt vmcnt(0)
	v_subrev_u32_e32 v20, s12, v8
	v_cmp_lt_i32_e64 s[2:3], v10, v20
	s_cbranch_scc1 .LBB7_19
; %bb.14:
	v_mov_b64_e32 v[0:1], 0
	s_mov_b64 s[6:7], 0
	v_mov_b64_e32 v[8:9], v[0:1]
	v_mov_b64_e32 v[14:15], v[0:1]
	s_and_saveexec_b64 s[10:11], s[2:3]
	s_cbranch_execz .LBB7_18
; %bb.15:
	v_mov_b64_e32 v[0:1], 0
	s_mov_b64 s[14:15], 0
	s_mov_b64 s[16:17], 0x480
	v_mov_b64_e32 v[16:17], v[12:13]
	v_mov_b32_e32 v18, v10
	v_mov_b64_e32 v[8:9], v[0:1]
	v_mov_b64_e32 v[14:15], v[0:1]
.LBB7_16:                               ; =>This Inner Loop Header: Depth=1
	v_ashrrev_i32_e32 v19, 31, v18
	v_lshl_add_u64 v[34:35], v[18:19], 2, s[8:9]
	global_load_dword v11, v[34:35], off
	global_load_dwordx4 v[22:25], v[16:17], off offset:48
	global_load_dwordx4 v[26:29], v[16:17], off offset:16
	global_load_dwordx4 v[30:33], v[16:17], off
	v_add_u32_e32 v18, 16, v18
	v_cmp_ge_i32_e32 vcc, v18, v20
	s_or_b64 s[14:15], vcc, s[14:15]
	s_waitcnt vmcnt(3)
	v_subrev_u32_e32 v11, s12, v11
	v_lshl_add_u32 v34, v11, 1, v11
	v_ashrrev_i32_e32 v35, 31, v34
	s_waitcnt lgkmcnt(0)
	v_lshl_add_u64 v[42:43], v[34:35], 3, s[4:5]
	global_load_dwordx4 v[34:37], v[42:43], off
	global_load_dwordx2 v[44:45], v[42:43], off offset:16
	global_load_dwordx4 v[38:41], v[16:17], off offset:32
	global_load_dwordx2 v[46:47], v[16:17], off offset:64
	v_lshl_add_u64 v[16:17], v[16:17], 0, s[16:17]
	s_waitcnt vmcnt(3)
	v_fmac_f64_e32 v[14:15], v[30:31], v[34:35]
	v_fmac_f64_e32 v[8:9], v[28:29], v[34:35]
	;; [unrolled: 1-line block ×4, first 2 shown]
	s_waitcnt vmcnt(1)
	v_fmac_f64_e32 v[8:9], v[38:39], v[36:37]
	v_fmac_f64_e32 v[0:1], v[24:25], v[36:37]
	;; [unrolled: 1-line block ×4, first 2 shown]
	s_waitcnt vmcnt(0)
	v_fmac_f64_e32 v[0:1], v[46:47], v[44:45]
	s_andn2_b64 exec, exec, s[14:15]
	s_cbranch_execnz .LBB7_16
; %bb.17:
	s_or_b64 exec, exec, s[14:15]
.LBB7_18:
	s_or_b64 exec, exec, s[10:11]
	s_andn2_b64 vcc, exec, s[6:7]
	s_cbranch_vccz .LBB7_20
	s_branch .LBB7_25
.LBB7_19:
                                        ; implicit-def: $vgpr0_vgpr1
                                        ; implicit-def: $vgpr8_vgpr9
                                        ; implicit-def: $vgpr14_vgpr15
.LBB7_20:
	v_mov_b64_e32 v[0:1], 0
	v_mov_b64_e32 v[8:9], v[0:1]
	;; [unrolled: 1-line block ×3, first 2 shown]
	s_and_saveexec_b64 s[6:7], s[2:3]
	s_cbranch_execz .LBB7_24
; %bb.21:
	v_mov_b64_e32 v[0:1], 0
	s_mov_b64 s[2:3], 0
	s_mov_b64 s[10:11], 0x480
	v_mov_b64_e32 v[8:9], v[0:1]
	v_mov_b64_e32 v[14:15], v[0:1]
.LBB7_22:                               ; =>This Inner Loop Header: Depth=1
	v_ashrrev_i32_e32 v11, 31, v10
	v_lshl_add_u64 v[30:31], v[10:11], 2, s[8:9]
	global_load_dword v11, v[30:31], off
	global_load_dwordx4 v[16:19], v[12:13], off offset:32
	global_load_dwordx4 v[22:25], v[12:13], off offset:16
	global_load_dwordx4 v[26:29], v[12:13], off
	v_add_u32_e32 v10, 16, v10
	v_cmp_ge_i32_e32 vcc, v10, v20
	s_or_b64 s[2:3], vcc, s[2:3]
	s_waitcnt vmcnt(3)
	v_subrev_u32_e32 v11, s12, v11
	v_lshl_add_u32 v30, v11, 1, v11
	v_ashrrev_i32_e32 v31, 31, v30
	s_waitcnt lgkmcnt(0)
	v_lshl_add_u64 v[38:39], v[30:31], 3, s[4:5]
	global_load_dwordx4 v[30:33], v[38:39], off
	global_load_dwordx2 v[40:41], v[38:39], off offset:16
	global_load_dwordx4 v[34:37], v[12:13], off offset:48
	global_load_dwordx2 v[42:43], v[12:13], off offset:64
	v_lshl_add_u64 v[12:13], v[12:13], 0, s[10:11]
	s_waitcnt vmcnt(3)
	v_fmac_f64_e32 v[14:15], v[26:27], v[30:31]
	v_fmac_f64_e32 v[8:9], v[28:29], v[30:31]
	;; [unrolled: 1-line block ×6, first 2 shown]
	s_waitcnt vmcnt(1)
	v_fmac_f64_e32 v[14:15], v[34:35], v[40:41]
	v_fmac_f64_e32 v[8:9], v[36:37], v[40:41]
	s_waitcnt vmcnt(0)
	v_fmac_f64_e32 v[0:1], v[42:43], v[40:41]
	s_andn2_b64 exec, exec, s[2:3]
	s_cbranch_execnz .LBB7_22
; %bb.23:
	s_or_b64 exec, exec, s[2:3]
.LBB7_24:
	s_or_b64 exec, exec, s[6:7]
.LBB7_25:
	v_mov_b32_dpp v10, v14 row_shr:1 row_mask:0xf bank_mask:0xf
	v_mov_b32_dpp v11, v15 row_shr:1 row_mask:0xf bank_mask:0xf
	v_add_f64 v[10:11], v[14:15], v[10:11]
	v_mov_b32_dpp v14, v8 row_shr:1 row_mask:0xf bank_mask:0xf
	v_mov_b32_dpp v15, v9 row_shr:1 row_mask:0xf bank_mask:0xf
	;; [unrolled: 1-line block ×4, first 2 shown]
	v_add_f64 v[8:9], v[8:9], v[14:15]
	v_add_f64 v[0:1], v[0:1], v[16:17]
	v_mov_b32_dpp v12, v10 row_shr:2 row_mask:0xf bank_mask:0xf
	v_mov_b32_dpp v13, v11 row_shr:2 row_mask:0xf bank_mask:0xf
	;; [unrolled: 1-line block ×6, first 2 shown]
	v_add_f64 v[10:11], v[10:11], v[12:13]
	v_add_f64 v[8:9], v[8:9], v[14:15]
	;; [unrolled: 1-line block ×3, first 2 shown]
	v_mov_b32_dpp v12, v10 row_shr:4 row_mask:0xf bank_mask:0xe
	v_mov_b32_dpp v13, v11 row_shr:4 row_mask:0xf bank_mask:0xe
	;; [unrolled: 1-line block ×6, first 2 shown]
	v_add_f64 v[10:11], v[10:11], v[12:13]
	v_add_f64 v[8:9], v[8:9], v[14:15]
	;; [unrolled: 1-line block ×3, first 2 shown]
	v_mov_b32_dpp v12, v10 row_shr:8 row_mask:0xf bank_mask:0xc
	v_mov_b32_dpp v13, v11 row_shr:8 row_mask:0xf bank_mask:0xc
	;; [unrolled: 1-line block ×6, first 2 shown]
	v_cmp_eq_u32_e32 vcc, 15, v3
	s_and_b64 exec, exec, vcc
	s_cbranch_execz .LBB7_10
; %bb.26:
	s_load_dwordx2 s[0:1], s[0:1], 0x50
	v_add_f64 v[10:11], v[10:11], v[12:13]
	v_add_f64 v[12:13], v[8:9], v[14:15]
	;; [unrolled: 1-line block ×3, first 2 shown]
	v_lshl_add_u32 v8, v2, 1, v2
	v_cmp_eq_f64_e32 vcc, 0, v[4:5]
	v_mul_f64 v[0:1], v[6:7], v[10:11]
	v_mul_f64 v[2:3], v[6:7], v[12:13]
	;; [unrolled: 1-line block ×3, first 2 shown]
	v_ashrrev_i32_e32 v9, 31, v8
	s_and_saveexec_b64 s[2:3], vcc
	s_xor_b64 s[2:3], exec, s[2:3]
	s_cbranch_execz .LBB7_28
; %bb.27:
	s_waitcnt lgkmcnt(0)
	v_lshl_add_u64 v[4:5], v[8:9], 3, s[0:1]
	global_store_dwordx4 v[4:5], v[0:3], off
	global_store_dwordx2 v[4:5], v[6:7], off offset:16
                                        ; implicit-def: $vgpr8
                                        ; implicit-def: $vgpr4_vgpr5
                                        ; implicit-def: $vgpr0_vgpr1
                                        ; implicit-def: $vgpr6_vgpr7
.LBB7_28:
	s_andn2_saveexec_b64 s[2:3], s[2:3]
	s_cbranch_execz .LBB7_10
; %bb.29:
	s_waitcnt lgkmcnt(0)
	v_lshl_add_u64 v[12:13], v[8:9], 3, s[0:1]
	global_load_dwordx4 v[8:11], v[12:13], off
	global_load_dwordx2 v[14:15], v[12:13], off offset:16
	s_waitcnt vmcnt(1)
	v_fmac_f64_e32 v[0:1], v[4:5], v[8:9]
	v_fmac_f64_e32 v[2:3], v[4:5], v[10:11]
	s_waitcnt vmcnt(0)
	v_fmac_f64_e32 v[6:7], v[4:5], v[14:15]
	global_store_dwordx4 v[12:13], v[0:3], off
	global_store_dwordx2 v[12:13], v[6:7], off offset:16
	s_endpgm
	.section	.rodata,"a",@progbits
	.p2align	6, 0x0
	.amdhsa_kernel _ZN9rocsparseL18bsrxmvn_3x3_kernelILj256ELj16EdiidddEEvT3_20rocsparse_direction_NS_24const_host_device_scalarIT1_EES1_PKS1_PKT2_SA_S7_PKT4_PKT5_S5_PT6_21rocsparse_index_base_b
		.amdhsa_group_segment_fixed_size 0
		.amdhsa_private_segment_fixed_size 0
		.amdhsa_kernarg_size 96
		.amdhsa_user_sgpr_count 2
		.amdhsa_user_sgpr_dispatch_ptr 0
		.amdhsa_user_sgpr_queue_ptr 0
		.amdhsa_user_sgpr_kernarg_segment_ptr 1
		.amdhsa_user_sgpr_dispatch_id 0
		.amdhsa_user_sgpr_kernarg_preload_length 0
		.amdhsa_user_sgpr_kernarg_preload_offset 0
		.amdhsa_user_sgpr_private_segment_size 0
		.amdhsa_uses_dynamic_stack 0
		.amdhsa_enable_private_segment 0
		.amdhsa_system_sgpr_workgroup_id_x 1
		.amdhsa_system_sgpr_workgroup_id_y 0
		.amdhsa_system_sgpr_workgroup_id_z 0
		.amdhsa_system_sgpr_workgroup_info 0
		.amdhsa_system_vgpr_workitem_id 0
		.amdhsa_next_free_vgpr 48
		.amdhsa_next_free_sgpr 18
		.amdhsa_accum_offset 48
		.amdhsa_reserve_vcc 1
		.amdhsa_float_round_mode_32 0
		.amdhsa_float_round_mode_16_64 0
		.amdhsa_float_denorm_mode_32 3
		.amdhsa_float_denorm_mode_16_64 3
		.amdhsa_dx10_clamp 1
		.amdhsa_ieee_mode 1
		.amdhsa_fp16_overflow 0
		.amdhsa_tg_split 0
		.amdhsa_exception_fp_ieee_invalid_op 0
		.amdhsa_exception_fp_denorm_src 0
		.amdhsa_exception_fp_ieee_div_zero 0
		.amdhsa_exception_fp_ieee_overflow 0
		.amdhsa_exception_fp_ieee_underflow 0
		.amdhsa_exception_fp_ieee_inexact 0
		.amdhsa_exception_int_div_zero 0
	.end_amdhsa_kernel
	.section	.text._ZN9rocsparseL18bsrxmvn_3x3_kernelILj256ELj16EdiidddEEvT3_20rocsparse_direction_NS_24const_host_device_scalarIT1_EES1_PKS1_PKT2_SA_S7_PKT4_PKT5_S5_PT6_21rocsparse_index_base_b,"axG",@progbits,_ZN9rocsparseL18bsrxmvn_3x3_kernelILj256ELj16EdiidddEEvT3_20rocsparse_direction_NS_24const_host_device_scalarIT1_EES1_PKS1_PKT2_SA_S7_PKT4_PKT5_S5_PT6_21rocsparse_index_base_b,comdat
.Lfunc_end7:
	.size	_ZN9rocsparseL18bsrxmvn_3x3_kernelILj256ELj16EdiidddEEvT3_20rocsparse_direction_NS_24const_host_device_scalarIT1_EES1_PKS1_PKT2_SA_S7_PKT4_PKT5_S5_PT6_21rocsparse_index_base_b, .Lfunc_end7-_ZN9rocsparseL18bsrxmvn_3x3_kernelILj256ELj16EdiidddEEvT3_20rocsparse_direction_NS_24const_host_device_scalarIT1_EES1_PKS1_PKT2_SA_S7_PKT4_PKT5_S5_PT6_21rocsparse_index_base_b
                                        ; -- End function
	.section	.AMDGPU.csdata,"",@progbits
; Kernel info:
; codeLenInByte = 1384
; NumSgprs: 24
; NumVgprs: 48
; NumAgprs: 0
; TotalNumVgprs: 48
; ScratchSize: 0
; MemoryBound: 1
; FloatMode: 240
; IeeeMode: 1
; LDSByteSize: 0 bytes/workgroup (compile time only)
; SGPRBlocks: 2
; VGPRBlocks: 5
; NumSGPRsForWavesPerEU: 24
; NumVGPRsForWavesPerEU: 48
; AccumOffset: 48
; Occupancy: 8
; WaveLimiterHint : 1
; COMPUTE_PGM_RSRC2:SCRATCH_EN: 0
; COMPUTE_PGM_RSRC2:USER_SGPR: 2
; COMPUTE_PGM_RSRC2:TRAP_HANDLER: 0
; COMPUTE_PGM_RSRC2:TGID_X_EN: 1
; COMPUTE_PGM_RSRC2:TGID_Y_EN: 0
; COMPUTE_PGM_RSRC2:TGID_Z_EN: 0
; COMPUTE_PGM_RSRC2:TIDIG_COMP_CNT: 0
; COMPUTE_PGM_RSRC3_GFX90A:ACCUM_OFFSET: 11
; COMPUTE_PGM_RSRC3_GFX90A:TG_SPLIT: 0
	.section	.text._ZN9rocsparseL18bsrxmvn_3x3_kernelILj256ELj32EdiidddEEvT3_20rocsparse_direction_NS_24const_host_device_scalarIT1_EES1_PKS1_PKT2_SA_S7_PKT4_PKT5_S5_PT6_21rocsparse_index_base_b,"axG",@progbits,_ZN9rocsparseL18bsrxmvn_3x3_kernelILj256ELj32EdiidddEEvT3_20rocsparse_direction_NS_24const_host_device_scalarIT1_EES1_PKS1_PKT2_SA_S7_PKT4_PKT5_S5_PT6_21rocsparse_index_base_b,comdat
	.globl	_ZN9rocsparseL18bsrxmvn_3x3_kernelILj256ELj32EdiidddEEvT3_20rocsparse_direction_NS_24const_host_device_scalarIT1_EES1_PKS1_PKT2_SA_S7_PKT4_PKT5_S5_PT6_21rocsparse_index_base_b ; -- Begin function _ZN9rocsparseL18bsrxmvn_3x3_kernelILj256ELj32EdiidddEEvT3_20rocsparse_direction_NS_24const_host_device_scalarIT1_EES1_PKS1_PKT2_SA_S7_PKT4_PKT5_S5_PT6_21rocsparse_index_base_b
	.p2align	8
	.type	_ZN9rocsparseL18bsrxmvn_3x3_kernelILj256ELj32EdiidddEEvT3_20rocsparse_direction_NS_24const_host_device_scalarIT1_EES1_PKS1_PKT2_SA_S7_PKT4_PKT5_S5_PT6_21rocsparse_index_base_b,@function
_ZN9rocsparseL18bsrxmvn_3x3_kernelILj256ELj32EdiidddEEvT3_20rocsparse_direction_NS_24const_host_device_scalarIT1_EES1_PKS1_PKT2_SA_S7_PKT4_PKT5_S5_PT6_21rocsparse_index_base_b: ; @_ZN9rocsparseL18bsrxmvn_3x3_kernelILj256ELj32EdiidddEEvT3_20rocsparse_direction_NS_24const_host_device_scalarIT1_EES1_PKS1_PKT2_SA_S7_PKT4_PKT5_S5_PT6_21rocsparse_index_base_b
; %bb.0:
	s_load_dwordx2 s[12:13], s[0:1], 0x58
	s_load_dwordx2 s[8:9], s[0:1], 0x8
	;; [unrolled: 1-line block ×3, first 2 shown]
	s_waitcnt lgkmcnt(0)
	s_bitcmp1_b32 s13, 0
	s_cselect_b64 s[10:11], -1, 0
	s_xor_b64 s[6:7], s[10:11], -1
	s_and_b64 vcc, exec, s[10:11]
	v_mov_b64_e32 v[6:7], s[8:9]
	s_cbranch_vccnz .LBB8_2
; %bb.1:
	v_mov_b64_e32 v[2:3], s[8:9]
	flat_load_dwordx2 v[6:7], v[2:3]
.LBB8_2:
	s_andn2_b64 vcc, exec, s[6:7]
	v_mov_b64_e32 v[4:5], s[4:5]
	s_cbranch_vccnz .LBB8_4
; %bb.3:
	v_mov_b64_e32 v[2:3], s[4:5]
	flat_load_dwordx2 v[4:5], v[2:3]
.LBB8_4:
	s_waitcnt vmcnt(0) lgkmcnt(0)
	v_cmp_neq_f64_e32 vcc, 0, v[6:7]
	v_cmp_neq_f64_e64 s[4:5], 1.0, v[4:5]
	s_mov_b64 s[6:7], 0
	s_or_b64 s[4:5], vcc, s[4:5]
	s_and_saveexec_b64 s[8:9], s[4:5]
	s_cbranch_execz .LBB8_10
; %bb.5:
	s_load_dwordx2 s[4:5], s[0:1], 0x18
	s_load_dwordx2 s[14:15], s[0:1], 0x0
	v_lshrrev_b32_e32 v1, 5, v0
	v_lshl_or_b32 v2, s2, 3, v1
	s_mov_b64 s[2:3], 0
	s_waitcnt lgkmcnt(0)
	s_cmp_lg_u64 s[4:5], 0
	s_cbranch_scc0 .LBB8_11
; %bb.6:
	s_load_dword s6, s[0:1], 0x10
                                        ; implicit-def: $vgpr1
	s_waitcnt lgkmcnt(0)
	v_cmp_gt_i32_e32 vcc, s6, v2
	s_and_saveexec_b64 s[6:7], vcc
	s_xor_b64 s[6:7], exec, s[6:7]
	s_cbranch_execz .LBB8_8
; %bb.7:
	v_ashrrev_i32_e32 v3, 31, v2
	v_lshl_add_u64 v[8:9], v[2:3], 2, s[4:5]
	global_load_dword v1, v[8:9], off
	s_mov_b64 s[2:3], exec
	s_waitcnt vmcnt(0)
	v_subrev_u32_e32 v1, s12, v1
.LBB8_8:
	s_or_b64 exec, exec, s[6:7]
	s_mov_b64 s[6:7], s[2:3]
	s_branch .LBB8_12
.LBB8_9:
	v_cmp_gt_i32_e32 vcc, s14, v2
	s_andn2_b64 s[2:3], s[6:7], exec
	s_and_b64 s[4:5], vcc, exec
	s_or_b64 s[6:7], s[2:3], s[4:5]
	s_and_b64 exec, exec, s[6:7]
	s_cbranch_execnz .LBB8_13
.LBB8_10:
	s_endpgm
.LBB8_11:
                                        ; implicit-def: $vgpr1
	s_cbranch_execnz .LBB8_9
.LBB8_12:
	v_mov_b32_e32 v2, v1
	s_and_b64 exec, exec, s[6:7]
	s_cbranch_execz .LBB8_10
.LBB8_13:
	s_load_dwordx8 s[4:11], s[0:1], 0x20
	v_ashrrev_i32_e32 v3, 31, v2
	v_lshlrev_b64 v[8:9], 2, v[2:3]
	v_and_b32_e32 v3, 31, v0
	s_movk_i32 s2, 0x48
	s_waitcnt lgkmcnt(0)
	v_lshl_add_u64 v[10:11], s[4:5], 0, v[8:9]
	s_cmp_eq_u64 s[6:7], 0
	global_load_dword v12, v[10:11], off
	v_lshl_add_u64 v[10:11], v[10:11], 0, 4
	v_lshl_add_u64 v[8:9], s[6:7], 0, v[8:9]
	s_cselect_b64 vcc, -1, 0
	v_cndmask_b32_e32 v9, v9, v11, vcc
	v_cndmask_b32_e32 v8, v8, v10, vcc
	global_load_dword v8, v[8:9], off
	s_load_dwordx2 s[4:5], s[0:1], 0x40
	v_mov_b64_e32 v[0:1], s[10:11]
	s_cmp_eq_u32 s15, 1
	s_waitcnt vmcnt(1)
	v_subrev_u32_e32 v9, s12, v12
	v_add_u32_e32 v10, v9, v3
	v_mad_i64_i32 v[12:13], s[2:3], v10, s2, v[0:1]
	s_waitcnt vmcnt(0)
	v_subrev_u32_e32 v20, s12, v8
	v_cmp_lt_i32_e64 s[2:3], v10, v20
	s_cbranch_scc1 .LBB8_19
; %bb.14:
	v_mov_b64_e32 v[0:1], 0
	s_mov_b64 s[6:7], 0
	v_mov_b64_e32 v[8:9], v[0:1]
	v_mov_b64_e32 v[14:15], v[0:1]
	s_and_saveexec_b64 s[10:11], s[2:3]
	s_cbranch_execz .LBB8_18
; %bb.15:
	v_mov_b64_e32 v[0:1], 0
	s_mov_b64 s[14:15], 0
	s_mov_b64 s[16:17], 0x900
	v_mov_b64_e32 v[16:17], v[12:13]
	v_mov_b32_e32 v18, v10
	v_mov_b64_e32 v[8:9], v[0:1]
	v_mov_b64_e32 v[14:15], v[0:1]
.LBB8_16:                               ; =>This Inner Loop Header: Depth=1
	v_ashrrev_i32_e32 v19, 31, v18
	v_lshl_add_u64 v[34:35], v[18:19], 2, s[8:9]
	global_load_dword v11, v[34:35], off
	global_load_dwordx4 v[22:25], v[16:17], off offset:48
	global_load_dwordx4 v[26:29], v[16:17], off offset:16
	global_load_dwordx4 v[30:33], v[16:17], off
	v_add_u32_e32 v18, 32, v18
	v_cmp_ge_i32_e32 vcc, v18, v20
	s_or_b64 s[14:15], vcc, s[14:15]
	s_waitcnt vmcnt(3)
	v_subrev_u32_e32 v11, s12, v11
	v_lshl_add_u32 v34, v11, 1, v11
	v_ashrrev_i32_e32 v35, 31, v34
	s_waitcnt lgkmcnt(0)
	v_lshl_add_u64 v[42:43], v[34:35], 3, s[4:5]
	global_load_dwordx4 v[34:37], v[42:43], off
	global_load_dwordx2 v[44:45], v[42:43], off offset:16
	global_load_dwordx4 v[38:41], v[16:17], off offset:32
	global_load_dwordx2 v[46:47], v[16:17], off offset:64
	v_lshl_add_u64 v[16:17], v[16:17], 0, s[16:17]
	s_waitcnt vmcnt(3)
	v_fmac_f64_e32 v[14:15], v[30:31], v[34:35]
	v_fmac_f64_e32 v[8:9], v[28:29], v[34:35]
	;; [unrolled: 1-line block ×4, first 2 shown]
	s_waitcnt vmcnt(1)
	v_fmac_f64_e32 v[8:9], v[38:39], v[36:37]
	v_fmac_f64_e32 v[0:1], v[24:25], v[36:37]
	;; [unrolled: 1-line block ×4, first 2 shown]
	s_waitcnt vmcnt(0)
	v_fmac_f64_e32 v[0:1], v[46:47], v[44:45]
	s_andn2_b64 exec, exec, s[14:15]
	s_cbranch_execnz .LBB8_16
; %bb.17:
	s_or_b64 exec, exec, s[14:15]
.LBB8_18:
	s_or_b64 exec, exec, s[10:11]
	s_andn2_b64 vcc, exec, s[6:7]
	s_cbranch_vccz .LBB8_20
	s_branch .LBB8_25
.LBB8_19:
                                        ; implicit-def: $vgpr0_vgpr1
                                        ; implicit-def: $vgpr8_vgpr9
                                        ; implicit-def: $vgpr14_vgpr15
.LBB8_20:
	v_mov_b64_e32 v[0:1], 0
	v_mov_b64_e32 v[8:9], v[0:1]
	;; [unrolled: 1-line block ×3, first 2 shown]
	s_and_saveexec_b64 s[6:7], s[2:3]
	s_cbranch_execz .LBB8_24
; %bb.21:
	v_mov_b64_e32 v[0:1], 0
	s_mov_b64 s[2:3], 0
	s_mov_b64 s[10:11], 0x900
	v_mov_b64_e32 v[8:9], v[0:1]
	v_mov_b64_e32 v[14:15], v[0:1]
.LBB8_22:                               ; =>This Inner Loop Header: Depth=1
	v_ashrrev_i32_e32 v11, 31, v10
	v_lshl_add_u64 v[30:31], v[10:11], 2, s[8:9]
	global_load_dword v11, v[30:31], off
	global_load_dwordx4 v[16:19], v[12:13], off offset:32
	global_load_dwordx4 v[22:25], v[12:13], off offset:16
	global_load_dwordx4 v[26:29], v[12:13], off
	v_add_u32_e32 v10, 32, v10
	v_cmp_ge_i32_e32 vcc, v10, v20
	s_or_b64 s[2:3], vcc, s[2:3]
	s_waitcnt vmcnt(3)
	v_subrev_u32_e32 v11, s12, v11
	v_lshl_add_u32 v30, v11, 1, v11
	v_ashrrev_i32_e32 v31, 31, v30
	s_waitcnt lgkmcnt(0)
	v_lshl_add_u64 v[38:39], v[30:31], 3, s[4:5]
	global_load_dwordx4 v[30:33], v[38:39], off
	global_load_dwordx2 v[40:41], v[38:39], off offset:16
	global_load_dwordx4 v[34:37], v[12:13], off offset:48
	global_load_dwordx2 v[42:43], v[12:13], off offset:64
	v_lshl_add_u64 v[12:13], v[12:13], 0, s[10:11]
	s_waitcnt vmcnt(3)
	v_fmac_f64_e32 v[14:15], v[26:27], v[30:31]
	v_fmac_f64_e32 v[8:9], v[28:29], v[30:31]
	;; [unrolled: 1-line block ×6, first 2 shown]
	s_waitcnt vmcnt(1)
	v_fmac_f64_e32 v[14:15], v[34:35], v[40:41]
	v_fmac_f64_e32 v[8:9], v[36:37], v[40:41]
	s_waitcnt vmcnt(0)
	v_fmac_f64_e32 v[0:1], v[42:43], v[40:41]
	s_andn2_b64 exec, exec, s[2:3]
	s_cbranch_execnz .LBB8_22
; %bb.23:
	s_or_b64 exec, exec, s[2:3]
.LBB8_24:
	s_or_b64 exec, exec, s[6:7]
.LBB8_25:
	v_mov_b32_dpp v10, v14 row_shr:1 row_mask:0xf bank_mask:0xf
	v_mov_b32_dpp v11, v15 row_shr:1 row_mask:0xf bank_mask:0xf
	v_add_f64 v[10:11], v[14:15], v[10:11]
	v_mov_b32_dpp v14, v8 row_shr:1 row_mask:0xf bank_mask:0xf
	v_mov_b32_dpp v15, v9 row_shr:1 row_mask:0xf bank_mask:0xf
	;; [unrolled: 1-line block ×4, first 2 shown]
	v_add_f64 v[8:9], v[8:9], v[14:15]
	v_add_f64 v[0:1], v[0:1], v[16:17]
	v_mov_b32_dpp v12, v10 row_shr:2 row_mask:0xf bank_mask:0xf
	v_mov_b32_dpp v13, v11 row_shr:2 row_mask:0xf bank_mask:0xf
	v_mov_b32_dpp v14, v8 row_shr:2 row_mask:0xf bank_mask:0xf
	v_mov_b32_dpp v15, v9 row_shr:2 row_mask:0xf bank_mask:0xf
	v_mov_b32_dpp v16, v0 row_shr:2 row_mask:0xf bank_mask:0xf
	v_mov_b32_dpp v17, v1 row_shr:2 row_mask:0xf bank_mask:0xf
	v_add_f64 v[10:11], v[10:11], v[12:13]
	v_add_f64 v[8:9], v[8:9], v[14:15]
	v_add_f64 v[0:1], v[0:1], v[16:17]
	v_mov_b32_dpp v12, v10 row_shr:4 row_mask:0xf bank_mask:0xe
	v_mov_b32_dpp v13, v11 row_shr:4 row_mask:0xf bank_mask:0xe
	v_mov_b32_dpp v14, v8 row_shr:4 row_mask:0xf bank_mask:0xe
	v_mov_b32_dpp v15, v9 row_shr:4 row_mask:0xf bank_mask:0xe
	v_mov_b32_dpp v16, v0 row_shr:4 row_mask:0xf bank_mask:0xe
	v_mov_b32_dpp v17, v1 row_shr:4 row_mask:0xf bank_mask:0xe
	v_add_f64 v[10:11], v[10:11], v[12:13]
	;; [unrolled: 9-line block ×3, first 2 shown]
	v_add_f64 v[8:9], v[8:9], v[14:15]
	v_add_f64 v[0:1], v[0:1], v[16:17]
	v_mov_b32_dpp v12, v10 row_bcast:15 row_mask:0xa bank_mask:0xf
	v_mov_b32_dpp v13, v11 row_bcast:15 row_mask:0xa bank_mask:0xf
	;; [unrolled: 1-line block ×6, first 2 shown]
	v_cmp_eq_u32_e32 vcc, 31, v3
	s_and_b64 exec, exec, vcc
	s_cbranch_execz .LBB8_10
; %bb.26:
	s_load_dwordx2 s[0:1], s[0:1], 0x50
	v_add_f64 v[10:11], v[10:11], v[12:13]
	v_add_f64 v[12:13], v[8:9], v[14:15]
	;; [unrolled: 1-line block ×3, first 2 shown]
	v_lshl_add_u32 v8, v2, 1, v2
	v_cmp_eq_f64_e32 vcc, 0, v[4:5]
	v_mul_f64 v[0:1], v[6:7], v[10:11]
	v_mul_f64 v[2:3], v[6:7], v[12:13]
	;; [unrolled: 1-line block ×3, first 2 shown]
	v_ashrrev_i32_e32 v9, 31, v8
	s_and_saveexec_b64 s[2:3], vcc
	s_xor_b64 s[2:3], exec, s[2:3]
	s_cbranch_execz .LBB8_28
; %bb.27:
	s_waitcnt lgkmcnt(0)
	v_lshl_add_u64 v[4:5], v[8:9], 3, s[0:1]
	global_store_dwordx4 v[4:5], v[0:3], off
	global_store_dwordx2 v[4:5], v[6:7], off offset:16
                                        ; implicit-def: $vgpr8
                                        ; implicit-def: $vgpr4_vgpr5
                                        ; implicit-def: $vgpr0_vgpr1
                                        ; implicit-def: $vgpr6_vgpr7
.LBB8_28:
	s_andn2_saveexec_b64 s[2:3], s[2:3]
	s_cbranch_execz .LBB8_10
; %bb.29:
	s_waitcnt lgkmcnt(0)
	v_lshl_add_u64 v[12:13], v[8:9], 3, s[0:1]
	global_load_dwordx4 v[8:11], v[12:13], off
	global_load_dwordx2 v[14:15], v[12:13], off offset:16
	s_waitcnt vmcnt(1)
	v_fmac_f64_e32 v[0:1], v[4:5], v[8:9]
	v_fmac_f64_e32 v[2:3], v[4:5], v[10:11]
	s_waitcnt vmcnt(0)
	v_fmac_f64_e32 v[6:7], v[4:5], v[14:15]
	global_store_dwordx4 v[12:13], v[0:3], off
	global_store_dwordx2 v[12:13], v[6:7], off offset:16
	s_endpgm
	.section	.rodata,"a",@progbits
	.p2align	6, 0x0
	.amdhsa_kernel _ZN9rocsparseL18bsrxmvn_3x3_kernelILj256ELj32EdiidddEEvT3_20rocsparse_direction_NS_24const_host_device_scalarIT1_EES1_PKS1_PKT2_SA_S7_PKT4_PKT5_S5_PT6_21rocsparse_index_base_b
		.amdhsa_group_segment_fixed_size 0
		.amdhsa_private_segment_fixed_size 0
		.amdhsa_kernarg_size 96
		.amdhsa_user_sgpr_count 2
		.amdhsa_user_sgpr_dispatch_ptr 0
		.amdhsa_user_sgpr_queue_ptr 0
		.amdhsa_user_sgpr_kernarg_segment_ptr 1
		.amdhsa_user_sgpr_dispatch_id 0
		.amdhsa_user_sgpr_kernarg_preload_length 0
		.amdhsa_user_sgpr_kernarg_preload_offset 0
		.amdhsa_user_sgpr_private_segment_size 0
		.amdhsa_uses_dynamic_stack 0
		.amdhsa_enable_private_segment 0
		.amdhsa_system_sgpr_workgroup_id_x 1
		.amdhsa_system_sgpr_workgroup_id_y 0
		.amdhsa_system_sgpr_workgroup_id_z 0
		.amdhsa_system_sgpr_workgroup_info 0
		.amdhsa_system_vgpr_workitem_id 0
		.amdhsa_next_free_vgpr 48
		.amdhsa_next_free_sgpr 18
		.amdhsa_accum_offset 48
		.amdhsa_reserve_vcc 1
		.amdhsa_float_round_mode_32 0
		.amdhsa_float_round_mode_16_64 0
		.amdhsa_float_denorm_mode_32 3
		.amdhsa_float_denorm_mode_16_64 3
		.amdhsa_dx10_clamp 1
		.amdhsa_ieee_mode 1
		.amdhsa_fp16_overflow 0
		.amdhsa_tg_split 0
		.amdhsa_exception_fp_ieee_invalid_op 0
		.amdhsa_exception_fp_denorm_src 0
		.amdhsa_exception_fp_ieee_div_zero 0
		.amdhsa_exception_fp_ieee_overflow 0
		.amdhsa_exception_fp_ieee_underflow 0
		.amdhsa_exception_fp_ieee_inexact 0
		.amdhsa_exception_int_div_zero 0
	.end_amdhsa_kernel
	.section	.text._ZN9rocsparseL18bsrxmvn_3x3_kernelILj256ELj32EdiidddEEvT3_20rocsparse_direction_NS_24const_host_device_scalarIT1_EES1_PKS1_PKT2_SA_S7_PKT4_PKT5_S5_PT6_21rocsparse_index_base_b,"axG",@progbits,_ZN9rocsparseL18bsrxmvn_3x3_kernelILj256ELj32EdiidddEEvT3_20rocsparse_direction_NS_24const_host_device_scalarIT1_EES1_PKS1_PKT2_SA_S7_PKT4_PKT5_S5_PT6_21rocsparse_index_base_b,comdat
.Lfunc_end8:
	.size	_ZN9rocsparseL18bsrxmvn_3x3_kernelILj256ELj32EdiidddEEvT3_20rocsparse_direction_NS_24const_host_device_scalarIT1_EES1_PKS1_PKT2_SA_S7_PKT4_PKT5_S5_PT6_21rocsparse_index_base_b, .Lfunc_end8-_ZN9rocsparseL18bsrxmvn_3x3_kernelILj256ELj32EdiidddEEvT3_20rocsparse_direction_NS_24const_host_device_scalarIT1_EES1_PKS1_PKT2_SA_S7_PKT4_PKT5_S5_PT6_21rocsparse_index_base_b
                                        ; -- End function
	.section	.AMDGPU.csdata,"",@progbits
; Kernel info:
; codeLenInByte = 1456
; NumSgprs: 24
; NumVgprs: 48
; NumAgprs: 0
; TotalNumVgprs: 48
; ScratchSize: 0
; MemoryBound: 1
; FloatMode: 240
; IeeeMode: 1
; LDSByteSize: 0 bytes/workgroup (compile time only)
; SGPRBlocks: 2
; VGPRBlocks: 5
; NumSGPRsForWavesPerEU: 24
; NumVGPRsForWavesPerEU: 48
; AccumOffset: 48
; Occupancy: 8
; WaveLimiterHint : 1
; COMPUTE_PGM_RSRC2:SCRATCH_EN: 0
; COMPUTE_PGM_RSRC2:USER_SGPR: 2
; COMPUTE_PGM_RSRC2:TRAP_HANDLER: 0
; COMPUTE_PGM_RSRC2:TGID_X_EN: 1
; COMPUTE_PGM_RSRC2:TGID_Y_EN: 0
; COMPUTE_PGM_RSRC2:TGID_Z_EN: 0
; COMPUTE_PGM_RSRC2:TIDIG_COMP_CNT: 0
; COMPUTE_PGM_RSRC3_GFX90A:ACCUM_OFFSET: 11
; COMPUTE_PGM_RSRC3_GFX90A:TG_SPLIT: 0
	.section	.text._ZN9rocsparseL18bsrxmvn_3x3_kernelILj256ELj64EdiidddEEvT3_20rocsparse_direction_NS_24const_host_device_scalarIT1_EES1_PKS1_PKT2_SA_S7_PKT4_PKT5_S5_PT6_21rocsparse_index_base_b,"axG",@progbits,_ZN9rocsparseL18bsrxmvn_3x3_kernelILj256ELj64EdiidddEEvT3_20rocsparse_direction_NS_24const_host_device_scalarIT1_EES1_PKS1_PKT2_SA_S7_PKT4_PKT5_S5_PT6_21rocsparse_index_base_b,comdat
	.globl	_ZN9rocsparseL18bsrxmvn_3x3_kernelILj256ELj64EdiidddEEvT3_20rocsparse_direction_NS_24const_host_device_scalarIT1_EES1_PKS1_PKT2_SA_S7_PKT4_PKT5_S5_PT6_21rocsparse_index_base_b ; -- Begin function _ZN9rocsparseL18bsrxmvn_3x3_kernelILj256ELj64EdiidddEEvT3_20rocsparse_direction_NS_24const_host_device_scalarIT1_EES1_PKS1_PKT2_SA_S7_PKT4_PKT5_S5_PT6_21rocsparse_index_base_b
	.p2align	8
	.type	_ZN9rocsparseL18bsrxmvn_3x3_kernelILj256ELj64EdiidddEEvT3_20rocsparse_direction_NS_24const_host_device_scalarIT1_EES1_PKS1_PKT2_SA_S7_PKT4_PKT5_S5_PT6_21rocsparse_index_base_b,@function
_ZN9rocsparseL18bsrxmvn_3x3_kernelILj256ELj64EdiidddEEvT3_20rocsparse_direction_NS_24const_host_device_scalarIT1_EES1_PKS1_PKT2_SA_S7_PKT4_PKT5_S5_PT6_21rocsparse_index_base_b: ; @_ZN9rocsparseL18bsrxmvn_3x3_kernelILj256ELj64EdiidddEEvT3_20rocsparse_direction_NS_24const_host_device_scalarIT1_EES1_PKS1_PKT2_SA_S7_PKT4_PKT5_S5_PT6_21rocsparse_index_base_b
; %bb.0:
	s_load_dwordx2 s[12:13], s[0:1], 0x58
	s_load_dwordx2 s[8:9], s[0:1], 0x8
	;; [unrolled: 1-line block ×3, first 2 shown]
	s_waitcnt lgkmcnt(0)
	s_bitcmp1_b32 s13, 0
	s_cselect_b64 s[10:11], -1, 0
	s_xor_b64 s[6:7], s[10:11], -1
	s_and_b64 vcc, exec, s[10:11]
	v_mov_b64_e32 v[6:7], s[8:9]
	s_cbranch_vccnz .LBB9_2
; %bb.1:
	v_mov_b64_e32 v[2:3], s[8:9]
	flat_load_dwordx2 v[6:7], v[2:3]
.LBB9_2:
	s_andn2_b64 vcc, exec, s[6:7]
	v_mov_b64_e32 v[4:5], s[4:5]
	s_cbranch_vccnz .LBB9_4
; %bb.3:
	v_mov_b64_e32 v[2:3], s[4:5]
	flat_load_dwordx2 v[4:5], v[2:3]
.LBB9_4:
	s_waitcnt vmcnt(0) lgkmcnt(0)
	v_cmp_neq_f64_e32 vcc, 0, v[6:7]
	v_cmp_neq_f64_e64 s[4:5], 1.0, v[4:5]
	s_mov_b64 s[6:7], 0
	s_or_b64 s[4:5], vcc, s[4:5]
	s_and_saveexec_b64 s[8:9], s[4:5]
	s_cbranch_execz .LBB9_10
; %bb.5:
	s_load_dwordx2 s[4:5], s[0:1], 0x18
	s_load_dwordx2 s[14:15], s[0:1], 0x0
	v_lshrrev_b32_e32 v1, 6, v0
	v_lshl_or_b32 v2, s2, 2, v1
	s_mov_b64 s[2:3], 0
	s_waitcnt lgkmcnt(0)
	s_cmp_lg_u64 s[4:5], 0
	s_cbranch_scc0 .LBB9_11
; %bb.6:
	s_load_dword s6, s[0:1], 0x10
                                        ; implicit-def: $vgpr1
	s_waitcnt lgkmcnt(0)
	v_cmp_gt_i32_e32 vcc, s6, v2
	s_and_saveexec_b64 s[6:7], vcc
	s_xor_b64 s[6:7], exec, s[6:7]
	s_cbranch_execz .LBB9_8
; %bb.7:
	v_ashrrev_i32_e32 v3, 31, v2
	v_lshl_add_u64 v[8:9], v[2:3], 2, s[4:5]
	global_load_dword v1, v[8:9], off
	s_mov_b64 s[2:3], exec
	s_waitcnt vmcnt(0)
	v_subrev_u32_e32 v1, s12, v1
.LBB9_8:
	s_or_b64 exec, exec, s[6:7]
	s_mov_b64 s[6:7], s[2:3]
	s_branch .LBB9_12
.LBB9_9:
	v_cmp_gt_i32_e32 vcc, s14, v2
	s_andn2_b64 s[2:3], s[6:7], exec
	s_and_b64 s[4:5], vcc, exec
	s_or_b64 s[6:7], s[2:3], s[4:5]
	s_and_b64 exec, exec, s[6:7]
	s_cbranch_execnz .LBB9_13
.LBB9_10:
	s_endpgm
.LBB9_11:
                                        ; implicit-def: $vgpr1
	s_cbranch_execnz .LBB9_9
.LBB9_12:
	v_mov_b32_e32 v2, v1
	s_and_b64 exec, exec, s[6:7]
	s_cbranch_execz .LBB9_10
.LBB9_13:
	s_load_dwordx8 s[4:11], s[0:1], 0x20
	v_ashrrev_i32_e32 v3, 31, v2
	v_lshlrev_b64 v[8:9], 2, v[2:3]
	v_and_b32_e32 v3, 63, v0
	s_movk_i32 s2, 0x48
	s_waitcnt lgkmcnt(0)
	v_lshl_add_u64 v[10:11], s[4:5], 0, v[8:9]
	s_cmp_eq_u64 s[6:7], 0
	global_load_dword v12, v[10:11], off
	v_lshl_add_u64 v[10:11], v[10:11], 0, 4
	v_lshl_add_u64 v[8:9], s[6:7], 0, v[8:9]
	s_cselect_b64 vcc, -1, 0
	v_cndmask_b32_e32 v9, v9, v11, vcc
	v_cndmask_b32_e32 v8, v8, v10, vcc
	global_load_dword v8, v[8:9], off
	s_load_dwordx2 s[4:5], s[0:1], 0x40
	v_mov_b64_e32 v[0:1], s[10:11]
	s_cmp_eq_u32 s15, 1
	s_waitcnt vmcnt(1)
	v_subrev_u32_e32 v9, s12, v12
	v_add_u32_e32 v10, v9, v3
	v_mad_i64_i32 v[12:13], s[2:3], v10, s2, v[0:1]
	s_waitcnt vmcnt(0)
	v_subrev_u32_e32 v20, s12, v8
	v_cmp_lt_i32_e64 s[2:3], v10, v20
	s_cbranch_scc1 .LBB9_19
; %bb.14:
	v_mov_b64_e32 v[0:1], 0
	s_mov_b64 s[6:7], 0
	v_mov_b64_e32 v[8:9], v[0:1]
	v_mov_b64_e32 v[14:15], v[0:1]
	s_and_saveexec_b64 s[10:11], s[2:3]
	s_cbranch_execz .LBB9_18
; %bb.15:
	v_mov_b64_e32 v[0:1], 0
	s_mov_b64 s[14:15], 0
	s_mov_b64 s[16:17], 0x1200
	v_mov_b64_e32 v[16:17], v[12:13]
	v_mov_b32_e32 v18, v10
	v_mov_b64_e32 v[8:9], v[0:1]
	v_mov_b64_e32 v[14:15], v[0:1]
.LBB9_16:                               ; =>This Inner Loop Header: Depth=1
	v_ashrrev_i32_e32 v19, 31, v18
	v_lshl_add_u64 v[34:35], v[18:19], 2, s[8:9]
	global_load_dword v11, v[34:35], off
	global_load_dwordx4 v[22:25], v[16:17], off offset:48
	global_load_dwordx4 v[26:29], v[16:17], off offset:16
	global_load_dwordx4 v[30:33], v[16:17], off
	v_add_u32_e32 v18, 64, v18
	v_cmp_ge_i32_e32 vcc, v18, v20
	s_or_b64 s[14:15], vcc, s[14:15]
	s_waitcnt vmcnt(3)
	v_subrev_u32_e32 v11, s12, v11
	v_lshl_add_u32 v34, v11, 1, v11
	v_ashrrev_i32_e32 v35, 31, v34
	s_waitcnt lgkmcnt(0)
	v_lshl_add_u64 v[42:43], v[34:35], 3, s[4:5]
	global_load_dwordx4 v[34:37], v[42:43], off
	global_load_dwordx2 v[44:45], v[42:43], off offset:16
	global_load_dwordx4 v[38:41], v[16:17], off offset:32
	global_load_dwordx2 v[46:47], v[16:17], off offset:64
	v_lshl_add_u64 v[16:17], v[16:17], 0, s[16:17]
	s_waitcnt vmcnt(3)
	v_fmac_f64_e32 v[14:15], v[30:31], v[34:35]
	v_fmac_f64_e32 v[8:9], v[28:29], v[34:35]
	;; [unrolled: 1-line block ×4, first 2 shown]
	s_waitcnt vmcnt(1)
	v_fmac_f64_e32 v[8:9], v[38:39], v[36:37]
	v_fmac_f64_e32 v[0:1], v[24:25], v[36:37]
	;; [unrolled: 1-line block ×4, first 2 shown]
	s_waitcnt vmcnt(0)
	v_fmac_f64_e32 v[0:1], v[46:47], v[44:45]
	s_andn2_b64 exec, exec, s[14:15]
	s_cbranch_execnz .LBB9_16
; %bb.17:
	s_or_b64 exec, exec, s[14:15]
.LBB9_18:
	s_or_b64 exec, exec, s[10:11]
	s_andn2_b64 vcc, exec, s[6:7]
	s_cbranch_vccz .LBB9_20
	s_branch .LBB9_25
.LBB9_19:
                                        ; implicit-def: $vgpr0_vgpr1
                                        ; implicit-def: $vgpr8_vgpr9
                                        ; implicit-def: $vgpr14_vgpr15
.LBB9_20:
	v_mov_b64_e32 v[0:1], 0
	v_mov_b64_e32 v[8:9], v[0:1]
	;; [unrolled: 1-line block ×3, first 2 shown]
	s_and_saveexec_b64 s[6:7], s[2:3]
	s_cbranch_execz .LBB9_24
; %bb.21:
	v_mov_b64_e32 v[0:1], 0
	s_mov_b64 s[2:3], 0
	s_mov_b64 s[10:11], 0x1200
	v_mov_b64_e32 v[8:9], v[0:1]
	v_mov_b64_e32 v[14:15], v[0:1]
.LBB9_22:                               ; =>This Inner Loop Header: Depth=1
	v_ashrrev_i32_e32 v11, 31, v10
	v_lshl_add_u64 v[30:31], v[10:11], 2, s[8:9]
	global_load_dword v11, v[30:31], off
	global_load_dwordx4 v[16:19], v[12:13], off offset:32
	global_load_dwordx4 v[22:25], v[12:13], off offset:16
	global_load_dwordx4 v[26:29], v[12:13], off
	v_add_u32_e32 v10, 64, v10
	v_cmp_ge_i32_e32 vcc, v10, v20
	s_or_b64 s[2:3], vcc, s[2:3]
	s_waitcnt vmcnt(3)
	v_subrev_u32_e32 v11, s12, v11
	v_lshl_add_u32 v30, v11, 1, v11
	v_ashrrev_i32_e32 v31, 31, v30
	s_waitcnt lgkmcnt(0)
	v_lshl_add_u64 v[38:39], v[30:31], 3, s[4:5]
	global_load_dwordx4 v[30:33], v[38:39], off
	global_load_dwordx2 v[40:41], v[38:39], off offset:16
	global_load_dwordx4 v[34:37], v[12:13], off offset:48
	global_load_dwordx2 v[42:43], v[12:13], off offset:64
	v_lshl_add_u64 v[12:13], v[12:13], 0, s[10:11]
	s_waitcnt vmcnt(3)
	v_fmac_f64_e32 v[14:15], v[26:27], v[30:31]
	v_fmac_f64_e32 v[8:9], v[28:29], v[30:31]
	;; [unrolled: 1-line block ×6, first 2 shown]
	s_waitcnt vmcnt(1)
	v_fmac_f64_e32 v[14:15], v[34:35], v[40:41]
	v_fmac_f64_e32 v[8:9], v[36:37], v[40:41]
	s_waitcnt vmcnt(0)
	v_fmac_f64_e32 v[0:1], v[42:43], v[40:41]
	s_andn2_b64 exec, exec, s[2:3]
	s_cbranch_execnz .LBB9_22
; %bb.23:
	s_or_b64 exec, exec, s[2:3]
.LBB9_24:
	s_or_b64 exec, exec, s[6:7]
.LBB9_25:
	v_mov_b32_dpp v10, v14 row_shr:1 row_mask:0xf bank_mask:0xf
	v_mov_b32_dpp v11, v15 row_shr:1 row_mask:0xf bank_mask:0xf
	v_add_f64 v[10:11], v[14:15], v[10:11]
	v_mov_b32_dpp v14, v8 row_shr:1 row_mask:0xf bank_mask:0xf
	v_mov_b32_dpp v15, v9 row_shr:1 row_mask:0xf bank_mask:0xf
	;; [unrolled: 1-line block ×4, first 2 shown]
	v_add_f64 v[8:9], v[8:9], v[14:15]
	v_add_f64 v[0:1], v[0:1], v[16:17]
	v_mov_b32_dpp v12, v10 row_shr:2 row_mask:0xf bank_mask:0xf
	v_mov_b32_dpp v13, v11 row_shr:2 row_mask:0xf bank_mask:0xf
	v_mov_b32_dpp v14, v8 row_shr:2 row_mask:0xf bank_mask:0xf
	v_mov_b32_dpp v15, v9 row_shr:2 row_mask:0xf bank_mask:0xf
	v_mov_b32_dpp v16, v0 row_shr:2 row_mask:0xf bank_mask:0xf
	v_mov_b32_dpp v17, v1 row_shr:2 row_mask:0xf bank_mask:0xf
	v_add_f64 v[10:11], v[10:11], v[12:13]
	v_add_f64 v[8:9], v[8:9], v[14:15]
	v_add_f64 v[0:1], v[0:1], v[16:17]
	v_mov_b32_dpp v12, v10 row_shr:4 row_mask:0xf bank_mask:0xe
	v_mov_b32_dpp v13, v11 row_shr:4 row_mask:0xf bank_mask:0xe
	v_mov_b32_dpp v14, v8 row_shr:4 row_mask:0xf bank_mask:0xe
	v_mov_b32_dpp v15, v9 row_shr:4 row_mask:0xf bank_mask:0xe
	v_mov_b32_dpp v16, v0 row_shr:4 row_mask:0xf bank_mask:0xe
	v_mov_b32_dpp v17, v1 row_shr:4 row_mask:0xf bank_mask:0xe
	v_add_f64 v[10:11], v[10:11], v[12:13]
	;; [unrolled: 9-line block ×3, first 2 shown]
	v_add_f64 v[8:9], v[8:9], v[14:15]
	v_add_f64 v[0:1], v[0:1], v[16:17]
	v_mov_b32_dpp v12, v10 row_bcast:15 row_mask:0xa bank_mask:0xf
	v_mov_b32_dpp v13, v11 row_bcast:15 row_mask:0xa bank_mask:0xf
	;; [unrolled: 1-line block ×6, first 2 shown]
	v_add_f64 v[10:11], v[10:11], v[12:13]
	v_add_f64 v[8:9], v[8:9], v[14:15]
	;; [unrolled: 1-line block ×3, first 2 shown]
	v_mov_b32_dpp v12, v10 row_bcast:31 row_mask:0xc bank_mask:0xf
	v_mov_b32_dpp v13, v11 row_bcast:31 row_mask:0xc bank_mask:0xf
	;; [unrolled: 1-line block ×6, first 2 shown]
	v_cmp_eq_u32_e32 vcc, 63, v3
	s_and_b64 exec, exec, vcc
	s_cbranch_execz .LBB9_10
; %bb.26:
	s_load_dwordx2 s[0:1], s[0:1], 0x50
	v_add_f64 v[10:11], v[10:11], v[12:13]
	v_add_f64 v[12:13], v[8:9], v[14:15]
	;; [unrolled: 1-line block ×3, first 2 shown]
	v_lshl_add_u32 v8, v2, 1, v2
	v_cmp_eq_f64_e32 vcc, 0, v[4:5]
	v_mul_f64 v[0:1], v[6:7], v[10:11]
	v_mul_f64 v[2:3], v[6:7], v[12:13]
	;; [unrolled: 1-line block ×3, first 2 shown]
	v_ashrrev_i32_e32 v9, 31, v8
	s_and_saveexec_b64 s[2:3], vcc
	s_xor_b64 s[2:3], exec, s[2:3]
	s_cbranch_execz .LBB9_28
; %bb.27:
	s_waitcnt lgkmcnt(0)
	v_lshl_add_u64 v[4:5], v[8:9], 3, s[0:1]
	global_store_dwordx4 v[4:5], v[0:3], off
	global_store_dwordx2 v[4:5], v[6:7], off offset:16
                                        ; implicit-def: $vgpr8
                                        ; implicit-def: $vgpr4_vgpr5
                                        ; implicit-def: $vgpr0_vgpr1
                                        ; implicit-def: $vgpr6_vgpr7
.LBB9_28:
	s_andn2_saveexec_b64 s[2:3], s[2:3]
	s_cbranch_execz .LBB9_10
; %bb.29:
	s_waitcnt lgkmcnt(0)
	v_lshl_add_u64 v[12:13], v[8:9], 3, s[0:1]
	global_load_dwordx4 v[8:11], v[12:13], off
	global_load_dwordx2 v[14:15], v[12:13], off offset:16
	s_waitcnt vmcnt(1)
	v_fmac_f64_e32 v[0:1], v[4:5], v[8:9]
	v_fmac_f64_e32 v[2:3], v[4:5], v[10:11]
	s_waitcnt vmcnt(0)
	v_fmac_f64_e32 v[6:7], v[4:5], v[14:15]
	global_store_dwordx4 v[12:13], v[0:3], off
	global_store_dwordx2 v[12:13], v[6:7], off offset:16
	s_endpgm
	.section	.rodata,"a",@progbits
	.p2align	6, 0x0
	.amdhsa_kernel _ZN9rocsparseL18bsrxmvn_3x3_kernelILj256ELj64EdiidddEEvT3_20rocsparse_direction_NS_24const_host_device_scalarIT1_EES1_PKS1_PKT2_SA_S7_PKT4_PKT5_S5_PT6_21rocsparse_index_base_b
		.amdhsa_group_segment_fixed_size 0
		.amdhsa_private_segment_fixed_size 0
		.amdhsa_kernarg_size 96
		.amdhsa_user_sgpr_count 2
		.amdhsa_user_sgpr_dispatch_ptr 0
		.amdhsa_user_sgpr_queue_ptr 0
		.amdhsa_user_sgpr_kernarg_segment_ptr 1
		.amdhsa_user_sgpr_dispatch_id 0
		.amdhsa_user_sgpr_kernarg_preload_length 0
		.amdhsa_user_sgpr_kernarg_preload_offset 0
		.amdhsa_user_sgpr_private_segment_size 0
		.amdhsa_uses_dynamic_stack 0
		.amdhsa_enable_private_segment 0
		.amdhsa_system_sgpr_workgroup_id_x 1
		.amdhsa_system_sgpr_workgroup_id_y 0
		.amdhsa_system_sgpr_workgroup_id_z 0
		.amdhsa_system_sgpr_workgroup_info 0
		.amdhsa_system_vgpr_workitem_id 0
		.amdhsa_next_free_vgpr 48
		.amdhsa_next_free_sgpr 18
		.amdhsa_accum_offset 48
		.amdhsa_reserve_vcc 1
		.amdhsa_float_round_mode_32 0
		.amdhsa_float_round_mode_16_64 0
		.amdhsa_float_denorm_mode_32 3
		.amdhsa_float_denorm_mode_16_64 3
		.amdhsa_dx10_clamp 1
		.amdhsa_ieee_mode 1
		.amdhsa_fp16_overflow 0
		.amdhsa_tg_split 0
		.amdhsa_exception_fp_ieee_invalid_op 0
		.amdhsa_exception_fp_denorm_src 0
		.amdhsa_exception_fp_ieee_div_zero 0
		.amdhsa_exception_fp_ieee_overflow 0
		.amdhsa_exception_fp_ieee_underflow 0
		.amdhsa_exception_fp_ieee_inexact 0
		.amdhsa_exception_int_div_zero 0
	.end_amdhsa_kernel
	.section	.text._ZN9rocsparseL18bsrxmvn_3x3_kernelILj256ELj64EdiidddEEvT3_20rocsparse_direction_NS_24const_host_device_scalarIT1_EES1_PKS1_PKT2_SA_S7_PKT4_PKT5_S5_PT6_21rocsparse_index_base_b,"axG",@progbits,_ZN9rocsparseL18bsrxmvn_3x3_kernelILj256ELj64EdiidddEEvT3_20rocsparse_direction_NS_24const_host_device_scalarIT1_EES1_PKS1_PKT2_SA_S7_PKT4_PKT5_S5_PT6_21rocsparse_index_base_b,comdat
.Lfunc_end9:
	.size	_ZN9rocsparseL18bsrxmvn_3x3_kernelILj256ELj64EdiidddEEvT3_20rocsparse_direction_NS_24const_host_device_scalarIT1_EES1_PKS1_PKT2_SA_S7_PKT4_PKT5_S5_PT6_21rocsparse_index_base_b, .Lfunc_end9-_ZN9rocsparseL18bsrxmvn_3x3_kernelILj256ELj64EdiidddEEvT3_20rocsparse_direction_NS_24const_host_device_scalarIT1_EES1_PKS1_PKT2_SA_S7_PKT4_PKT5_S5_PT6_21rocsparse_index_base_b
                                        ; -- End function
	.section	.AMDGPU.csdata,"",@progbits
; Kernel info:
; codeLenInByte = 1528
; NumSgprs: 24
; NumVgprs: 48
; NumAgprs: 0
; TotalNumVgprs: 48
; ScratchSize: 0
; MemoryBound: 1
; FloatMode: 240
; IeeeMode: 1
; LDSByteSize: 0 bytes/workgroup (compile time only)
; SGPRBlocks: 2
; VGPRBlocks: 5
; NumSGPRsForWavesPerEU: 24
; NumVGPRsForWavesPerEU: 48
; AccumOffset: 48
; Occupancy: 8
; WaveLimiterHint : 1
; COMPUTE_PGM_RSRC2:SCRATCH_EN: 0
; COMPUTE_PGM_RSRC2:USER_SGPR: 2
; COMPUTE_PGM_RSRC2:TRAP_HANDLER: 0
; COMPUTE_PGM_RSRC2:TGID_X_EN: 1
; COMPUTE_PGM_RSRC2:TGID_Y_EN: 0
; COMPUTE_PGM_RSRC2:TGID_Z_EN: 0
; COMPUTE_PGM_RSRC2:TIDIG_COMP_CNT: 0
; COMPUTE_PGM_RSRC3_GFX90A:ACCUM_OFFSET: 11
; COMPUTE_PGM_RSRC3_GFX90A:TG_SPLIT: 0
	.section	.text._ZN9rocsparseL18bsrxmvn_3x3_kernelILj256ELj4E21rocsparse_complex_numIfEiiS2_S2_S2_EEvT3_20rocsparse_direction_NS_24const_host_device_scalarIT1_EES3_PKS3_PKT2_SC_S9_PKT4_PKT5_S7_PT6_21rocsparse_index_base_b,"axG",@progbits,_ZN9rocsparseL18bsrxmvn_3x3_kernelILj256ELj4E21rocsparse_complex_numIfEiiS2_S2_S2_EEvT3_20rocsparse_direction_NS_24const_host_device_scalarIT1_EES3_PKS3_PKT2_SC_S9_PKT4_PKT5_S7_PT6_21rocsparse_index_base_b,comdat
	.globl	_ZN9rocsparseL18bsrxmvn_3x3_kernelILj256ELj4E21rocsparse_complex_numIfEiiS2_S2_S2_EEvT3_20rocsparse_direction_NS_24const_host_device_scalarIT1_EES3_PKS3_PKT2_SC_S9_PKT4_PKT5_S7_PT6_21rocsparse_index_base_b ; -- Begin function _ZN9rocsparseL18bsrxmvn_3x3_kernelILj256ELj4E21rocsparse_complex_numIfEiiS2_S2_S2_EEvT3_20rocsparse_direction_NS_24const_host_device_scalarIT1_EES3_PKS3_PKT2_SC_S9_PKT4_PKT5_S7_PT6_21rocsparse_index_base_b
	.p2align	8
	.type	_ZN9rocsparseL18bsrxmvn_3x3_kernelILj256ELj4E21rocsparse_complex_numIfEiiS2_S2_S2_EEvT3_20rocsparse_direction_NS_24const_host_device_scalarIT1_EES3_PKS3_PKT2_SC_S9_PKT4_PKT5_S7_PT6_21rocsparse_index_base_b,@function
_ZN9rocsparseL18bsrxmvn_3x3_kernelILj256ELj4E21rocsparse_complex_numIfEiiS2_S2_S2_EEvT3_20rocsparse_direction_NS_24const_host_device_scalarIT1_EES3_PKS3_PKT2_SC_S9_PKT4_PKT5_S7_PT6_21rocsparse_index_base_b: ; @_ZN9rocsparseL18bsrxmvn_3x3_kernelILj256ELj4E21rocsparse_complex_numIfEiiS2_S2_S2_EEvT3_20rocsparse_direction_NS_24const_host_device_scalarIT1_EES3_PKS3_PKT2_SC_S9_PKT4_PKT5_S7_PT6_21rocsparse_index_base_b
; %bb.0:
	s_load_dwordx2 s[12:13], s[0:1], 0x58
	s_load_dwordx2 s[8:9], s[0:1], 0x8
	;; [unrolled: 1-line block ×3, first 2 shown]
	s_waitcnt lgkmcnt(0)
	s_bitcmp1_b32 s13, 0
	s_cselect_b64 s[4:5], -1, 0
	s_xor_b64 s[10:11], s[4:5], -1
	s_and_b64 vcc, exec, s[4:5]
	v_mov_b32_e32 v2, s8
	s_cbranch_vccnz .LBB10_2
; %bb.1:
	v_mov_b64_e32 v[2:3], s[8:9]
	flat_load_dword v2, v[2:3]
.LBB10_2:
	v_cndmask_b32_e64 v1, 0, 1, s[10:11]
	v_cmp_ne_u32_e64 s[4:5], 1, v1
	s_andn2_b64 vcc, exec, s[10:11]
	v_mov_b32_e32 v3, s9
	s_cbranch_vccz .LBB10_15
; %bb.3:
	s_and_b64 vcc, exec, s[4:5]
	v_mov_b32_e32 v4, s6
	s_cbranch_vccz .LBB10_16
.LBB10_4:
	s_and_b64 vcc, exec, s[4:5]
	v_mov_b32_e32 v5, s7
	s_cbranch_vccnz .LBB10_6
.LBB10_5:
	v_mov_b64_e32 v[6:7], s[6:7]
	flat_load_dword v5, v[6:7] offset:4
.LBB10_6:
	s_waitcnt vmcnt(0) lgkmcnt(0)
	v_and_b32_e32 v1, 0x7fffffff, v2
	v_cmp_eq_u32_e32 vcc, 0, v1
	v_cmp_eq_f32_e64 s[4:5], 0, v3
	s_and_b64 s[8:9], vcc, s[4:5]
	s_mov_b64 s[4:5], -1
	s_and_saveexec_b64 s[6:7], s[8:9]
; %bb.7:
	v_and_b32_e32 v1, 0x7fffffff, v5
	v_cmp_neq_f32_e32 vcc, 1.0, v4
	v_cmp_ne_u32_e64 s[4:5], 0, v1
	s_or_b64 s[4:5], vcc, s[4:5]
	s_orn2_b64 s[4:5], s[4:5], exec
; %bb.8:
	s_or_b64 exec, exec, s[6:7]
	s_and_saveexec_b64 s[6:7], s[4:5]
	s_cbranch_execz .LBB10_14
; %bb.9:
	s_load_dwordx2 s[4:5], s[0:1], 0x18
	s_load_dwordx2 s[14:15], s[0:1], 0x0
	v_lshrrev_b32_e32 v1, 2, v0
	v_lshl_or_b32 v6, s2, 6, v1
	s_mov_b64 s[2:3], 0
	s_waitcnt lgkmcnt(0)
	s_cmp_lg_u64 s[4:5], 0
	s_cbranch_scc0 .LBB10_17
; %bb.10:
	s_load_dword s6, s[0:1], 0x10
                                        ; implicit-def: $vgpr1
	s_waitcnt lgkmcnt(0)
	v_cmp_gt_i32_e32 vcc, s6, v6
	s_and_saveexec_b64 s[6:7], vcc
	s_xor_b64 s[6:7], exec, s[6:7]
	s_cbranch_execz .LBB10_12
; %bb.11:
	v_ashrrev_i32_e32 v7, 31, v6
	v_lshl_add_u64 v[8:9], v[6:7], 2, s[4:5]
	global_load_dword v1, v[8:9], off
	s_mov_b64 s[2:3], exec
	s_waitcnt vmcnt(0)
	v_subrev_u32_e32 v1, s12, v1
.LBB10_12:
	s_or_b64 exec, exec, s[6:7]
	s_branch .LBB10_18
.LBB10_13:
	v_cmp_gt_i32_e32 vcc, s14, v6
	s_andn2_b64 s[2:3], s[2:3], exec
	s_and_b64 s[4:5], vcc, exec
	s_or_b64 s[2:3], s[2:3], s[4:5]
	s_and_b64 exec, exec, s[2:3]
	s_cbranch_execnz .LBB10_19
.LBB10_14:
	s_endpgm
.LBB10_15:
	v_mov_b64_e32 v[4:5], s[8:9]
	flat_load_dword v3, v[4:5] offset:4
	s_and_b64 vcc, exec, s[4:5]
	v_mov_b32_e32 v4, s6
	s_cbranch_vccnz .LBB10_4
.LBB10_16:
	v_mov_b64_e32 v[4:5], s[6:7]
	flat_load_dword v4, v[4:5]
	s_and_b64 vcc, exec, s[4:5]
	v_mov_b32_e32 v5, s7
	s_cbranch_vccz .LBB10_5
	s_branch .LBB10_6
.LBB10_17:
                                        ; implicit-def: $vgpr1
	s_cbranch_execnz .LBB10_13
.LBB10_18:
	v_mov_b32_e32 v6, v1
	s_and_b64 exec, exec, s[2:3]
	s_cbranch_execz .LBB10_14
.LBB10_19:
	s_load_dwordx8 s[4:11], s[0:1], 0x20
	v_ashrrev_i32_e32 v7, 31, v6
	v_lshlrev_b64 v[8:9], 2, v[6:7]
	v_and_b32_e32 v7, 3, v0
	s_movk_i32 s2, 0x48
	s_waitcnt lgkmcnt(0)
	v_lshl_add_u64 v[10:11], s[4:5], 0, v[8:9]
	s_cmp_eq_u64 s[6:7], 0
	global_load_dword v1, v[10:11], off
	v_lshl_add_u64 v[10:11], v[10:11], 0, 4
	v_lshl_add_u64 v[8:9], s[6:7], 0, v[8:9]
	s_cselect_b64 vcc, -1, 0
	v_cndmask_b32_e32 v9, v9, v11, vcc
	v_cndmask_b32_e32 v8, v8, v10, vcc
	global_load_dword v10, v[8:9], off
	s_load_dwordx2 s[4:5], s[0:1], 0x40
	v_mov_b64_e32 v[8:9], s[10:11]
	s_cmp_eq_u32 s15, 1
	s_waitcnt vmcnt(1)
	v_subrev_u32_e32 v0, s12, v1
	v_add_u32_e32 v0, v0, v7
	v_mad_i64_i32 v[8:9], s[2:3], v0, s2, v[8:9]
	s_waitcnt vmcnt(0)
	v_subrev_u32_e32 v20, s12, v10
	v_cmp_lt_i32_e64 s[2:3], v0, v20
	s_cbranch_scc1 .LBB10_25
; %bb.20:
	v_mov_b32_e32 v15, 0
	v_mov_b32_e32 v14, v15
	;; [unrolled: 1-line block ×6, first 2 shown]
	s_and_saveexec_b64 s[6:7], s[2:3]
	s_cbranch_execz .LBB10_24
; %bb.21:
	v_mov_b32_e32 v10, 0
	s_mov_b64 s[10:11], 0
	s_mov_b64 s[14:15], 0x120
	v_mov_b32_e32 v16, v0
	v_mov_b64_e32 v[18:19], v[8:9]
	v_mov_b32_e32 v11, v10
	v_mov_b32_e32 v12, v10
	;; [unrolled: 1-line block ×5, first 2 shown]
.LBB10_22:                              ; =>This Inner Loop Header: Depth=1
	v_ashrrev_i32_e32 v17, 31, v16
	v_lshl_add_u64 v[34:35], v[16:17], 2, s[8:9]
	global_load_dword v1, v[34:35], off
	global_load_dwordx4 v[22:25], v[18:19], off offset:48
	global_load_dwordx4 v[26:29], v[18:19], off offset:16
	global_load_dwordx4 v[30:33], v[18:19], off
	v_add_u32_e32 v16, 4, v16
	v_cmp_ge_i32_e32 vcc, v16, v20
	s_or_b64 s[10:11], vcc, s[10:11]
	s_waitcnt vmcnt(3)
	v_subrev_u32_e32 v1, s12, v1
	v_lshl_add_u32 v34, v1, 1, v1
	v_ashrrev_i32_e32 v35, 31, v34
	s_waitcnt lgkmcnt(0)
	v_lshl_add_u64 v[42:43], v[34:35], 3, s[4:5]
	global_load_dwordx2 v[44:45], v[42:43], off offset:16
	global_load_dwordx4 v[34:37], v[42:43], off
	global_load_dwordx4 v[38:41], v[18:19], off offset:32
	global_load_dwordx2 v[46:47], v[18:19], off offset:64
	s_waitcnt vmcnt(5)
	v_xor_b32_e32 v48, 0x80000000, v29
	v_mov_b32_e32 v49, v28
	s_waitcnt vmcnt(4)
	v_xor_b32_e32 v42, 0x80000000, v33
	v_mov_b32_e32 v43, v32
	v_xor_b32_e32 v52, 0x80000000, v25
	v_mov_b32_e32 v53, v24
	v_lshl_add_u64 v[18:19], v[18:19], 0, s[14:15]
	s_waitcnt vmcnt(2)
	v_pk_fma_f32 v[14:15], v[30:31], v[34:35], v[14:15] op_sel_hi:[1,0,1]
	v_pk_fma_f32 v[10:11], v[28:29], v[34:35], v[10:11] op_sel_hi:[1,0,1]
	;; [unrolled: 1-line block ×3, first 2 shown]
	v_pk_fma_f32 v[14:15], v[30:31], v[34:35], v[14:15] op_sel:[1,1,0] op_sel_hi:[0,1,1] neg_lo:[1,0,0]
	v_pk_fma_f32 v[10:11], v[48:49], v[34:35], v[10:11] op_sel:[0,1,0]
	v_pk_fma_f32 v[12:13], v[22:23], v[34:35], v[12:13] op_sel:[1,1,0] op_sel_hi:[0,1,1] neg_lo:[1,0,0]
	v_mov_b32_e32 v54, v37
	v_pk_fma_f32 v[14:15], v[32:33], v[36:37], v[14:15] op_sel_hi:[1,0,1]
	s_waitcnt vmcnt(1)
	v_pk_fma_f32 v[10:11], v[38:39], v[36:37], v[10:11] op_sel_hi:[1,0,1]
	v_pk_fma_f32 v[12:13], v[24:25], v[36:37], v[12:13] op_sel_hi:[1,0,1]
	;; [unrolled: 1-line block ×3, first 2 shown]
	v_pk_fma_f32 v[10:11], v[38:39], v[54:55], v[10:11] op_sel:[1,0,0] op_sel_hi:[0,0,1] neg_lo:[1,0,0]
	v_pk_fma_f32 v[12:13], v[52:53], v[54:55], v[12:13] op_sel_hi:[1,0,1]
	v_xor_b32_e32 v50, 0x80000000, v41
	v_mov_b32_e32 v51, v40
	v_pk_fma_f32 v[14:15], v[26:27], v[44:45], v[14:15] op_sel_hi:[1,0,1]
	v_pk_fma_f32 v[10:11], v[40:41], v[44:45], v[10:11] op_sel_hi:[1,0,1]
	s_waitcnt vmcnt(0)
	v_pk_fma_f32 v[12:13], v[46:47], v[44:45], v[12:13] op_sel_hi:[1,0,1]
	v_pk_fma_f32 v[14:15], v[26:27], v[44:45], v[14:15] op_sel:[1,1,0] op_sel_hi:[0,1,1] neg_lo:[1,0,0]
	v_pk_fma_f32 v[10:11], v[50:51], v[44:45], v[10:11] op_sel:[0,1,0]
	v_pk_fma_f32 v[12:13], v[46:47], v[44:45], v[12:13] op_sel:[1,1,0] op_sel_hi:[0,1,1] neg_lo:[1,0,0]
	s_andn2_b64 exec, exec, s[10:11]
	s_cbranch_execnz .LBB10_22
; %bb.23:
	s_or_b64 exec, exec, s[10:11]
.LBB10_24:
	s_or_b64 exec, exec, s[6:7]
	s_cbranch_execz .LBB10_26
	s_branch .LBB10_31
.LBB10_25:
                                        ; implicit-def: $vgpr15
                                        ; implicit-def: $vgpr13
                                        ; implicit-def: $vgpr11
.LBB10_26:
	v_mov_b32_e32 v15, 0
	v_mov_b32_e32 v14, v15
	;; [unrolled: 1-line block ×6, first 2 shown]
	s_and_saveexec_b64 s[6:7], s[2:3]
	s_cbranch_execz .LBB10_30
; %bb.27:
	v_mov_b32_e32 v10, 0
	s_mov_b64 s[2:3], 0
	s_mov_b64 s[10:11], 0x120
	v_mov_b32_e32 v11, v10
	v_mov_b32_e32 v12, v10
	;; [unrolled: 1-line block ×5, first 2 shown]
.LBB10_28:                              ; =>This Inner Loop Header: Depth=1
	v_ashrrev_i32_e32 v1, 31, v0
	v_lshl_add_u64 v[30:31], v[0:1], 2, s[8:9]
	global_load_dword v1, v[30:31], off
	global_load_dwordx4 v[16:19], v[8:9], off offset:48
	global_load_dwordx4 v[22:25], v[8:9], off offset:16
	global_load_dwordx4 v[26:29], v[8:9], off
	v_add_u32_e32 v0, 4, v0
	v_cmp_ge_i32_e32 vcc, v0, v20
	s_or_b64 s[2:3], vcc, s[2:3]
	s_waitcnt vmcnt(3)
	v_subrev_u32_e32 v1, s12, v1
	v_lshl_add_u32 v30, v1, 1, v1
	v_ashrrev_i32_e32 v31, 31, v30
	s_waitcnt lgkmcnt(0)
	v_lshl_add_u64 v[38:39], v[30:31], 3, s[4:5]
	global_load_dwordx2 v[40:41], v[38:39], off offset:16
	global_load_dwordx4 v[30:33], v[38:39], off
	global_load_dwordx4 v[34:37], v[8:9], off offset:32
	global_load_dwordx2 v[42:43], v[8:9], off offset:64
	s_waitcnt vmcnt(4)
	v_xor_b32_e32 v44, 0x80000000, v29
	v_mov_b32_e32 v45, v28
	v_xor_b32_e32 v38, 0x80000000, v25
	v_mov_b32_e32 v39, v24
	v_xor_b32_e32 v46, 0x80000000, v19
	v_mov_b32_e32 v47, v18
	v_lshl_add_u64 v[8:9], v[8:9], 0, s[10:11]
	s_waitcnt vmcnt(2)
	v_pk_fma_f32 v[14:15], v[26:27], v[30:31], v[14:15] op_sel_hi:[1,0,1]
	v_pk_fma_f32 v[10:11], v[28:29], v[30:31], v[10:11] op_sel_hi:[1,0,1]
	;; [unrolled: 1-line block ×3, first 2 shown]
	v_pk_fma_f32 v[14:15], v[26:27], v[30:31], v[14:15] op_sel:[1,1,0] op_sel_hi:[0,1,1] neg_lo:[1,0,0]
	v_pk_fma_f32 v[10:11], v[44:45], v[30:31], v[10:11] op_sel:[0,1,0]
	v_pk_fma_f32 v[12:13], v[22:23], v[30:31], v[12:13] op_sel:[1,1,0] op_sel_hi:[0,1,1] neg_lo:[1,0,0]
	s_waitcnt vmcnt(1)
	v_xor_b32_e32 v48, 0x80000000, v37
	v_mov_b32_e32 v49, v36
	v_mov_b32_e32 v50, v33
	v_pk_fma_f32 v[14:15], v[24:25], v[32:33], v[14:15] op_sel_hi:[1,0,1]
	v_pk_fma_f32 v[10:11], v[34:35], v[32:33], v[10:11] op_sel_hi:[1,0,1]
	;; [unrolled: 1-line block ×4, first 2 shown]
	v_pk_fma_f32 v[10:11], v[34:35], v[50:51], v[10:11] op_sel:[1,0,0] op_sel_hi:[0,0,1] neg_lo:[1,0,0]
	v_pk_fma_f32 v[12:13], v[48:49], v[50:51], v[12:13] op_sel_hi:[1,0,1]
	v_pk_fma_f32 v[14:15], v[16:17], v[40:41], v[14:15] op_sel_hi:[1,0,1]
	;; [unrolled: 1-line block ×3, first 2 shown]
	s_waitcnt vmcnt(0)
	v_pk_fma_f32 v[12:13], v[42:43], v[40:41], v[12:13] op_sel_hi:[1,0,1]
	v_pk_fma_f32 v[14:15], v[16:17], v[40:41], v[14:15] op_sel:[1,1,0] op_sel_hi:[0,1,1] neg_lo:[1,0,0]
	v_pk_fma_f32 v[10:11], v[46:47], v[40:41], v[10:11] op_sel:[0,1,0]
	v_pk_fma_f32 v[12:13], v[42:43], v[40:41], v[12:13] op_sel:[1,1,0] op_sel_hi:[0,1,1] neg_lo:[1,0,0]
	s_andn2_b64 exec, exec, s[2:3]
	s_cbranch_execnz .LBB10_28
; %bb.29:
	s_or_b64 exec, exec, s[2:3]
.LBB10_30:
	s_or_b64 exec, exec, s[6:7]
.LBB10_31:
	v_mov_b32_dpp v0, v14 row_shr:1 row_mask:0xf bank_mask:0xf
	v_mov_b32_dpp v8, v15 row_shr:1 row_mask:0xf bank_mask:0xf
	;; [unrolled: 1-line block ×3, first 2 shown]
	v_add_f32_e32 v0, v14, v0
	v_add_f32_e32 v8, v15, v8
	v_mov_b32_dpp v14, v10 row_shr:1 row_mask:0xf bank_mask:0xf
	v_mov_b32_dpp v15, v11 row_shr:1 row_mask:0xf bank_mask:0xf
	v_add_f32_e32 v17, v12, v16
	v_mov_b32_dpp v12, v13 row_shr:1 row_mask:0xf bank_mask:0xf
	v_add_f32_e32 v10, v10, v14
	v_add_f32_e32 v11, v11, v15
	;; [unrolled: 1-line block ×3, first 2 shown]
	v_mov_b32_dpp v1, v0 row_shr:2 row_mask:0xf bank_mask:0xf
	v_mov_b32_dpp v9, v8 row_shr:2 row_mask:0xf bank_mask:0xf
	;; [unrolled: 1-line block ×6, first 2 shown]
	v_cmp_eq_u32_e32 vcc, 3, v7
	s_and_b64 exec, exec, vcc
	s_cbranch_execz .LBB10_14
; %bb.32:
	s_load_dwordx2 s[2:3], s[0:1], 0x50
	v_add_f32_e32 v12, v0, v1
	v_and_b32_e32 v1, 0x7fffffff, v4
	v_cmp_eq_u32_e32 vcc, 0, v1
	v_cmp_eq_f32_e64 s[0:1], 0, v5
	v_lshl_add_u32 v6, v6, 1, v6
	v_add_f32_e32 v16, v8, v9
	v_add_f32_e32 v10, v10, v14
	;; [unrolled: 1-line block ×5, first 2 shown]
	s_and_b64 s[0:1], vcc, s[0:1]
	v_ashrrev_i32_e32 v7, 31, v6
	s_waitcnt lgkmcnt(0)
	s_and_saveexec_b64 s[4:5], s[0:1]
	s_xor_b64 s[0:1], exec, s[4:5]
	s_cbranch_execz .LBB10_34
; %bb.33:
	v_xor_b32_e32 v18, 0x80000000, v3
	v_mov_b32_e32 v19, v2
	v_lshl_add_u64 v[20:21], v[6:7], 3, s[2:3]
	v_pk_mul_f32 v[4:5], v[16:17], v[18:19] op_sel_hi:[0,1]
	v_pk_mul_f32 v[6:7], v[14:15], v[18:19] op_sel_hi:[0,1]
	v_pk_fma_f32 v[4:5], v[2:3], v[12:13], v[4:5] op_sel_hi:[1,0,1]
	v_pk_fma_f32 v[6:7], v[2:3], v[10:11], v[6:7] op_sel_hi:[1,0,1]
	global_store_dwordx4 v[20:21], v[4:7], off
                                        ; implicit-def: $vgpr12
                                        ; implicit-def: $vgpr16
                                        ; implicit-def: $vgpr10
                                        ; implicit-def: $vgpr14
                                        ; implicit-def: $vgpr6
	s_nop 1
	v_pk_mul_f32 v[4:5], v[8:9], v[18:19] op_sel_hi:[0,1]
	v_pk_fma_f32 v[0:1], v[2:3], v[0:1], v[4:5] op_sel_hi:[1,0,1]
	global_store_dwordx2 v[20:21], v[0:1], off offset:16
                                        ; implicit-def: $vgpr3
                                        ; implicit-def: $vgpr4
                                        ; implicit-def: $vgpr0
                                        ; implicit-def: $vgpr8
.LBB10_34:
	s_andn2_saveexec_b64 s[0:1], s[0:1]
	s_cbranch_execz .LBB10_14
; %bb.35:
	v_lshl_add_u64 v[6:7], v[6:7], 3, s[2:3]
	global_load_dwordx4 v[18:21], v[6:7], off
	global_load_dwordx2 v[22:23], v[6:7], off offset:16
	v_xor_b32_e32 v24, 0x80000000, v3
	v_mov_b32_e32 v25, v2
	v_pk_mul_f32 v[16:17], v[16:17], v[24:25] op_sel_hi:[0,1]
	v_pk_mul_f32 v[14:15], v[14:15], v[24:25] op_sel_hi:[0,1]
	;; [unrolled: 1-line block ×3, first 2 shown]
	v_pk_fma_f32 v[12:13], v[2:3], v[12:13], v[16:17] op_sel_hi:[1,0,1]
	v_pk_fma_f32 v[10:11], v[2:3], v[10:11], v[14:15] op_sel_hi:[1,0,1]
	v_xor_b32_e32 v26, 0x80000000, v5
	v_mov_b32_e32 v27, v4
	v_pk_fma_f32 v[0:1], v[2:3], v[0:1], v[8:9] op_sel_hi:[1,0,1]
	s_waitcnt vmcnt(1)
	v_pk_fma_f32 v[2:3], v[4:5], v[18:19], v[12:13] op_sel_hi:[1,0,1]
	v_pk_fma_f32 v[8:9], v[4:5], v[20:21], v[10:11] op_sel_hi:[1,0,1]
	v_mov_b32_e32 v10, v21
	s_waitcnt vmcnt(0)
	v_pk_fma_f32 v[4:5], v[4:5], v[22:23], v[0:1] op_sel_hi:[1,0,1]
	v_pk_fma_f32 v[0:1], v[26:27], v[18:19], v[2:3] op_sel:[0,1,0]
	v_pk_fma_f32 v[2:3], v[26:27], v[10:11], v[8:9] op_sel_hi:[1,0,1]
	v_pk_fma_f32 v[4:5], v[26:27], v[22:23], v[4:5] op_sel:[0,1,0]
	global_store_dwordx4 v[6:7], v[0:3], off
	global_store_dwordx2 v[6:7], v[4:5], off offset:16
	s_endpgm
	.section	.rodata,"a",@progbits
	.p2align	6, 0x0
	.amdhsa_kernel _ZN9rocsparseL18bsrxmvn_3x3_kernelILj256ELj4E21rocsparse_complex_numIfEiiS2_S2_S2_EEvT3_20rocsparse_direction_NS_24const_host_device_scalarIT1_EES3_PKS3_PKT2_SC_S9_PKT4_PKT5_S7_PT6_21rocsparse_index_base_b
		.amdhsa_group_segment_fixed_size 0
		.amdhsa_private_segment_fixed_size 0
		.amdhsa_kernarg_size 96
		.amdhsa_user_sgpr_count 2
		.amdhsa_user_sgpr_dispatch_ptr 0
		.amdhsa_user_sgpr_queue_ptr 0
		.amdhsa_user_sgpr_kernarg_segment_ptr 1
		.amdhsa_user_sgpr_dispatch_id 0
		.amdhsa_user_sgpr_kernarg_preload_length 0
		.amdhsa_user_sgpr_kernarg_preload_offset 0
		.amdhsa_user_sgpr_private_segment_size 0
		.amdhsa_uses_dynamic_stack 0
		.amdhsa_enable_private_segment 0
		.amdhsa_system_sgpr_workgroup_id_x 1
		.amdhsa_system_sgpr_workgroup_id_y 0
		.amdhsa_system_sgpr_workgroup_id_z 0
		.amdhsa_system_sgpr_workgroup_info 0
		.amdhsa_system_vgpr_workitem_id 0
		.amdhsa_next_free_vgpr 56
		.amdhsa_next_free_sgpr 16
		.amdhsa_accum_offset 56
		.amdhsa_reserve_vcc 1
		.amdhsa_float_round_mode_32 0
		.amdhsa_float_round_mode_16_64 0
		.amdhsa_float_denorm_mode_32 3
		.amdhsa_float_denorm_mode_16_64 3
		.amdhsa_dx10_clamp 1
		.amdhsa_ieee_mode 1
		.amdhsa_fp16_overflow 0
		.amdhsa_tg_split 0
		.amdhsa_exception_fp_ieee_invalid_op 0
		.amdhsa_exception_fp_denorm_src 0
		.amdhsa_exception_fp_ieee_div_zero 0
		.amdhsa_exception_fp_ieee_overflow 0
		.amdhsa_exception_fp_ieee_underflow 0
		.amdhsa_exception_fp_ieee_inexact 0
		.amdhsa_exception_int_div_zero 0
	.end_amdhsa_kernel
	.section	.text._ZN9rocsparseL18bsrxmvn_3x3_kernelILj256ELj4E21rocsparse_complex_numIfEiiS2_S2_S2_EEvT3_20rocsparse_direction_NS_24const_host_device_scalarIT1_EES3_PKS3_PKT2_SC_S9_PKT4_PKT5_S7_PT6_21rocsparse_index_base_b,"axG",@progbits,_ZN9rocsparseL18bsrxmvn_3x3_kernelILj256ELj4E21rocsparse_complex_numIfEiiS2_S2_S2_EEvT3_20rocsparse_direction_NS_24const_host_device_scalarIT1_EES3_PKS3_PKT2_SC_S9_PKT4_PKT5_S7_PT6_21rocsparse_index_base_b,comdat
.Lfunc_end10:
	.size	_ZN9rocsparseL18bsrxmvn_3x3_kernelILj256ELj4E21rocsparse_complex_numIfEiiS2_S2_S2_EEvT3_20rocsparse_direction_NS_24const_host_device_scalarIT1_EES3_PKS3_PKT2_SC_S9_PKT4_PKT5_S7_PT6_21rocsparse_index_base_b, .Lfunc_end10-_ZN9rocsparseL18bsrxmvn_3x3_kernelILj256ELj4E21rocsparse_complex_numIfEiiS2_S2_S2_EEvT3_20rocsparse_direction_NS_24const_host_device_scalarIT1_EES3_PKS3_PKT2_SC_S9_PKT4_PKT5_S7_PT6_21rocsparse_index_base_b
                                        ; -- End function
	.section	.AMDGPU.csdata,"",@progbits
; Kernel info:
; codeLenInByte = 1912
; NumSgprs: 22
; NumVgprs: 56
; NumAgprs: 0
; TotalNumVgprs: 56
; ScratchSize: 0
; MemoryBound: 0
; FloatMode: 240
; IeeeMode: 1
; LDSByteSize: 0 bytes/workgroup (compile time only)
; SGPRBlocks: 2
; VGPRBlocks: 6
; NumSGPRsForWavesPerEU: 22
; NumVGPRsForWavesPerEU: 56
; AccumOffset: 56
; Occupancy: 8
; WaveLimiterHint : 1
; COMPUTE_PGM_RSRC2:SCRATCH_EN: 0
; COMPUTE_PGM_RSRC2:USER_SGPR: 2
; COMPUTE_PGM_RSRC2:TRAP_HANDLER: 0
; COMPUTE_PGM_RSRC2:TGID_X_EN: 1
; COMPUTE_PGM_RSRC2:TGID_Y_EN: 0
; COMPUTE_PGM_RSRC2:TGID_Z_EN: 0
; COMPUTE_PGM_RSRC2:TIDIG_COMP_CNT: 0
; COMPUTE_PGM_RSRC3_GFX90A:ACCUM_OFFSET: 13
; COMPUTE_PGM_RSRC3_GFX90A:TG_SPLIT: 0
	.section	.text._ZN9rocsparseL18bsrxmvn_3x3_kernelILj256ELj8E21rocsparse_complex_numIfEiiS2_S2_S2_EEvT3_20rocsparse_direction_NS_24const_host_device_scalarIT1_EES3_PKS3_PKT2_SC_S9_PKT4_PKT5_S7_PT6_21rocsparse_index_base_b,"axG",@progbits,_ZN9rocsparseL18bsrxmvn_3x3_kernelILj256ELj8E21rocsparse_complex_numIfEiiS2_S2_S2_EEvT3_20rocsparse_direction_NS_24const_host_device_scalarIT1_EES3_PKS3_PKT2_SC_S9_PKT4_PKT5_S7_PT6_21rocsparse_index_base_b,comdat
	.globl	_ZN9rocsparseL18bsrxmvn_3x3_kernelILj256ELj8E21rocsparse_complex_numIfEiiS2_S2_S2_EEvT3_20rocsparse_direction_NS_24const_host_device_scalarIT1_EES3_PKS3_PKT2_SC_S9_PKT4_PKT5_S7_PT6_21rocsparse_index_base_b ; -- Begin function _ZN9rocsparseL18bsrxmvn_3x3_kernelILj256ELj8E21rocsparse_complex_numIfEiiS2_S2_S2_EEvT3_20rocsparse_direction_NS_24const_host_device_scalarIT1_EES3_PKS3_PKT2_SC_S9_PKT4_PKT5_S7_PT6_21rocsparse_index_base_b
	.p2align	8
	.type	_ZN9rocsparseL18bsrxmvn_3x3_kernelILj256ELj8E21rocsparse_complex_numIfEiiS2_S2_S2_EEvT3_20rocsparse_direction_NS_24const_host_device_scalarIT1_EES3_PKS3_PKT2_SC_S9_PKT4_PKT5_S7_PT6_21rocsparse_index_base_b,@function
_ZN9rocsparseL18bsrxmvn_3x3_kernelILj256ELj8E21rocsparse_complex_numIfEiiS2_S2_S2_EEvT3_20rocsparse_direction_NS_24const_host_device_scalarIT1_EES3_PKS3_PKT2_SC_S9_PKT4_PKT5_S7_PT6_21rocsparse_index_base_b: ; @_ZN9rocsparseL18bsrxmvn_3x3_kernelILj256ELj8E21rocsparse_complex_numIfEiiS2_S2_S2_EEvT3_20rocsparse_direction_NS_24const_host_device_scalarIT1_EES3_PKS3_PKT2_SC_S9_PKT4_PKT5_S7_PT6_21rocsparse_index_base_b
; %bb.0:
	s_load_dwordx2 s[12:13], s[0:1], 0x58
	s_load_dwordx2 s[8:9], s[0:1], 0x8
	;; [unrolled: 1-line block ×3, first 2 shown]
	s_waitcnt lgkmcnt(0)
	s_bitcmp1_b32 s13, 0
	s_cselect_b64 s[4:5], -1, 0
	s_xor_b64 s[10:11], s[4:5], -1
	s_and_b64 vcc, exec, s[4:5]
	v_mov_b32_e32 v2, s8
	s_cbranch_vccnz .LBB11_2
; %bb.1:
	v_mov_b64_e32 v[2:3], s[8:9]
	flat_load_dword v2, v[2:3]
.LBB11_2:
	v_cndmask_b32_e64 v1, 0, 1, s[10:11]
	v_cmp_ne_u32_e64 s[4:5], 1, v1
	s_andn2_b64 vcc, exec, s[10:11]
	v_mov_b32_e32 v3, s9
	s_cbranch_vccz .LBB11_15
; %bb.3:
	s_and_b64 vcc, exec, s[4:5]
	v_mov_b32_e32 v4, s6
	s_cbranch_vccz .LBB11_16
.LBB11_4:
	s_and_b64 vcc, exec, s[4:5]
	v_mov_b32_e32 v5, s7
	s_cbranch_vccnz .LBB11_6
.LBB11_5:
	v_mov_b64_e32 v[6:7], s[6:7]
	flat_load_dword v5, v[6:7] offset:4
.LBB11_6:
	s_waitcnt vmcnt(0) lgkmcnt(0)
	v_and_b32_e32 v1, 0x7fffffff, v2
	v_cmp_eq_u32_e32 vcc, 0, v1
	v_cmp_eq_f32_e64 s[4:5], 0, v3
	s_and_b64 s[8:9], vcc, s[4:5]
	s_mov_b64 s[4:5], -1
	s_and_saveexec_b64 s[6:7], s[8:9]
; %bb.7:
	v_and_b32_e32 v1, 0x7fffffff, v5
	v_cmp_neq_f32_e32 vcc, 1.0, v4
	v_cmp_ne_u32_e64 s[4:5], 0, v1
	s_or_b64 s[4:5], vcc, s[4:5]
	s_orn2_b64 s[4:5], s[4:5], exec
; %bb.8:
	s_or_b64 exec, exec, s[6:7]
	s_and_saveexec_b64 s[6:7], s[4:5]
	s_cbranch_execz .LBB11_14
; %bb.9:
	s_load_dwordx2 s[4:5], s[0:1], 0x18
	s_load_dwordx2 s[14:15], s[0:1], 0x0
	v_lshrrev_b32_e32 v1, 3, v0
	v_lshl_or_b32 v6, s2, 5, v1
	s_mov_b64 s[2:3], 0
	s_waitcnt lgkmcnt(0)
	s_cmp_lg_u64 s[4:5], 0
	s_cbranch_scc0 .LBB11_17
; %bb.10:
	s_load_dword s6, s[0:1], 0x10
                                        ; implicit-def: $vgpr1
	s_waitcnt lgkmcnt(0)
	v_cmp_gt_i32_e32 vcc, s6, v6
	s_and_saveexec_b64 s[6:7], vcc
	s_xor_b64 s[6:7], exec, s[6:7]
	s_cbranch_execz .LBB11_12
; %bb.11:
	v_ashrrev_i32_e32 v7, 31, v6
	v_lshl_add_u64 v[8:9], v[6:7], 2, s[4:5]
	global_load_dword v1, v[8:9], off
	s_mov_b64 s[2:3], exec
	s_waitcnt vmcnt(0)
	v_subrev_u32_e32 v1, s12, v1
.LBB11_12:
	s_or_b64 exec, exec, s[6:7]
	s_branch .LBB11_18
.LBB11_13:
	v_cmp_gt_i32_e32 vcc, s14, v6
	s_andn2_b64 s[2:3], s[2:3], exec
	s_and_b64 s[4:5], vcc, exec
	s_or_b64 s[2:3], s[2:3], s[4:5]
	s_and_b64 exec, exec, s[2:3]
	s_cbranch_execnz .LBB11_19
.LBB11_14:
	s_endpgm
.LBB11_15:
	v_mov_b64_e32 v[4:5], s[8:9]
	flat_load_dword v3, v[4:5] offset:4
	s_and_b64 vcc, exec, s[4:5]
	v_mov_b32_e32 v4, s6
	s_cbranch_vccnz .LBB11_4
.LBB11_16:
	v_mov_b64_e32 v[4:5], s[6:7]
	flat_load_dword v4, v[4:5]
	s_and_b64 vcc, exec, s[4:5]
	v_mov_b32_e32 v5, s7
	s_cbranch_vccz .LBB11_5
	s_branch .LBB11_6
.LBB11_17:
                                        ; implicit-def: $vgpr1
	s_cbranch_execnz .LBB11_13
.LBB11_18:
	v_mov_b32_e32 v6, v1
	s_and_b64 exec, exec, s[2:3]
	s_cbranch_execz .LBB11_14
.LBB11_19:
	s_load_dwordx8 s[4:11], s[0:1], 0x20
	v_ashrrev_i32_e32 v7, 31, v6
	v_lshlrev_b64 v[8:9], 2, v[6:7]
	v_and_b32_e32 v7, 7, v0
	s_movk_i32 s2, 0x48
	s_waitcnt lgkmcnt(0)
	v_lshl_add_u64 v[10:11], s[4:5], 0, v[8:9]
	s_cmp_eq_u64 s[6:7], 0
	global_load_dword v1, v[10:11], off
	v_lshl_add_u64 v[10:11], v[10:11], 0, 4
	v_lshl_add_u64 v[8:9], s[6:7], 0, v[8:9]
	s_cselect_b64 vcc, -1, 0
	v_cndmask_b32_e32 v9, v9, v11, vcc
	v_cndmask_b32_e32 v8, v8, v10, vcc
	global_load_dword v10, v[8:9], off
	s_load_dwordx2 s[4:5], s[0:1], 0x40
	v_mov_b64_e32 v[8:9], s[10:11]
	s_cmp_eq_u32 s15, 1
	s_waitcnt vmcnt(1)
	v_subrev_u32_e32 v0, s12, v1
	v_add_u32_e32 v0, v0, v7
	v_mad_i64_i32 v[8:9], s[2:3], v0, s2, v[8:9]
	s_waitcnt vmcnt(0)
	v_subrev_u32_e32 v20, s12, v10
	v_cmp_lt_i32_e64 s[2:3], v0, v20
	s_cbranch_scc1 .LBB11_25
; %bb.20:
	v_mov_b32_e32 v15, 0
	v_mov_b32_e32 v14, v15
	;; [unrolled: 1-line block ×6, first 2 shown]
	s_and_saveexec_b64 s[6:7], s[2:3]
	s_cbranch_execz .LBB11_24
; %bb.21:
	v_mov_b32_e32 v12, 0
	s_mov_b64 s[10:11], 0
	s_mov_b64 s[14:15], 0x240
	v_mov_b32_e32 v16, v0
	v_mov_b64_e32 v[18:19], v[8:9]
	v_mov_b32_e32 v13, v12
	v_mov_b32_e32 v10, v12
	;; [unrolled: 1-line block ×5, first 2 shown]
.LBB11_22:                              ; =>This Inner Loop Header: Depth=1
	v_ashrrev_i32_e32 v17, 31, v16
	v_lshl_add_u64 v[34:35], v[16:17], 2, s[8:9]
	global_load_dword v1, v[34:35], off
	global_load_dwordx4 v[22:25], v[18:19], off offset:48
	global_load_dwordx4 v[26:29], v[18:19], off offset:16
	global_load_dwordx4 v[30:33], v[18:19], off
	v_add_u32_e32 v16, 8, v16
	v_cmp_ge_i32_e32 vcc, v16, v20
	s_or_b64 s[10:11], vcc, s[10:11]
	s_waitcnt vmcnt(3)
	v_subrev_u32_e32 v1, s12, v1
	v_lshl_add_u32 v34, v1, 1, v1
	v_ashrrev_i32_e32 v35, 31, v34
	s_waitcnt lgkmcnt(0)
	v_lshl_add_u64 v[42:43], v[34:35], 3, s[4:5]
	global_load_dwordx2 v[44:45], v[42:43], off offset:16
	global_load_dwordx4 v[34:37], v[42:43], off
	global_load_dwordx4 v[38:41], v[18:19], off offset:32
	global_load_dwordx2 v[46:47], v[18:19], off offset:64
	s_waitcnt vmcnt(5)
	v_xor_b32_e32 v48, 0x80000000, v29
	v_mov_b32_e32 v49, v28
	s_waitcnt vmcnt(4)
	v_xor_b32_e32 v42, 0x80000000, v33
	v_mov_b32_e32 v43, v32
	v_xor_b32_e32 v52, 0x80000000, v25
	v_mov_b32_e32 v53, v24
	v_lshl_add_u64 v[18:19], v[18:19], 0, s[14:15]
	s_waitcnt vmcnt(2)
	v_pk_fma_f32 v[14:15], v[30:31], v[34:35], v[14:15] op_sel_hi:[1,0,1]
	v_pk_fma_f32 v[12:13], v[28:29], v[34:35], v[12:13] op_sel_hi:[1,0,1]
	;; [unrolled: 1-line block ×3, first 2 shown]
	v_pk_fma_f32 v[14:15], v[30:31], v[34:35], v[14:15] op_sel:[1,1,0] op_sel_hi:[0,1,1] neg_lo:[1,0,0]
	v_pk_fma_f32 v[12:13], v[48:49], v[34:35], v[12:13] op_sel:[0,1,0]
	v_pk_fma_f32 v[10:11], v[22:23], v[34:35], v[10:11] op_sel:[1,1,0] op_sel_hi:[0,1,1] neg_lo:[1,0,0]
	v_mov_b32_e32 v54, v37
	v_pk_fma_f32 v[14:15], v[32:33], v[36:37], v[14:15] op_sel_hi:[1,0,1]
	s_waitcnt vmcnt(1)
	v_pk_fma_f32 v[12:13], v[38:39], v[36:37], v[12:13] op_sel_hi:[1,0,1]
	v_pk_fma_f32 v[10:11], v[24:25], v[36:37], v[10:11] op_sel_hi:[1,0,1]
	;; [unrolled: 1-line block ×3, first 2 shown]
	v_pk_fma_f32 v[12:13], v[38:39], v[54:55], v[12:13] op_sel:[1,0,0] op_sel_hi:[0,0,1] neg_lo:[1,0,0]
	v_pk_fma_f32 v[10:11], v[52:53], v[54:55], v[10:11] op_sel_hi:[1,0,1]
	v_xor_b32_e32 v50, 0x80000000, v41
	v_mov_b32_e32 v51, v40
	v_pk_fma_f32 v[14:15], v[26:27], v[44:45], v[14:15] op_sel_hi:[1,0,1]
	v_pk_fma_f32 v[12:13], v[40:41], v[44:45], v[12:13] op_sel_hi:[1,0,1]
	s_waitcnt vmcnt(0)
	v_pk_fma_f32 v[10:11], v[46:47], v[44:45], v[10:11] op_sel_hi:[1,0,1]
	v_pk_fma_f32 v[14:15], v[26:27], v[44:45], v[14:15] op_sel:[1,1,0] op_sel_hi:[0,1,1] neg_lo:[1,0,0]
	v_pk_fma_f32 v[12:13], v[50:51], v[44:45], v[12:13] op_sel:[0,1,0]
	v_pk_fma_f32 v[10:11], v[46:47], v[44:45], v[10:11] op_sel:[1,1,0] op_sel_hi:[0,1,1] neg_lo:[1,0,0]
	s_andn2_b64 exec, exec, s[10:11]
	s_cbranch_execnz .LBB11_22
; %bb.23:
	s_or_b64 exec, exec, s[10:11]
.LBB11_24:
	s_or_b64 exec, exec, s[6:7]
	s_cbranch_execz .LBB11_26
	s_branch .LBB11_31
.LBB11_25:
                                        ; implicit-def: $vgpr15
                                        ; implicit-def: $vgpr11
                                        ; implicit-def: $vgpr13
.LBB11_26:
	v_mov_b32_e32 v15, 0
	v_mov_b32_e32 v14, v15
	;; [unrolled: 1-line block ×6, first 2 shown]
	s_and_saveexec_b64 s[6:7], s[2:3]
	s_cbranch_execz .LBB11_30
; %bb.27:
	v_mov_b32_e32 v12, 0
	s_mov_b64 s[2:3], 0
	s_mov_b64 s[10:11], 0x240
	v_mov_b32_e32 v13, v12
	v_mov_b32_e32 v10, v12
	;; [unrolled: 1-line block ×5, first 2 shown]
.LBB11_28:                              ; =>This Inner Loop Header: Depth=1
	v_ashrrev_i32_e32 v1, 31, v0
	v_lshl_add_u64 v[30:31], v[0:1], 2, s[8:9]
	global_load_dword v1, v[30:31], off
	global_load_dwordx4 v[16:19], v[8:9], off offset:48
	global_load_dwordx4 v[22:25], v[8:9], off offset:16
	global_load_dwordx4 v[26:29], v[8:9], off
	v_add_u32_e32 v0, 8, v0
	v_cmp_ge_i32_e32 vcc, v0, v20
	s_or_b64 s[2:3], vcc, s[2:3]
	s_waitcnt vmcnt(3)
	v_subrev_u32_e32 v1, s12, v1
	v_lshl_add_u32 v30, v1, 1, v1
	v_ashrrev_i32_e32 v31, 31, v30
	s_waitcnt lgkmcnt(0)
	v_lshl_add_u64 v[38:39], v[30:31], 3, s[4:5]
	global_load_dwordx2 v[40:41], v[38:39], off offset:16
	global_load_dwordx4 v[30:33], v[38:39], off
	global_load_dwordx4 v[34:37], v[8:9], off offset:32
	global_load_dwordx2 v[42:43], v[8:9], off offset:64
	s_waitcnt vmcnt(4)
	v_xor_b32_e32 v44, 0x80000000, v29
	v_mov_b32_e32 v45, v28
	v_xor_b32_e32 v38, 0x80000000, v25
	v_mov_b32_e32 v39, v24
	;; [unrolled: 2-line block ×3, first 2 shown]
	v_lshl_add_u64 v[8:9], v[8:9], 0, s[10:11]
	s_waitcnt vmcnt(2)
	v_pk_fma_f32 v[14:15], v[26:27], v[30:31], v[14:15] op_sel_hi:[1,0,1]
	v_pk_fma_f32 v[12:13], v[28:29], v[30:31], v[12:13] op_sel_hi:[1,0,1]
	;; [unrolled: 1-line block ×3, first 2 shown]
	v_pk_fma_f32 v[14:15], v[26:27], v[30:31], v[14:15] op_sel:[1,1,0] op_sel_hi:[0,1,1] neg_lo:[1,0,0]
	v_pk_fma_f32 v[12:13], v[44:45], v[30:31], v[12:13] op_sel:[0,1,0]
	v_pk_fma_f32 v[10:11], v[22:23], v[30:31], v[10:11] op_sel:[1,1,0] op_sel_hi:[0,1,1] neg_lo:[1,0,0]
	s_waitcnt vmcnt(1)
	v_xor_b32_e32 v48, 0x80000000, v37
	v_mov_b32_e32 v49, v36
	v_mov_b32_e32 v50, v33
	v_pk_fma_f32 v[14:15], v[24:25], v[32:33], v[14:15] op_sel_hi:[1,0,1]
	v_pk_fma_f32 v[12:13], v[34:35], v[32:33], v[12:13] op_sel_hi:[1,0,1]
	;; [unrolled: 1-line block ×4, first 2 shown]
	v_pk_fma_f32 v[12:13], v[34:35], v[50:51], v[12:13] op_sel:[1,0,0] op_sel_hi:[0,0,1] neg_lo:[1,0,0]
	v_pk_fma_f32 v[10:11], v[48:49], v[50:51], v[10:11] op_sel_hi:[1,0,1]
	v_pk_fma_f32 v[14:15], v[16:17], v[40:41], v[14:15] op_sel_hi:[1,0,1]
	;; [unrolled: 1-line block ×3, first 2 shown]
	s_waitcnt vmcnt(0)
	v_pk_fma_f32 v[10:11], v[42:43], v[40:41], v[10:11] op_sel_hi:[1,0,1]
	v_pk_fma_f32 v[14:15], v[16:17], v[40:41], v[14:15] op_sel:[1,1,0] op_sel_hi:[0,1,1] neg_lo:[1,0,0]
	v_pk_fma_f32 v[12:13], v[46:47], v[40:41], v[12:13] op_sel:[0,1,0]
	v_pk_fma_f32 v[10:11], v[42:43], v[40:41], v[10:11] op_sel:[1,1,0] op_sel_hi:[0,1,1] neg_lo:[1,0,0]
	s_andn2_b64 exec, exec, s[2:3]
	s_cbranch_execnz .LBB11_28
; %bb.29:
	s_or_b64 exec, exec, s[2:3]
.LBB11_30:
	s_or_b64 exec, exec, s[6:7]
.LBB11_31:
	v_mov_b32_dpp v0, v14 row_shr:1 row_mask:0xf bank_mask:0xf
	v_add_f32_e32 v0, v14, v0
	v_mov_b32_dpp v14, v12 row_shr:1 row_mask:0xf bank_mask:0xf
	v_add_f32_e32 v12, v12, v14
	;; [unrolled: 2-line block ×5, first 2 shown]
	v_mov_b32_dpp v1, v0 row_shr:2 row_mask:0xf bank_mask:0xf
	v_mov_b32_dpp v9, v8 row_shr:2 row_mask:0xf bank_mask:0xf
	;; [unrolled: 1-line block ×3, first 2 shown]
	v_add_f32_e32 v13, v12, v13
	v_mov_b32_dpp v12, v10 row_shr:1 row_mask:0xf bank_mask:0xf
	v_add_f32_e32 v10, v10, v12
	v_add_f32_e32 v0, v0, v1
	;; [unrolled: 1-line block ×3, first 2 shown]
	v_mov_b32_dpp v12, v10 row_shr:2 row_mask:0xf bank_mask:0xf
	v_add_f32_e32 v18, v10, v12
	v_mov_b32_dpp v10, v11 row_shr:1 row_mask:0xf bank_mask:0xf
	v_add_f32_e32 v10, v11, v10
	v_mov_b32_dpp v1, v0 row_shr:4 row_mask:0xf bank_mask:0xe
	v_mov_b32_dpp v9, v8 row_shr:4 row_mask:0xf bank_mask:0xe
	;; [unrolled: 1-line block ×3, first 2 shown]
	v_add_f32_e32 v11, v10, v11
	v_mov_b32_dpp v15, v14 row_shr:4 row_mask:0xf bank_mask:0xe
	v_mov_b32_dpp v17, v13 row_shr:4 row_mask:0xf bank_mask:0xe
	;; [unrolled: 1-line block ×4, first 2 shown]
	v_cmp_eq_u32_e32 vcc, 7, v7
	s_and_b64 exec, exec, vcc
	s_cbranch_execz .LBB11_14
; %bb.32:
	s_load_dwordx2 s[2:3], s[0:1], 0x50
	v_add_f32_e32 v12, v0, v1
	v_and_b32_e32 v1, 0x7fffffff, v4
	v_cmp_eq_u32_e32 vcc, 0, v1
	v_cmp_eq_f32_e64 s[0:1], 0, v5
	v_lshl_add_u32 v6, v6, 1, v6
	v_add_f32_e32 v16, v8, v9
	v_add_f32_e32 v10, v14, v15
	;; [unrolled: 1-line block ×5, first 2 shown]
	s_and_b64 s[0:1], vcc, s[0:1]
	v_ashrrev_i32_e32 v7, 31, v6
	s_waitcnt lgkmcnt(0)
	s_and_saveexec_b64 s[4:5], s[0:1]
	s_xor_b64 s[0:1], exec, s[4:5]
	s_cbranch_execz .LBB11_34
; %bb.33:
	v_xor_b32_e32 v18, 0x80000000, v3
	v_mov_b32_e32 v19, v2
	v_lshl_add_u64 v[20:21], v[6:7], 3, s[2:3]
	v_pk_mul_f32 v[4:5], v[16:17], v[18:19] op_sel_hi:[0,1]
	v_pk_mul_f32 v[6:7], v[14:15], v[18:19] op_sel_hi:[0,1]
	v_pk_fma_f32 v[4:5], v[2:3], v[12:13], v[4:5] op_sel_hi:[1,0,1]
	v_pk_fma_f32 v[6:7], v[2:3], v[10:11], v[6:7] op_sel_hi:[1,0,1]
	global_store_dwordx4 v[20:21], v[4:7], off
                                        ; implicit-def: $vgpr12
                                        ; implicit-def: $vgpr16
                                        ; implicit-def: $vgpr10
                                        ; implicit-def: $vgpr14
                                        ; implicit-def: $vgpr6
	s_nop 1
	v_pk_mul_f32 v[4:5], v[8:9], v[18:19] op_sel_hi:[0,1]
	v_pk_fma_f32 v[0:1], v[2:3], v[0:1], v[4:5] op_sel_hi:[1,0,1]
	global_store_dwordx2 v[20:21], v[0:1], off offset:16
                                        ; implicit-def: $vgpr3
                                        ; implicit-def: $vgpr4
                                        ; implicit-def: $vgpr0
                                        ; implicit-def: $vgpr8
.LBB11_34:
	s_andn2_saveexec_b64 s[0:1], s[0:1]
	s_cbranch_execz .LBB11_14
; %bb.35:
	v_lshl_add_u64 v[6:7], v[6:7], 3, s[2:3]
	global_load_dwordx4 v[18:21], v[6:7], off
	global_load_dwordx2 v[22:23], v[6:7], off offset:16
	v_xor_b32_e32 v24, 0x80000000, v3
	v_mov_b32_e32 v25, v2
	v_pk_mul_f32 v[16:17], v[16:17], v[24:25] op_sel_hi:[0,1]
	v_pk_mul_f32 v[14:15], v[14:15], v[24:25] op_sel_hi:[0,1]
	;; [unrolled: 1-line block ×3, first 2 shown]
	v_pk_fma_f32 v[12:13], v[2:3], v[12:13], v[16:17] op_sel_hi:[1,0,1]
	v_pk_fma_f32 v[10:11], v[2:3], v[10:11], v[14:15] op_sel_hi:[1,0,1]
	v_xor_b32_e32 v26, 0x80000000, v5
	v_mov_b32_e32 v27, v4
	v_pk_fma_f32 v[0:1], v[2:3], v[0:1], v[8:9] op_sel_hi:[1,0,1]
	s_waitcnt vmcnt(1)
	v_pk_fma_f32 v[2:3], v[4:5], v[18:19], v[12:13] op_sel_hi:[1,0,1]
	v_pk_fma_f32 v[8:9], v[4:5], v[20:21], v[10:11] op_sel_hi:[1,0,1]
	v_mov_b32_e32 v10, v21
	s_waitcnt vmcnt(0)
	v_pk_fma_f32 v[4:5], v[4:5], v[22:23], v[0:1] op_sel_hi:[1,0,1]
	v_pk_fma_f32 v[0:1], v[26:27], v[18:19], v[2:3] op_sel:[0,1,0]
	v_pk_fma_f32 v[2:3], v[26:27], v[10:11], v[8:9] op_sel_hi:[1,0,1]
	v_pk_fma_f32 v[4:5], v[26:27], v[22:23], v[4:5] op_sel:[0,1,0]
	global_store_dwordx4 v[6:7], v[0:3], off
	global_store_dwordx2 v[6:7], v[4:5], off offset:16
	s_endpgm
	.section	.rodata,"a",@progbits
	.p2align	6, 0x0
	.amdhsa_kernel _ZN9rocsparseL18bsrxmvn_3x3_kernelILj256ELj8E21rocsparse_complex_numIfEiiS2_S2_S2_EEvT3_20rocsparse_direction_NS_24const_host_device_scalarIT1_EES3_PKS3_PKT2_SC_S9_PKT4_PKT5_S7_PT6_21rocsparse_index_base_b
		.amdhsa_group_segment_fixed_size 0
		.amdhsa_private_segment_fixed_size 0
		.amdhsa_kernarg_size 96
		.amdhsa_user_sgpr_count 2
		.amdhsa_user_sgpr_dispatch_ptr 0
		.amdhsa_user_sgpr_queue_ptr 0
		.amdhsa_user_sgpr_kernarg_segment_ptr 1
		.amdhsa_user_sgpr_dispatch_id 0
		.amdhsa_user_sgpr_kernarg_preload_length 0
		.amdhsa_user_sgpr_kernarg_preload_offset 0
		.amdhsa_user_sgpr_private_segment_size 0
		.amdhsa_uses_dynamic_stack 0
		.amdhsa_enable_private_segment 0
		.amdhsa_system_sgpr_workgroup_id_x 1
		.amdhsa_system_sgpr_workgroup_id_y 0
		.amdhsa_system_sgpr_workgroup_id_z 0
		.amdhsa_system_sgpr_workgroup_info 0
		.amdhsa_system_vgpr_workitem_id 0
		.amdhsa_next_free_vgpr 56
		.amdhsa_next_free_sgpr 16
		.amdhsa_accum_offset 56
		.amdhsa_reserve_vcc 1
		.amdhsa_float_round_mode_32 0
		.amdhsa_float_round_mode_16_64 0
		.amdhsa_float_denorm_mode_32 3
		.amdhsa_float_denorm_mode_16_64 3
		.amdhsa_dx10_clamp 1
		.amdhsa_ieee_mode 1
		.amdhsa_fp16_overflow 0
		.amdhsa_tg_split 0
		.amdhsa_exception_fp_ieee_invalid_op 0
		.amdhsa_exception_fp_denorm_src 0
		.amdhsa_exception_fp_ieee_div_zero 0
		.amdhsa_exception_fp_ieee_overflow 0
		.amdhsa_exception_fp_ieee_underflow 0
		.amdhsa_exception_fp_ieee_inexact 0
		.amdhsa_exception_int_div_zero 0
	.end_amdhsa_kernel
	.section	.text._ZN9rocsparseL18bsrxmvn_3x3_kernelILj256ELj8E21rocsparse_complex_numIfEiiS2_S2_S2_EEvT3_20rocsparse_direction_NS_24const_host_device_scalarIT1_EES3_PKS3_PKT2_SC_S9_PKT4_PKT5_S7_PT6_21rocsparse_index_base_b,"axG",@progbits,_ZN9rocsparseL18bsrxmvn_3x3_kernelILj256ELj8E21rocsparse_complex_numIfEiiS2_S2_S2_EEvT3_20rocsparse_direction_NS_24const_host_device_scalarIT1_EES3_PKS3_PKT2_SC_S9_PKT4_PKT5_S7_PT6_21rocsparse_index_base_b,comdat
.Lfunc_end11:
	.size	_ZN9rocsparseL18bsrxmvn_3x3_kernelILj256ELj8E21rocsparse_complex_numIfEiiS2_S2_S2_EEvT3_20rocsparse_direction_NS_24const_host_device_scalarIT1_EES3_PKS3_PKT2_SC_S9_PKT4_PKT5_S7_PT6_21rocsparse_index_base_b, .Lfunc_end11-_ZN9rocsparseL18bsrxmvn_3x3_kernelILj256ELj8E21rocsparse_complex_numIfEiiS2_S2_S2_EEvT3_20rocsparse_direction_NS_24const_host_device_scalarIT1_EES3_PKS3_PKT2_SC_S9_PKT4_PKT5_S7_PT6_21rocsparse_index_base_b
                                        ; -- End function
	.section	.AMDGPU.csdata,"",@progbits
; Kernel info:
; codeLenInByte = 1984
; NumSgprs: 22
; NumVgprs: 56
; NumAgprs: 0
; TotalNumVgprs: 56
; ScratchSize: 0
; MemoryBound: 0
; FloatMode: 240
; IeeeMode: 1
; LDSByteSize: 0 bytes/workgroup (compile time only)
; SGPRBlocks: 2
; VGPRBlocks: 6
; NumSGPRsForWavesPerEU: 22
; NumVGPRsForWavesPerEU: 56
; AccumOffset: 56
; Occupancy: 8
; WaveLimiterHint : 1
; COMPUTE_PGM_RSRC2:SCRATCH_EN: 0
; COMPUTE_PGM_RSRC2:USER_SGPR: 2
; COMPUTE_PGM_RSRC2:TRAP_HANDLER: 0
; COMPUTE_PGM_RSRC2:TGID_X_EN: 1
; COMPUTE_PGM_RSRC2:TGID_Y_EN: 0
; COMPUTE_PGM_RSRC2:TGID_Z_EN: 0
; COMPUTE_PGM_RSRC2:TIDIG_COMP_CNT: 0
; COMPUTE_PGM_RSRC3_GFX90A:ACCUM_OFFSET: 13
; COMPUTE_PGM_RSRC3_GFX90A:TG_SPLIT: 0
	.section	.text._ZN9rocsparseL18bsrxmvn_3x3_kernelILj256ELj16E21rocsparse_complex_numIfEiiS2_S2_S2_EEvT3_20rocsparse_direction_NS_24const_host_device_scalarIT1_EES3_PKS3_PKT2_SC_S9_PKT4_PKT5_S7_PT6_21rocsparse_index_base_b,"axG",@progbits,_ZN9rocsparseL18bsrxmvn_3x3_kernelILj256ELj16E21rocsparse_complex_numIfEiiS2_S2_S2_EEvT3_20rocsparse_direction_NS_24const_host_device_scalarIT1_EES3_PKS3_PKT2_SC_S9_PKT4_PKT5_S7_PT6_21rocsparse_index_base_b,comdat
	.globl	_ZN9rocsparseL18bsrxmvn_3x3_kernelILj256ELj16E21rocsparse_complex_numIfEiiS2_S2_S2_EEvT3_20rocsparse_direction_NS_24const_host_device_scalarIT1_EES3_PKS3_PKT2_SC_S9_PKT4_PKT5_S7_PT6_21rocsparse_index_base_b ; -- Begin function _ZN9rocsparseL18bsrxmvn_3x3_kernelILj256ELj16E21rocsparse_complex_numIfEiiS2_S2_S2_EEvT3_20rocsparse_direction_NS_24const_host_device_scalarIT1_EES3_PKS3_PKT2_SC_S9_PKT4_PKT5_S7_PT6_21rocsparse_index_base_b
	.p2align	8
	.type	_ZN9rocsparseL18bsrxmvn_3x3_kernelILj256ELj16E21rocsparse_complex_numIfEiiS2_S2_S2_EEvT3_20rocsparse_direction_NS_24const_host_device_scalarIT1_EES3_PKS3_PKT2_SC_S9_PKT4_PKT5_S7_PT6_21rocsparse_index_base_b,@function
_ZN9rocsparseL18bsrxmvn_3x3_kernelILj256ELj16E21rocsparse_complex_numIfEiiS2_S2_S2_EEvT3_20rocsparse_direction_NS_24const_host_device_scalarIT1_EES3_PKS3_PKT2_SC_S9_PKT4_PKT5_S7_PT6_21rocsparse_index_base_b: ; @_ZN9rocsparseL18bsrxmvn_3x3_kernelILj256ELj16E21rocsparse_complex_numIfEiiS2_S2_S2_EEvT3_20rocsparse_direction_NS_24const_host_device_scalarIT1_EES3_PKS3_PKT2_SC_S9_PKT4_PKT5_S7_PT6_21rocsparse_index_base_b
; %bb.0:
	s_load_dwordx2 s[12:13], s[0:1], 0x58
	s_load_dwordx2 s[8:9], s[0:1], 0x8
	;; [unrolled: 1-line block ×3, first 2 shown]
	s_waitcnt lgkmcnt(0)
	s_bitcmp1_b32 s13, 0
	s_cselect_b64 s[4:5], -1, 0
	s_xor_b64 s[10:11], s[4:5], -1
	s_and_b64 vcc, exec, s[4:5]
	v_mov_b32_e32 v2, s8
	s_cbranch_vccnz .LBB12_2
; %bb.1:
	v_mov_b64_e32 v[2:3], s[8:9]
	flat_load_dword v2, v[2:3]
.LBB12_2:
	v_cndmask_b32_e64 v1, 0, 1, s[10:11]
	v_cmp_ne_u32_e64 s[4:5], 1, v1
	s_andn2_b64 vcc, exec, s[10:11]
	v_mov_b32_e32 v3, s9
	s_cbranch_vccz .LBB12_15
; %bb.3:
	s_and_b64 vcc, exec, s[4:5]
	v_mov_b32_e32 v4, s6
	s_cbranch_vccz .LBB12_16
.LBB12_4:
	s_and_b64 vcc, exec, s[4:5]
	v_mov_b32_e32 v5, s7
	s_cbranch_vccnz .LBB12_6
.LBB12_5:
	v_mov_b64_e32 v[6:7], s[6:7]
	flat_load_dword v5, v[6:7] offset:4
.LBB12_6:
	s_waitcnt vmcnt(0) lgkmcnt(0)
	v_and_b32_e32 v1, 0x7fffffff, v2
	v_cmp_eq_u32_e32 vcc, 0, v1
	v_cmp_eq_f32_e64 s[4:5], 0, v3
	s_and_b64 s[8:9], vcc, s[4:5]
	s_mov_b64 s[4:5], -1
	s_and_saveexec_b64 s[6:7], s[8:9]
; %bb.7:
	v_and_b32_e32 v1, 0x7fffffff, v5
	v_cmp_neq_f32_e32 vcc, 1.0, v4
	v_cmp_ne_u32_e64 s[4:5], 0, v1
	s_or_b64 s[4:5], vcc, s[4:5]
	s_orn2_b64 s[4:5], s[4:5], exec
; %bb.8:
	s_or_b64 exec, exec, s[6:7]
	s_and_saveexec_b64 s[6:7], s[4:5]
	s_cbranch_execz .LBB12_14
; %bb.9:
	s_load_dwordx2 s[4:5], s[0:1], 0x18
	s_load_dwordx2 s[14:15], s[0:1], 0x0
	v_lshrrev_b32_e32 v1, 4, v0
	v_lshl_or_b32 v6, s2, 4, v1
	s_mov_b64 s[2:3], 0
	s_waitcnt lgkmcnt(0)
	s_cmp_lg_u64 s[4:5], 0
	s_cbranch_scc0 .LBB12_17
; %bb.10:
	s_load_dword s6, s[0:1], 0x10
                                        ; implicit-def: $vgpr1
	s_waitcnt lgkmcnt(0)
	v_cmp_gt_i32_e32 vcc, s6, v6
	s_and_saveexec_b64 s[6:7], vcc
	s_xor_b64 s[6:7], exec, s[6:7]
	s_cbranch_execz .LBB12_12
; %bb.11:
	v_ashrrev_i32_e32 v7, 31, v6
	v_lshl_add_u64 v[8:9], v[6:7], 2, s[4:5]
	global_load_dword v1, v[8:9], off
	s_mov_b64 s[2:3], exec
	s_waitcnt vmcnt(0)
	v_subrev_u32_e32 v1, s12, v1
.LBB12_12:
	s_or_b64 exec, exec, s[6:7]
	s_branch .LBB12_18
.LBB12_13:
	v_cmp_gt_i32_e32 vcc, s14, v6
	s_andn2_b64 s[2:3], s[2:3], exec
	s_and_b64 s[4:5], vcc, exec
	s_or_b64 s[2:3], s[2:3], s[4:5]
	s_and_b64 exec, exec, s[2:3]
	s_cbranch_execnz .LBB12_19
.LBB12_14:
	s_endpgm
.LBB12_15:
	v_mov_b64_e32 v[4:5], s[8:9]
	flat_load_dword v3, v[4:5] offset:4
	s_and_b64 vcc, exec, s[4:5]
	v_mov_b32_e32 v4, s6
	s_cbranch_vccnz .LBB12_4
.LBB12_16:
	v_mov_b64_e32 v[4:5], s[6:7]
	flat_load_dword v4, v[4:5]
	s_and_b64 vcc, exec, s[4:5]
	v_mov_b32_e32 v5, s7
	s_cbranch_vccz .LBB12_5
	s_branch .LBB12_6
.LBB12_17:
                                        ; implicit-def: $vgpr1
	s_cbranch_execnz .LBB12_13
.LBB12_18:
	v_mov_b32_e32 v6, v1
	s_and_b64 exec, exec, s[2:3]
	s_cbranch_execz .LBB12_14
.LBB12_19:
	s_load_dwordx8 s[4:11], s[0:1], 0x20
	v_ashrrev_i32_e32 v7, 31, v6
	v_lshlrev_b64 v[8:9], 2, v[6:7]
	v_and_b32_e32 v7, 15, v0
	s_movk_i32 s2, 0x48
	s_waitcnt lgkmcnt(0)
	v_lshl_add_u64 v[10:11], s[4:5], 0, v[8:9]
	s_cmp_eq_u64 s[6:7], 0
	global_load_dword v12, v[10:11], off
	v_lshl_add_u64 v[10:11], v[10:11], 0, 4
	v_lshl_add_u64 v[8:9], s[6:7], 0, v[8:9]
	s_cselect_b64 vcc, -1, 0
	v_cndmask_b32_e32 v9, v9, v11, vcc
	v_cndmask_b32_e32 v8, v8, v10, vcc
	global_load_dword v9, v[8:9], off
	s_load_dwordx2 s[4:5], s[0:1], 0x40
	v_mov_b64_e32 v[0:1], s[10:11]
	s_cmp_eq_u32 s15, 1
	s_waitcnt vmcnt(1)
	v_subrev_u32_e32 v8, s12, v12
	v_add_u32_e32 v8, v8, v7
	v_mad_i64_i32 v[10:11], s[2:3], v8, s2, v[0:1]
	s_waitcnt vmcnt(0)
	v_subrev_u32_e32 v20, s12, v9
	v_cmp_lt_i32_e64 s[2:3], v8, v20
	s_cbranch_scc1 .LBB12_25
; %bb.20:
	v_mov_b32_e32 v15, 0
	v_mov_b32_e32 v14, v15
	;; [unrolled: 1-line block ×6, first 2 shown]
	s_and_saveexec_b64 s[6:7], s[2:3]
	s_cbranch_execz .LBB12_24
; %bb.21:
	v_mov_b32_e32 v12, 0
	s_mov_b64 s[10:11], 0
	s_mov_b64 s[14:15], 0x480
	v_mov_b32_e32 v16, v8
	v_mov_b64_e32 v[18:19], v[10:11]
	v_mov_b32_e32 v13, v12
	v_mov_b32_e32 v0, v12
	;; [unrolled: 1-line block ×5, first 2 shown]
.LBB12_22:                              ; =>This Inner Loop Header: Depth=1
	v_ashrrev_i32_e32 v17, 31, v16
	v_lshl_add_u64 v[34:35], v[16:17], 2, s[8:9]
	global_load_dword v9, v[34:35], off
	global_load_dwordx4 v[22:25], v[18:19], off offset:48
	global_load_dwordx4 v[26:29], v[18:19], off offset:16
	global_load_dwordx4 v[30:33], v[18:19], off
	v_add_u32_e32 v16, 16, v16
	v_cmp_ge_i32_e32 vcc, v16, v20
	s_or_b64 s[10:11], vcc, s[10:11]
	s_waitcnt vmcnt(3)
	v_subrev_u32_e32 v9, s12, v9
	v_lshl_add_u32 v34, v9, 1, v9
	v_ashrrev_i32_e32 v35, 31, v34
	s_waitcnt lgkmcnt(0)
	v_lshl_add_u64 v[42:43], v[34:35], 3, s[4:5]
	global_load_dwordx2 v[44:45], v[42:43], off offset:16
	global_load_dwordx4 v[34:37], v[42:43], off
	global_load_dwordx4 v[38:41], v[18:19], off offset:32
	global_load_dwordx2 v[46:47], v[18:19], off offset:64
	s_waitcnt vmcnt(5)
	v_xor_b32_e32 v48, 0x80000000, v29
	v_mov_b32_e32 v49, v28
	s_waitcnt vmcnt(4)
	v_xor_b32_e32 v42, 0x80000000, v33
	v_mov_b32_e32 v43, v32
	v_xor_b32_e32 v52, 0x80000000, v25
	v_mov_b32_e32 v53, v24
	v_lshl_add_u64 v[18:19], v[18:19], 0, s[14:15]
	s_waitcnt vmcnt(2)
	v_pk_fma_f32 v[14:15], v[30:31], v[34:35], v[14:15] op_sel_hi:[1,0,1]
	v_pk_fma_f32 v[12:13], v[28:29], v[34:35], v[12:13] op_sel_hi:[1,0,1]
	;; [unrolled: 1-line block ×3, first 2 shown]
	v_pk_fma_f32 v[14:15], v[30:31], v[34:35], v[14:15] op_sel:[1,1,0] op_sel_hi:[0,1,1] neg_lo:[1,0,0]
	v_pk_fma_f32 v[12:13], v[48:49], v[34:35], v[12:13] op_sel:[0,1,0]
	v_pk_fma_f32 v[0:1], v[22:23], v[34:35], v[0:1] op_sel:[1,1,0] op_sel_hi:[0,1,1] neg_lo:[1,0,0]
	v_mov_b32_e32 v54, v37
	v_pk_fma_f32 v[14:15], v[32:33], v[36:37], v[14:15] op_sel_hi:[1,0,1]
	s_waitcnt vmcnt(1)
	v_pk_fma_f32 v[12:13], v[38:39], v[36:37], v[12:13] op_sel_hi:[1,0,1]
	v_pk_fma_f32 v[0:1], v[24:25], v[36:37], v[0:1] op_sel_hi:[1,0,1]
	;; [unrolled: 1-line block ×3, first 2 shown]
	v_pk_fma_f32 v[12:13], v[38:39], v[54:55], v[12:13] op_sel:[1,0,0] op_sel_hi:[0,0,1] neg_lo:[1,0,0]
	v_pk_fma_f32 v[0:1], v[52:53], v[54:55], v[0:1] op_sel_hi:[1,0,1]
	v_xor_b32_e32 v50, 0x80000000, v41
	v_mov_b32_e32 v51, v40
	v_pk_fma_f32 v[14:15], v[26:27], v[44:45], v[14:15] op_sel_hi:[1,0,1]
	v_pk_fma_f32 v[12:13], v[40:41], v[44:45], v[12:13] op_sel_hi:[1,0,1]
	s_waitcnt vmcnt(0)
	v_pk_fma_f32 v[0:1], v[46:47], v[44:45], v[0:1] op_sel_hi:[1,0,1]
	v_pk_fma_f32 v[14:15], v[26:27], v[44:45], v[14:15] op_sel:[1,1,0] op_sel_hi:[0,1,1] neg_lo:[1,0,0]
	v_pk_fma_f32 v[12:13], v[50:51], v[44:45], v[12:13] op_sel:[0,1,0]
	v_pk_fma_f32 v[0:1], v[46:47], v[44:45], v[0:1] op_sel:[1,1,0] op_sel_hi:[0,1,1] neg_lo:[1,0,0]
	s_andn2_b64 exec, exec, s[10:11]
	s_cbranch_execnz .LBB12_22
; %bb.23:
	s_or_b64 exec, exec, s[10:11]
.LBB12_24:
	s_or_b64 exec, exec, s[6:7]
	s_cbranch_execz .LBB12_26
	s_branch .LBB12_31
.LBB12_25:
                                        ; implicit-def: $vgpr15
                                        ; implicit-def: $vgpr1
                                        ; implicit-def: $vgpr13
.LBB12_26:
	v_mov_b32_e32 v15, 0
	v_mov_b32_e32 v14, v15
	;; [unrolled: 1-line block ×6, first 2 shown]
	s_and_saveexec_b64 s[6:7], s[2:3]
	s_cbranch_execz .LBB12_30
; %bb.27:
	v_mov_b32_e32 v12, 0
	s_mov_b64 s[2:3], 0
	s_mov_b64 s[10:11], 0x480
	v_mov_b32_e32 v13, v12
	v_mov_b32_e32 v0, v12
	;; [unrolled: 1-line block ×5, first 2 shown]
.LBB12_28:                              ; =>This Inner Loop Header: Depth=1
	v_ashrrev_i32_e32 v9, 31, v8
	v_lshl_add_u64 v[30:31], v[8:9], 2, s[8:9]
	global_load_dword v9, v[30:31], off
	global_load_dwordx4 v[16:19], v[10:11], off offset:48
	global_load_dwordx4 v[22:25], v[10:11], off offset:16
	global_load_dwordx4 v[26:29], v[10:11], off
	v_add_u32_e32 v8, 16, v8
	v_cmp_ge_i32_e32 vcc, v8, v20
	s_or_b64 s[2:3], vcc, s[2:3]
	s_waitcnt vmcnt(3)
	v_subrev_u32_e32 v9, s12, v9
	v_lshl_add_u32 v30, v9, 1, v9
	v_ashrrev_i32_e32 v31, 31, v30
	s_waitcnt lgkmcnt(0)
	v_lshl_add_u64 v[38:39], v[30:31], 3, s[4:5]
	global_load_dwordx2 v[40:41], v[38:39], off offset:16
	global_load_dwordx4 v[30:33], v[38:39], off
	global_load_dwordx4 v[34:37], v[10:11], off offset:32
	global_load_dwordx2 v[42:43], v[10:11], off offset:64
	s_waitcnt vmcnt(4)
	v_xor_b32_e32 v44, 0x80000000, v29
	v_mov_b32_e32 v45, v28
	v_xor_b32_e32 v38, 0x80000000, v25
	v_mov_b32_e32 v39, v24
	;; [unrolled: 2-line block ×3, first 2 shown]
	v_lshl_add_u64 v[10:11], v[10:11], 0, s[10:11]
	s_waitcnt vmcnt(2)
	v_pk_fma_f32 v[14:15], v[26:27], v[30:31], v[14:15] op_sel_hi:[1,0,1]
	v_pk_fma_f32 v[12:13], v[28:29], v[30:31], v[12:13] op_sel_hi:[1,0,1]
	;; [unrolled: 1-line block ×3, first 2 shown]
	v_pk_fma_f32 v[14:15], v[26:27], v[30:31], v[14:15] op_sel:[1,1,0] op_sel_hi:[0,1,1] neg_lo:[1,0,0]
	v_pk_fma_f32 v[12:13], v[44:45], v[30:31], v[12:13] op_sel:[0,1,0]
	v_pk_fma_f32 v[0:1], v[22:23], v[30:31], v[0:1] op_sel:[1,1,0] op_sel_hi:[0,1,1] neg_lo:[1,0,0]
	s_waitcnt vmcnt(1)
	v_xor_b32_e32 v48, 0x80000000, v37
	v_mov_b32_e32 v49, v36
	v_mov_b32_e32 v50, v33
	v_pk_fma_f32 v[14:15], v[24:25], v[32:33], v[14:15] op_sel_hi:[1,0,1]
	v_pk_fma_f32 v[12:13], v[34:35], v[32:33], v[12:13] op_sel_hi:[1,0,1]
	;; [unrolled: 1-line block ×4, first 2 shown]
	v_pk_fma_f32 v[12:13], v[34:35], v[50:51], v[12:13] op_sel:[1,0,0] op_sel_hi:[0,0,1] neg_lo:[1,0,0]
	v_pk_fma_f32 v[0:1], v[48:49], v[50:51], v[0:1] op_sel_hi:[1,0,1]
	v_pk_fma_f32 v[14:15], v[16:17], v[40:41], v[14:15] op_sel_hi:[1,0,1]
	v_pk_fma_f32 v[12:13], v[18:19], v[40:41], v[12:13] op_sel_hi:[1,0,1]
	s_waitcnt vmcnt(0)
	v_pk_fma_f32 v[0:1], v[42:43], v[40:41], v[0:1] op_sel_hi:[1,0,1]
	v_pk_fma_f32 v[14:15], v[16:17], v[40:41], v[14:15] op_sel:[1,1,0] op_sel_hi:[0,1,1] neg_lo:[1,0,0]
	v_pk_fma_f32 v[12:13], v[46:47], v[40:41], v[12:13] op_sel:[0,1,0]
	v_pk_fma_f32 v[0:1], v[42:43], v[40:41], v[0:1] op_sel:[1,1,0] op_sel_hi:[0,1,1] neg_lo:[1,0,0]
	s_andn2_b64 exec, exec, s[2:3]
	s_cbranch_execnz .LBB12_28
; %bb.29:
	s_or_b64 exec, exec, s[2:3]
.LBB12_30:
	s_or_b64 exec, exec, s[6:7]
.LBB12_31:
	v_mov_b32_dpp v8, v14 row_shr:1 row_mask:0xf bank_mask:0xf
	v_add_f32_e32 v8, v14, v8
	v_mov_b32_dpp v14, v12 row_shr:1 row_mask:0xf bank_mask:0xf
	v_add_f32_e32 v12, v12, v14
	;; [unrolled: 2-line block ×4, first 2 shown]
	v_mov_b32_dpp v9, v8 row_shr:2 row_mask:0xf bank_mask:0xf
	v_mov_b32_dpp v11, v10 row_shr:2 row_mask:0xf bank_mask:0xf
	;; [unrolled: 1-line block ×3, first 2 shown]
	v_add_f32_e32 v14, v12, v14
	v_mov_b32_dpp v12, v13 row_shr:1 row_mask:0xf bank_mask:0xf
	v_add_f32_e32 v12, v13, v12
	v_add_f32_e32 v8, v8, v9
	;; [unrolled: 1-line block ×3, first 2 shown]
	v_mov_b32_dpp v13, v12 row_shr:2 row_mask:0xf bank_mask:0xf
	v_add_f32_e32 v12, v12, v13
	v_mov_b32_dpp v9, v8 row_shr:4 row_mask:0xf bank_mask:0xe
	v_mov_b32_dpp v11, v10 row_shr:4 row_mask:0xf bank_mask:0xe
	;; [unrolled: 1-line block ×3, first 2 shown]
	v_add_f32_e32 v13, v12, v13
	v_mov_b32_dpp v12, v0 row_shr:1 row_mask:0xf bank_mask:0xf
	v_add_f32_e32 v0, v0, v12
	v_add_f32_e32 v8, v8, v9
	v_add_f32_e32 v10, v10, v11
	v_mov_b32_dpp v12, v0 row_shr:2 row_mask:0xf bank_mask:0xf
	v_add_f32_e32 v0, v0, v12
	v_mov_b32_dpp v9, v8 row_shr:8 row_mask:0xf bank_mask:0xc
	v_mov_b32_dpp v11, v10 row_shr:8 row_mask:0xf bank_mask:0xc
	;; [unrolled: 1-line block ×3, first 2 shown]
	v_add_f32_e32 v0, v0, v12
	v_mov_b32_dpp v15, v14 row_shr:8 row_mask:0xf bank_mask:0xc
	v_mov_b32_dpp v12, v1 row_shr:1 row_mask:0xf bank_mask:0xf
	v_add_f32_e32 v1, v1, v12
	v_mov_b32_dpp v17, v13 row_shr:8 row_mask:0xf bank_mask:0xc
	v_mov_b32_dpp v18, v0 row_shr:8 row_mask:0xf bank_mask:0xc
	;; [unrolled: 1-line block ×3, first 2 shown]
	v_add_f32_e32 v1, v1, v12
	v_cmp_eq_u32_e32 vcc, 15, v7
	s_nop 0
	v_mov_b32_dpp v12, v1 row_shr:4 row_mask:0xf bank_mask:0xe
	v_add_f32_e32 v1, v1, v12
	s_nop 1
	v_mov_b32_dpp v19, v1 row_shr:8 row_mask:0xf bank_mask:0xc
	s_and_b64 exec, exec, vcc
	s_cbranch_execz .LBB12_14
; %bb.32:
	s_load_dwordx2 s[2:3], s[0:1], 0x50
	v_add_f32_e32 v12, v8, v9
	v_add_f32_e32 v8, v1, v19
	v_and_b32_e32 v1, 0x7fffffff, v4
	v_cmp_eq_u32_e32 vcc, 0, v1
	v_cmp_eq_f32_e64 s[0:1], 0, v5
	v_lshl_add_u32 v6, v6, 1, v6
	v_add_f32_e32 v16, v10, v11
	v_add_f32_e32 v10, v14, v15
	v_add_f32_e32 v14, v13, v17
	v_add_f32_e32 v0, v0, v18
	s_and_b64 s[0:1], vcc, s[0:1]
	v_ashrrev_i32_e32 v7, 31, v6
	s_waitcnt lgkmcnt(0)
	s_and_saveexec_b64 s[4:5], s[0:1]
	s_xor_b64 s[0:1], exec, s[4:5]
	s_cbranch_execz .LBB12_34
; %bb.33:
	v_xor_b32_e32 v18, 0x80000000, v3
	v_mov_b32_e32 v19, v2
	v_lshl_add_u64 v[20:21], v[6:7], 3, s[2:3]
	v_pk_mul_f32 v[4:5], v[16:17], v[18:19] op_sel_hi:[0,1]
	v_pk_mul_f32 v[6:7], v[14:15], v[18:19] op_sel_hi:[0,1]
	v_pk_fma_f32 v[4:5], v[2:3], v[12:13], v[4:5] op_sel_hi:[1,0,1]
	v_pk_fma_f32 v[6:7], v[2:3], v[10:11], v[6:7] op_sel_hi:[1,0,1]
	global_store_dwordx4 v[20:21], v[4:7], off
                                        ; implicit-def: $vgpr12
                                        ; implicit-def: $vgpr16
                                        ; implicit-def: $vgpr10
                                        ; implicit-def: $vgpr14
                                        ; implicit-def: $vgpr6
	s_nop 1
	v_pk_mul_f32 v[4:5], v[8:9], v[18:19] op_sel_hi:[0,1]
	v_pk_fma_f32 v[0:1], v[2:3], v[0:1], v[4:5] op_sel_hi:[1,0,1]
	global_store_dwordx2 v[20:21], v[0:1], off offset:16
                                        ; implicit-def: $vgpr3
                                        ; implicit-def: $vgpr4
                                        ; implicit-def: $vgpr0
                                        ; implicit-def: $vgpr8
.LBB12_34:
	s_andn2_saveexec_b64 s[0:1], s[0:1]
	s_cbranch_execz .LBB12_14
; %bb.35:
	v_lshl_add_u64 v[6:7], v[6:7], 3, s[2:3]
	global_load_dwordx4 v[18:21], v[6:7], off
	global_load_dwordx2 v[22:23], v[6:7], off offset:16
	v_xor_b32_e32 v24, 0x80000000, v3
	v_mov_b32_e32 v25, v2
	v_pk_mul_f32 v[16:17], v[16:17], v[24:25] op_sel_hi:[0,1]
	v_pk_mul_f32 v[14:15], v[14:15], v[24:25] op_sel_hi:[0,1]
	;; [unrolled: 1-line block ×3, first 2 shown]
	v_pk_fma_f32 v[12:13], v[2:3], v[12:13], v[16:17] op_sel_hi:[1,0,1]
	v_pk_fma_f32 v[10:11], v[2:3], v[10:11], v[14:15] op_sel_hi:[1,0,1]
	v_xor_b32_e32 v26, 0x80000000, v5
	v_mov_b32_e32 v27, v4
	v_pk_fma_f32 v[0:1], v[2:3], v[0:1], v[8:9] op_sel_hi:[1,0,1]
	s_waitcnt vmcnt(1)
	v_pk_fma_f32 v[2:3], v[4:5], v[18:19], v[12:13] op_sel_hi:[1,0,1]
	v_pk_fma_f32 v[8:9], v[4:5], v[20:21], v[10:11] op_sel_hi:[1,0,1]
	v_mov_b32_e32 v10, v21
	s_waitcnt vmcnt(0)
	v_pk_fma_f32 v[4:5], v[4:5], v[22:23], v[0:1] op_sel_hi:[1,0,1]
	v_pk_fma_f32 v[0:1], v[26:27], v[18:19], v[2:3] op_sel:[0,1,0]
	v_pk_fma_f32 v[2:3], v[26:27], v[10:11], v[8:9] op_sel_hi:[1,0,1]
	v_pk_fma_f32 v[4:5], v[26:27], v[22:23], v[4:5] op_sel:[0,1,0]
	global_store_dwordx4 v[6:7], v[0:3], off
	global_store_dwordx2 v[6:7], v[4:5], off offset:16
	s_endpgm
	.section	.rodata,"a",@progbits
	.p2align	6, 0x0
	.amdhsa_kernel _ZN9rocsparseL18bsrxmvn_3x3_kernelILj256ELj16E21rocsparse_complex_numIfEiiS2_S2_S2_EEvT3_20rocsparse_direction_NS_24const_host_device_scalarIT1_EES3_PKS3_PKT2_SC_S9_PKT4_PKT5_S7_PT6_21rocsparse_index_base_b
		.amdhsa_group_segment_fixed_size 0
		.amdhsa_private_segment_fixed_size 0
		.amdhsa_kernarg_size 96
		.amdhsa_user_sgpr_count 2
		.amdhsa_user_sgpr_dispatch_ptr 0
		.amdhsa_user_sgpr_queue_ptr 0
		.amdhsa_user_sgpr_kernarg_segment_ptr 1
		.amdhsa_user_sgpr_dispatch_id 0
		.amdhsa_user_sgpr_kernarg_preload_length 0
		.amdhsa_user_sgpr_kernarg_preload_offset 0
		.amdhsa_user_sgpr_private_segment_size 0
		.amdhsa_uses_dynamic_stack 0
		.amdhsa_enable_private_segment 0
		.amdhsa_system_sgpr_workgroup_id_x 1
		.amdhsa_system_sgpr_workgroup_id_y 0
		.amdhsa_system_sgpr_workgroup_id_z 0
		.amdhsa_system_sgpr_workgroup_info 0
		.amdhsa_system_vgpr_workitem_id 0
		.amdhsa_next_free_vgpr 56
		.amdhsa_next_free_sgpr 16
		.amdhsa_accum_offset 56
		.amdhsa_reserve_vcc 1
		.amdhsa_float_round_mode_32 0
		.amdhsa_float_round_mode_16_64 0
		.amdhsa_float_denorm_mode_32 3
		.amdhsa_float_denorm_mode_16_64 3
		.amdhsa_dx10_clamp 1
		.amdhsa_ieee_mode 1
		.amdhsa_fp16_overflow 0
		.amdhsa_tg_split 0
		.amdhsa_exception_fp_ieee_invalid_op 0
		.amdhsa_exception_fp_denorm_src 0
		.amdhsa_exception_fp_ieee_div_zero 0
		.amdhsa_exception_fp_ieee_overflow 0
		.amdhsa_exception_fp_ieee_underflow 0
		.amdhsa_exception_fp_ieee_inexact 0
		.amdhsa_exception_int_div_zero 0
	.end_amdhsa_kernel
	.section	.text._ZN9rocsparseL18bsrxmvn_3x3_kernelILj256ELj16E21rocsparse_complex_numIfEiiS2_S2_S2_EEvT3_20rocsparse_direction_NS_24const_host_device_scalarIT1_EES3_PKS3_PKT2_SC_S9_PKT4_PKT5_S7_PT6_21rocsparse_index_base_b,"axG",@progbits,_ZN9rocsparseL18bsrxmvn_3x3_kernelILj256ELj16E21rocsparse_complex_numIfEiiS2_S2_S2_EEvT3_20rocsparse_direction_NS_24const_host_device_scalarIT1_EES3_PKS3_PKT2_SC_S9_PKT4_PKT5_S7_PT6_21rocsparse_index_base_b,comdat
.Lfunc_end12:
	.size	_ZN9rocsparseL18bsrxmvn_3x3_kernelILj256ELj16E21rocsparse_complex_numIfEiiS2_S2_S2_EEvT3_20rocsparse_direction_NS_24const_host_device_scalarIT1_EES3_PKS3_PKT2_SC_S9_PKT4_PKT5_S7_PT6_21rocsparse_index_base_b, .Lfunc_end12-_ZN9rocsparseL18bsrxmvn_3x3_kernelILj256ELj16E21rocsparse_complex_numIfEiiS2_S2_S2_EEvT3_20rocsparse_direction_NS_24const_host_device_scalarIT1_EES3_PKS3_PKT2_SC_S9_PKT4_PKT5_S7_PT6_21rocsparse_index_base_b
                                        ; -- End function
	.section	.AMDGPU.csdata,"",@progbits
; Kernel info:
; codeLenInByte = 2064
; NumSgprs: 22
; NumVgprs: 56
; NumAgprs: 0
; TotalNumVgprs: 56
; ScratchSize: 0
; MemoryBound: 0
; FloatMode: 240
; IeeeMode: 1
; LDSByteSize: 0 bytes/workgroup (compile time only)
; SGPRBlocks: 2
; VGPRBlocks: 6
; NumSGPRsForWavesPerEU: 22
; NumVGPRsForWavesPerEU: 56
; AccumOffset: 56
; Occupancy: 8
; WaveLimiterHint : 1
; COMPUTE_PGM_RSRC2:SCRATCH_EN: 0
; COMPUTE_PGM_RSRC2:USER_SGPR: 2
; COMPUTE_PGM_RSRC2:TRAP_HANDLER: 0
; COMPUTE_PGM_RSRC2:TGID_X_EN: 1
; COMPUTE_PGM_RSRC2:TGID_Y_EN: 0
; COMPUTE_PGM_RSRC2:TGID_Z_EN: 0
; COMPUTE_PGM_RSRC2:TIDIG_COMP_CNT: 0
; COMPUTE_PGM_RSRC3_GFX90A:ACCUM_OFFSET: 13
; COMPUTE_PGM_RSRC3_GFX90A:TG_SPLIT: 0
	.section	.text._ZN9rocsparseL18bsrxmvn_3x3_kernelILj256ELj32E21rocsparse_complex_numIfEiiS2_S2_S2_EEvT3_20rocsparse_direction_NS_24const_host_device_scalarIT1_EES3_PKS3_PKT2_SC_S9_PKT4_PKT5_S7_PT6_21rocsparse_index_base_b,"axG",@progbits,_ZN9rocsparseL18bsrxmvn_3x3_kernelILj256ELj32E21rocsparse_complex_numIfEiiS2_S2_S2_EEvT3_20rocsparse_direction_NS_24const_host_device_scalarIT1_EES3_PKS3_PKT2_SC_S9_PKT4_PKT5_S7_PT6_21rocsparse_index_base_b,comdat
	.globl	_ZN9rocsparseL18bsrxmvn_3x3_kernelILj256ELj32E21rocsparse_complex_numIfEiiS2_S2_S2_EEvT3_20rocsparse_direction_NS_24const_host_device_scalarIT1_EES3_PKS3_PKT2_SC_S9_PKT4_PKT5_S7_PT6_21rocsparse_index_base_b ; -- Begin function _ZN9rocsparseL18bsrxmvn_3x3_kernelILj256ELj32E21rocsparse_complex_numIfEiiS2_S2_S2_EEvT3_20rocsparse_direction_NS_24const_host_device_scalarIT1_EES3_PKS3_PKT2_SC_S9_PKT4_PKT5_S7_PT6_21rocsparse_index_base_b
	.p2align	8
	.type	_ZN9rocsparseL18bsrxmvn_3x3_kernelILj256ELj32E21rocsparse_complex_numIfEiiS2_S2_S2_EEvT3_20rocsparse_direction_NS_24const_host_device_scalarIT1_EES3_PKS3_PKT2_SC_S9_PKT4_PKT5_S7_PT6_21rocsparse_index_base_b,@function
_ZN9rocsparseL18bsrxmvn_3x3_kernelILj256ELj32E21rocsparse_complex_numIfEiiS2_S2_S2_EEvT3_20rocsparse_direction_NS_24const_host_device_scalarIT1_EES3_PKS3_PKT2_SC_S9_PKT4_PKT5_S7_PT6_21rocsparse_index_base_b: ; @_ZN9rocsparseL18bsrxmvn_3x3_kernelILj256ELj32E21rocsparse_complex_numIfEiiS2_S2_S2_EEvT3_20rocsparse_direction_NS_24const_host_device_scalarIT1_EES3_PKS3_PKT2_SC_S9_PKT4_PKT5_S7_PT6_21rocsparse_index_base_b
; %bb.0:
	s_load_dwordx2 s[12:13], s[0:1], 0x58
	s_load_dwordx2 s[8:9], s[0:1], 0x8
	s_load_dwordx2 s[6:7], s[0:1], 0x48
	s_waitcnt lgkmcnt(0)
	s_bitcmp1_b32 s13, 0
	s_cselect_b64 s[4:5], -1, 0
	s_xor_b64 s[10:11], s[4:5], -1
	s_and_b64 vcc, exec, s[4:5]
	v_mov_b32_e32 v2, s8
	s_cbranch_vccnz .LBB13_2
; %bb.1:
	v_mov_b64_e32 v[2:3], s[8:9]
	flat_load_dword v2, v[2:3]
.LBB13_2:
	v_cndmask_b32_e64 v1, 0, 1, s[10:11]
	v_cmp_ne_u32_e64 s[4:5], 1, v1
	s_andn2_b64 vcc, exec, s[10:11]
	v_mov_b32_e32 v3, s9
	s_cbranch_vccz .LBB13_15
; %bb.3:
	s_and_b64 vcc, exec, s[4:5]
	v_mov_b32_e32 v4, s6
	s_cbranch_vccz .LBB13_16
.LBB13_4:
	s_and_b64 vcc, exec, s[4:5]
	v_mov_b32_e32 v5, s7
	s_cbranch_vccnz .LBB13_6
.LBB13_5:
	v_mov_b64_e32 v[6:7], s[6:7]
	flat_load_dword v5, v[6:7] offset:4
.LBB13_6:
	s_waitcnt vmcnt(0) lgkmcnt(0)
	v_and_b32_e32 v1, 0x7fffffff, v2
	v_cmp_eq_u32_e32 vcc, 0, v1
	v_cmp_eq_f32_e64 s[4:5], 0, v3
	s_and_b64 s[8:9], vcc, s[4:5]
	s_mov_b64 s[4:5], -1
	s_and_saveexec_b64 s[6:7], s[8:9]
; %bb.7:
	v_and_b32_e32 v1, 0x7fffffff, v5
	v_cmp_neq_f32_e32 vcc, 1.0, v4
	v_cmp_ne_u32_e64 s[4:5], 0, v1
	s_or_b64 s[4:5], vcc, s[4:5]
	s_orn2_b64 s[4:5], s[4:5], exec
; %bb.8:
	s_or_b64 exec, exec, s[6:7]
	s_and_saveexec_b64 s[6:7], s[4:5]
	s_cbranch_execz .LBB13_14
; %bb.9:
	s_load_dwordx2 s[4:5], s[0:1], 0x18
	s_load_dwordx2 s[14:15], s[0:1], 0x0
	v_lshrrev_b32_e32 v1, 5, v0
	v_lshl_or_b32 v6, s2, 3, v1
	s_mov_b64 s[2:3], 0
	s_waitcnt lgkmcnt(0)
	s_cmp_lg_u64 s[4:5], 0
	s_cbranch_scc0 .LBB13_17
; %bb.10:
	s_load_dword s6, s[0:1], 0x10
                                        ; implicit-def: $vgpr1
	s_waitcnt lgkmcnt(0)
	v_cmp_gt_i32_e32 vcc, s6, v6
	s_and_saveexec_b64 s[6:7], vcc
	s_xor_b64 s[6:7], exec, s[6:7]
	s_cbranch_execz .LBB13_12
; %bb.11:
	v_ashrrev_i32_e32 v7, 31, v6
	v_lshl_add_u64 v[8:9], v[6:7], 2, s[4:5]
	global_load_dword v1, v[8:9], off
	s_mov_b64 s[2:3], exec
	s_waitcnt vmcnt(0)
	v_subrev_u32_e32 v1, s12, v1
.LBB13_12:
	s_or_b64 exec, exec, s[6:7]
	s_branch .LBB13_18
.LBB13_13:
	v_cmp_gt_i32_e32 vcc, s14, v6
	s_andn2_b64 s[2:3], s[2:3], exec
	s_and_b64 s[4:5], vcc, exec
	s_or_b64 s[2:3], s[2:3], s[4:5]
	s_and_b64 exec, exec, s[2:3]
	s_cbranch_execnz .LBB13_19
.LBB13_14:
	s_endpgm
.LBB13_15:
	v_mov_b64_e32 v[4:5], s[8:9]
	flat_load_dword v3, v[4:5] offset:4
	s_and_b64 vcc, exec, s[4:5]
	v_mov_b32_e32 v4, s6
	s_cbranch_vccnz .LBB13_4
.LBB13_16:
	v_mov_b64_e32 v[4:5], s[6:7]
	flat_load_dword v4, v[4:5]
	s_and_b64 vcc, exec, s[4:5]
	v_mov_b32_e32 v5, s7
	s_cbranch_vccz .LBB13_5
	s_branch .LBB13_6
.LBB13_17:
                                        ; implicit-def: $vgpr1
	s_cbranch_execnz .LBB13_13
.LBB13_18:
	v_mov_b32_e32 v6, v1
	s_and_b64 exec, exec, s[2:3]
	s_cbranch_execz .LBB13_14
.LBB13_19:
	s_load_dwordx8 s[4:11], s[0:1], 0x20
	v_ashrrev_i32_e32 v7, 31, v6
	v_lshlrev_b64 v[8:9], 2, v[6:7]
	v_and_b32_e32 v7, 31, v0
	s_movk_i32 s2, 0x48
	s_waitcnt lgkmcnt(0)
	v_lshl_add_u64 v[10:11], s[4:5], 0, v[8:9]
	s_cmp_eq_u64 s[6:7], 0
	global_load_dword v12, v[10:11], off
	v_lshl_add_u64 v[10:11], v[10:11], 0, 4
	v_lshl_add_u64 v[8:9], s[6:7], 0, v[8:9]
	s_cselect_b64 vcc, -1, 0
	v_cndmask_b32_e32 v9, v9, v11, vcc
	v_cndmask_b32_e32 v8, v8, v10, vcc
	global_load_dword v8, v[8:9], off
	s_load_dwordx2 s[4:5], s[0:1], 0x40
	v_mov_b64_e32 v[0:1], s[10:11]
	s_cmp_eq_u32 s15, 1
	s_waitcnt vmcnt(1)
	v_subrev_u32_e32 v9, s12, v12
	v_add_u32_e32 v10, v9, v7
	v_mad_i64_i32 v[12:13], s[2:3], v10, s2, v[0:1]
	s_waitcnt vmcnt(0)
	v_subrev_u32_e32 v20, s12, v8
	v_cmp_lt_i32_e64 s[2:3], v10, v20
	s_cbranch_scc1 .LBB13_25
; %bb.20:
	v_mov_b32_e32 v15, 0
	v_mov_b32_e32 v14, v15
	;; [unrolled: 1-line block ×6, first 2 shown]
	s_and_saveexec_b64 s[6:7], s[2:3]
	s_cbranch_execz .LBB13_24
; %bb.21:
	v_mov_b32_e32 v8, 0
	s_mov_b64 s[10:11], 0
	s_mov_b64 s[14:15], 0x900
	v_mov_b32_e32 v16, v10
	v_mov_b64_e32 v[18:19], v[12:13]
	v_mov_b32_e32 v9, v8
	v_mov_b32_e32 v0, v8
	;; [unrolled: 1-line block ×5, first 2 shown]
.LBB13_22:                              ; =>This Inner Loop Header: Depth=1
	v_ashrrev_i32_e32 v17, 31, v16
	v_lshl_add_u64 v[34:35], v[16:17], 2, s[8:9]
	global_load_dword v11, v[34:35], off
	global_load_dwordx4 v[22:25], v[18:19], off offset:48
	global_load_dwordx4 v[26:29], v[18:19], off offset:16
	global_load_dwordx4 v[30:33], v[18:19], off
	v_add_u32_e32 v16, 32, v16
	v_cmp_ge_i32_e32 vcc, v16, v20
	s_or_b64 s[10:11], vcc, s[10:11]
	s_waitcnt vmcnt(3)
	v_subrev_u32_e32 v11, s12, v11
	v_lshl_add_u32 v34, v11, 1, v11
	v_ashrrev_i32_e32 v35, 31, v34
	s_waitcnt lgkmcnt(0)
	v_lshl_add_u64 v[42:43], v[34:35], 3, s[4:5]
	global_load_dwordx2 v[44:45], v[42:43], off offset:16
	global_load_dwordx4 v[34:37], v[42:43], off
	global_load_dwordx4 v[38:41], v[18:19], off offset:32
	global_load_dwordx2 v[46:47], v[18:19], off offset:64
	s_waitcnt vmcnt(5)
	v_xor_b32_e32 v48, 0x80000000, v29
	v_mov_b32_e32 v49, v28
	s_waitcnt vmcnt(4)
	v_xor_b32_e32 v42, 0x80000000, v33
	v_mov_b32_e32 v43, v32
	v_xor_b32_e32 v52, 0x80000000, v25
	v_mov_b32_e32 v53, v24
	v_lshl_add_u64 v[18:19], v[18:19], 0, s[14:15]
	s_waitcnt vmcnt(2)
	v_pk_fma_f32 v[14:15], v[30:31], v[34:35], v[14:15] op_sel_hi:[1,0,1]
	v_pk_fma_f32 v[8:9], v[28:29], v[34:35], v[8:9] op_sel_hi:[1,0,1]
	;; [unrolled: 1-line block ×3, first 2 shown]
	v_pk_fma_f32 v[14:15], v[30:31], v[34:35], v[14:15] op_sel:[1,1,0] op_sel_hi:[0,1,1] neg_lo:[1,0,0]
	v_pk_fma_f32 v[8:9], v[48:49], v[34:35], v[8:9] op_sel:[0,1,0]
	v_pk_fma_f32 v[0:1], v[22:23], v[34:35], v[0:1] op_sel:[1,1,0] op_sel_hi:[0,1,1] neg_lo:[1,0,0]
	v_mov_b32_e32 v54, v37
	v_pk_fma_f32 v[14:15], v[32:33], v[36:37], v[14:15] op_sel_hi:[1,0,1]
	s_waitcnt vmcnt(1)
	v_pk_fma_f32 v[8:9], v[38:39], v[36:37], v[8:9] op_sel_hi:[1,0,1]
	v_pk_fma_f32 v[0:1], v[24:25], v[36:37], v[0:1] op_sel_hi:[1,0,1]
	;; [unrolled: 1-line block ×3, first 2 shown]
	v_pk_fma_f32 v[8:9], v[38:39], v[54:55], v[8:9] op_sel:[1,0,0] op_sel_hi:[0,0,1] neg_lo:[1,0,0]
	v_pk_fma_f32 v[0:1], v[52:53], v[54:55], v[0:1] op_sel_hi:[1,0,1]
	v_xor_b32_e32 v50, 0x80000000, v41
	v_mov_b32_e32 v51, v40
	v_pk_fma_f32 v[14:15], v[26:27], v[44:45], v[14:15] op_sel_hi:[1,0,1]
	v_pk_fma_f32 v[8:9], v[40:41], v[44:45], v[8:9] op_sel_hi:[1,0,1]
	s_waitcnt vmcnt(0)
	v_pk_fma_f32 v[0:1], v[46:47], v[44:45], v[0:1] op_sel_hi:[1,0,1]
	v_pk_fma_f32 v[14:15], v[26:27], v[44:45], v[14:15] op_sel:[1,1,0] op_sel_hi:[0,1,1] neg_lo:[1,0,0]
	v_pk_fma_f32 v[8:9], v[50:51], v[44:45], v[8:9] op_sel:[0,1,0]
	v_pk_fma_f32 v[0:1], v[46:47], v[44:45], v[0:1] op_sel:[1,1,0] op_sel_hi:[0,1,1] neg_lo:[1,0,0]
	s_andn2_b64 exec, exec, s[10:11]
	s_cbranch_execnz .LBB13_22
; %bb.23:
	s_or_b64 exec, exec, s[10:11]
.LBB13_24:
	s_or_b64 exec, exec, s[6:7]
	s_cbranch_execz .LBB13_26
	s_branch .LBB13_31
.LBB13_25:
                                        ; implicit-def: $vgpr15
                                        ; implicit-def: $vgpr1
                                        ; implicit-def: $vgpr9
.LBB13_26:
	v_mov_b32_e32 v15, 0
	v_mov_b32_e32 v14, v15
	;; [unrolled: 1-line block ×6, first 2 shown]
	s_and_saveexec_b64 s[6:7], s[2:3]
	s_cbranch_execz .LBB13_30
; %bb.27:
	v_mov_b32_e32 v8, 0
	s_mov_b64 s[2:3], 0
	s_mov_b64 s[10:11], 0x900
	v_mov_b32_e32 v9, v8
	v_mov_b32_e32 v0, v8
	;; [unrolled: 1-line block ×5, first 2 shown]
.LBB13_28:                              ; =>This Inner Loop Header: Depth=1
	v_ashrrev_i32_e32 v11, 31, v10
	v_lshl_add_u64 v[30:31], v[10:11], 2, s[8:9]
	global_load_dword v11, v[30:31], off
	global_load_dwordx4 v[16:19], v[12:13], off offset:48
	global_load_dwordx4 v[22:25], v[12:13], off offset:16
	global_load_dwordx4 v[26:29], v[12:13], off
	v_add_u32_e32 v10, 32, v10
	v_cmp_ge_i32_e32 vcc, v10, v20
	s_or_b64 s[2:3], vcc, s[2:3]
	s_waitcnt vmcnt(3)
	v_subrev_u32_e32 v11, s12, v11
	v_lshl_add_u32 v30, v11, 1, v11
	v_ashrrev_i32_e32 v31, 31, v30
	s_waitcnt lgkmcnt(0)
	v_lshl_add_u64 v[38:39], v[30:31], 3, s[4:5]
	global_load_dwordx2 v[40:41], v[38:39], off offset:16
	global_load_dwordx4 v[30:33], v[38:39], off
	global_load_dwordx4 v[34:37], v[12:13], off offset:32
	global_load_dwordx2 v[42:43], v[12:13], off offset:64
	s_waitcnt vmcnt(4)
	v_xor_b32_e32 v44, 0x80000000, v29
	v_mov_b32_e32 v45, v28
	v_xor_b32_e32 v38, 0x80000000, v25
	v_mov_b32_e32 v39, v24
	;; [unrolled: 2-line block ×3, first 2 shown]
	v_lshl_add_u64 v[12:13], v[12:13], 0, s[10:11]
	s_waitcnt vmcnt(2)
	v_pk_fma_f32 v[14:15], v[26:27], v[30:31], v[14:15] op_sel_hi:[1,0,1]
	v_pk_fma_f32 v[8:9], v[28:29], v[30:31], v[8:9] op_sel_hi:[1,0,1]
	v_pk_fma_f32 v[0:1], v[22:23], v[30:31], v[0:1] op_sel_hi:[1,0,1]
	v_pk_fma_f32 v[14:15], v[26:27], v[30:31], v[14:15] op_sel:[1,1,0] op_sel_hi:[0,1,1] neg_lo:[1,0,0]
	v_pk_fma_f32 v[8:9], v[44:45], v[30:31], v[8:9] op_sel:[0,1,0]
	v_pk_fma_f32 v[0:1], v[22:23], v[30:31], v[0:1] op_sel:[1,1,0] op_sel_hi:[0,1,1] neg_lo:[1,0,0]
	s_waitcnt vmcnt(1)
	v_xor_b32_e32 v48, 0x80000000, v37
	v_mov_b32_e32 v49, v36
	v_mov_b32_e32 v50, v33
	v_pk_fma_f32 v[14:15], v[24:25], v[32:33], v[14:15] op_sel_hi:[1,0,1]
	v_pk_fma_f32 v[8:9], v[34:35], v[32:33], v[8:9] op_sel_hi:[1,0,1]
	;; [unrolled: 1-line block ×4, first 2 shown]
	v_pk_fma_f32 v[8:9], v[34:35], v[50:51], v[8:9] op_sel:[1,0,0] op_sel_hi:[0,0,1] neg_lo:[1,0,0]
	v_pk_fma_f32 v[0:1], v[48:49], v[50:51], v[0:1] op_sel_hi:[1,0,1]
	v_pk_fma_f32 v[14:15], v[16:17], v[40:41], v[14:15] op_sel_hi:[1,0,1]
	;; [unrolled: 1-line block ×3, first 2 shown]
	s_waitcnt vmcnt(0)
	v_pk_fma_f32 v[0:1], v[42:43], v[40:41], v[0:1] op_sel_hi:[1,0,1]
	v_pk_fma_f32 v[14:15], v[16:17], v[40:41], v[14:15] op_sel:[1,1,0] op_sel_hi:[0,1,1] neg_lo:[1,0,0]
	v_pk_fma_f32 v[8:9], v[46:47], v[40:41], v[8:9] op_sel:[0,1,0]
	v_pk_fma_f32 v[0:1], v[42:43], v[40:41], v[0:1] op_sel:[1,1,0] op_sel_hi:[0,1,1] neg_lo:[1,0,0]
	s_andn2_b64 exec, exec, s[2:3]
	s_cbranch_execnz .LBB13_28
; %bb.29:
	s_or_b64 exec, exec, s[2:3]
.LBB13_30:
	s_or_b64 exec, exec, s[6:7]
.LBB13_31:
	v_mov_b32_dpp v12, v15 row_shr:1 row_mask:0xf bank_mask:0xf
	v_add_f32_e32 v12, v15, v12
	v_mov_b32_dpp v10, v14 row_shr:1 row_mask:0xf bank_mask:0xf
	v_add_f32_e32 v10, v14, v10
	;; [unrolled: 2-line block ×10, first 2 shown]
	v_mov_b32_dpp v11, v10 row_bcast:15 row_mask:0xa bank_mask:0xf
	v_mov_b32_dpp v14, v13 row_bcast:15 row_mask:0xa bank_mask:0xf
	v_mov_b32_dpp v12, v8 row_shr:4 row_mask:0xf bank_mask:0xe
	v_add_f32_e32 v8, v8, v12
	v_cmp_eq_u32_e32 vcc, 31, v7
	s_nop 0
	v_mov_b32_dpp v12, v8 row_shr:8 row_mask:0xf bank_mask:0xc
	v_add_f32_e32 v8, v8, v12
	s_nop 0
	v_mov_b32_dpp v12, v9 row_shr:1 row_mask:0xf bank_mask:0xf
	v_add_f32_e32 v9, v9, v12
	v_mov_b32_dpp v15, v8 row_bcast:15 row_mask:0xa bank_mask:0xf
	s_nop 0
	v_mov_b32_dpp v12, v9 row_shr:2 row_mask:0xf bank_mask:0xf
	v_add_f32_e32 v9, v9, v12
	s_nop 1
	v_mov_b32_dpp v12, v9 row_shr:4 row_mask:0xf bank_mask:0xe
	v_add_f32_e32 v9, v9, v12
	s_nop 1
	v_mov_b32_dpp v12, v9 row_shr:8 row_mask:0xf bank_mask:0xc
	v_add_f32_e32 v9, v9, v12
	s_nop 0
	v_mov_b32_dpp v12, v0 row_shr:1 row_mask:0xf bank_mask:0xf
	v_add_f32_e32 v0, v0, v12
	v_mov_b32_dpp v17, v9 row_bcast:15 row_mask:0xa bank_mask:0xf
	s_nop 0
	v_mov_b32_dpp v12, v0 row_shr:2 row_mask:0xf bank_mask:0xf
	v_add_f32_e32 v0, v0, v12
	s_nop 1
	v_mov_b32_dpp v12, v0 row_shr:4 row_mask:0xf bank_mask:0xe
	v_add_f32_e32 v0, v0, v12
	;; [unrolled: 13-line block ×3, first 2 shown]
	s_nop 1
	v_mov_b32_dpp v12, v1 row_shr:8 row_mask:0xf bank_mask:0xc
	v_add_f32_e32 v1, v1, v12
	s_nop 1
	v_mov_b32_dpp v19, v1 row_bcast:15 row_mask:0xa bank_mask:0xf
	s_and_b64 exec, exec, vcc
	s_cbranch_execz .LBB13_14
; %bb.32:
	s_load_dwordx2 s[2:3], s[0:1], 0x50
	v_add_f32_e32 v12, v10, v11
	v_add_f32_e32 v10, v8, v15
	;; [unrolled: 1-line block ×3, first 2 shown]
	v_and_b32_e32 v1, 0x7fffffff, v4
	v_cmp_eq_u32_e32 vcc, 0, v1
	v_cmp_eq_f32_e64 s[0:1], 0, v5
	v_lshl_add_u32 v6, v6, 1, v6
	v_add_f32_e32 v16, v13, v14
	v_add_f32_e32 v14, v9, v17
	v_add_f32_e32 v0, v0, v18
	s_and_b64 s[0:1], vcc, s[0:1]
	v_ashrrev_i32_e32 v7, 31, v6
	s_waitcnt lgkmcnt(0)
	s_and_saveexec_b64 s[4:5], s[0:1]
	s_xor_b64 s[0:1], exec, s[4:5]
	s_cbranch_execz .LBB13_34
; %bb.33:
	v_xor_b32_e32 v18, 0x80000000, v3
	v_mov_b32_e32 v19, v2
	v_lshl_add_u64 v[20:21], v[6:7], 3, s[2:3]
	v_pk_mul_f32 v[4:5], v[16:17], v[18:19] op_sel_hi:[0,1]
	v_pk_mul_f32 v[6:7], v[14:15], v[18:19] op_sel_hi:[0,1]
	v_pk_fma_f32 v[4:5], v[2:3], v[12:13], v[4:5] op_sel_hi:[1,0,1]
	v_pk_fma_f32 v[6:7], v[2:3], v[10:11], v[6:7] op_sel_hi:[1,0,1]
	global_store_dwordx4 v[20:21], v[4:7], off
                                        ; implicit-def: $vgpr12
                                        ; implicit-def: $vgpr16
                                        ; implicit-def: $vgpr10
                                        ; implicit-def: $vgpr14
                                        ; implicit-def: $vgpr6
	s_nop 1
	v_pk_mul_f32 v[4:5], v[8:9], v[18:19] op_sel_hi:[0,1]
	v_pk_fma_f32 v[0:1], v[2:3], v[0:1], v[4:5] op_sel_hi:[1,0,1]
	global_store_dwordx2 v[20:21], v[0:1], off offset:16
                                        ; implicit-def: $vgpr3
                                        ; implicit-def: $vgpr4
                                        ; implicit-def: $vgpr0
                                        ; implicit-def: $vgpr8
.LBB13_34:
	s_andn2_saveexec_b64 s[0:1], s[0:1]
	s_cbranch_execz .LBB13_14
; %bb.35:
	v_lshl_add_u64 v[6:7], v[6:7], 3, s[2:3]
	global_load_dwordx4 v[18:21], v[6:7], off
	global_load_dwordx2 v[22:23], v[6:7], off offset:16
	v_xor_b32_e32 v24, 0x80000000, v3
	v_mov_b32_e32 v25, v2
	v_pk_mul_f32 v[16:17], v[16:17], v[24:25] op_sel_hi:[0,1]
	v_pk_mul_f32 v[14:15], v[14:15], v[24:25] op_sel_hi:[0,1]
	v_pk_mul_f32 v[8:9], v[8:9], v[24:25] op_sel_hi:[0,1]
	v_pk_fma_f32 v[12:13], v[2:3], v[12:13], v[16:17] op_sel_hi:[1,0,1]
	v_pk_fma_f32 v[10:11], v[2:3], v[10:11], v[14:15] op_sel_hi:[1,0,1]
	v_xor_b32_e32 v26, 0x80000000, v5
	v_mov_b32_e32 v27, v4
	v_pk_fma_f32 v[0:1], v[2:3], v[0:1], v[8:9] op_sel_hi:[1,0,1]
	s_waitcnt vmcnt(1)
	v_pk_fma_f32 v[2:3], v[4:5], v[18:19], v[12:13] op_sel_hi:[1,0,1]
	v_pk_fma_f32 v[8:9], v[4:5], v[20:21], v[10:11] op_sel_hi:[1,0,1]
	v_mov_b32_e32 v10, v21
	s_waitcnt vmcnt(0)
	v_pk_fma_f32 v[4:5], v[4:5], v[22:23], v[0:1] op_sel_hi:[1,0,1]
	v_pk_fma_f32 v[0:1], v[26:27], v[18:19], v[2:3] op_sel:[0,1,0]
	v_pk_fma_f32 v[2:3], v[26:27], v[10:11], v[8:9] op_sel_hi:[1,0,1]
	v_pk_fma_f32 v[4:5], v[26:27], v[22:23], v[4:5] op_sel:[0,1,0]
	global_store_dwordx4 v[6:7], v[0:3], off
	global_store_dwordx2 v[6:7], v[4:5], off offset:16
	s_endpgm
	.section	.rodata,"a",@progbits
	.p2align	6, 0x0
	.amdhsa_kernel _ZN9rocsparseL18bsrxmvn_3x3_kernelILj256ELj32E21rocsparse_complex_numIfEiiS2_S2_S2_EEvT3_20rocsparse_direction_NS_24const_host_device_scalarIT1_EES3_PKS3_PKT2_SC_S9_PKT4_PKT5_S7_PT6_21rocsparse_index_base_b
		.amdhsa_group_segment_fixed_size 0
		.amdhsa_private_segment_fixed_size 0
		.amdhsa_kernarg_size 96
		.amdhsa_user_sgpr_count 2
		.amdhsa_user_sgpr_dispatch_ptr 0
		.amdhsa_user_sgpr_queue_ptr 0
		.amdhsa_user_sgpr_kernarg_segment_ptr 1
		.amdhsa_user_sgpr_dispatch_id 0
		.amdhsa_user_sgpr_kernarg_preload_length 0
		.amdhsa_user_sgpr_kernarg_preload_offset 0
		.amdhsa_user_sgpr_private_segment_size 0
		.amdhsa_uses_dynamic_stack 0
		.amdhsa_enable_private_segment 0
		.amdhsa_system_sgpr_workgroup_id_x 1
		.amdhsa_system_sgpr_workgroup_id_y 0
		.amdhsa_system_sgpr_workgroup_id_z 0
		.amdhsa_system_sgpr_workgroup_info 0
		.amdhsa_system_vgpr_workitem_id 0
		.amdhsa_next_free_vgpr 56
		.amdhsa_next_free_sgpr 16
		.amdhsa_accum_offset 56
		.amdhsa_reserve_vcc 1
		.amdhsa_float_round_mode_32 0
		.amdhsa_float_round_mode_16_64 0
		.amdhsa_float_denorm_mode_32 3
		.amdhsa_float_denorm_mode_16_64 3
		.amdhsa_dx10_clamp 1
		.amdhsa_ieee_mode 1
		.amdhsa_fp16_overflow 0
		.amdhsa_tg_split 0
		.amdhsa_exception_fp_ieee_invalid_op 0
		.amdhsa_exception_fp_denorm_src 0
		.amdhsa_exception_fp_ieee_div_zero 0
		.amdhsa_exception_fp_ieee_overflow 0
		.amdhsa_exception_fp_ieee_underflow 0
		.amdhsa_exception_fp_ieee_inexact 0
		.amdhsa_exception_int_div_zero 0
	.end_amdhsa_kernel
	.section	.text._ZN9rocsparseL18bsrxmvn_3x3_kernelILj256ELj32E21rocsparse_complex_numIfEiiS2_S2_S2_EEvT3_20rocsparse_direction_NS_24const_host_device_scalarIT1_EES3_PKS3_PKT2_SC_S9_PKT4_PKT5_S7_PT6_21rocsparse_index_base_b,"axG",@progbits,_ZN9rocsparseL18bsrxmvn_3x3_kernelILj256ELj32E21rocsparse_complex_numIfEiiS2_S2_S2_EEvT3_20rocsparse_direction_NS_24const_host_device_scalarIT1_EES3_PKS3_PKT2_SC_S9_PKT4_PKT5_S7_PT6_21rocsparse_index_base_b,comdat
.Lfunc_end13:
	.size	_ZN9rocsparseL18bsrxmvn_3x3_kernelILj256ELj32E21rocsparse_complex_numIfEiiS2_S2_S2_EEvT3_20rocsparse_direction_NS_24const_host_device_scalarIT1_EES3_PKS3_PKT2_SC_S9_PKT4_PKT5_S7_PT6_21rocsparse_index_base_b, .Lfunc_end13-_ZN9rocsparseL18bsrxmvn_3x3_kernelILj256ELj32E21rocsparse_complex_numIfEiiS2_S2_S2_EEvT3_20rocsparse_direction_NS_24const_host_device_scalarIT1_EES3_PKS3_PKT2_SC_S9_PKT4_PKT5_S7_PT6_21rocsparse_index_base_b
                                        ; -- End function
	.section	.AMDGPU.csdata,"",@progbits
; Kernel info:
; codeLenInByte = 2184
; NumSgprs: 22
; NumVgprs: 56
; NumAgprs: 0
; TotalNumVgprs: 56
; ScratchSize: 0
; MemoryBound: 0
; FloatMode: 240
; IeeeMode: 1
; LDSByteSize: 0 bytes/workgroup (compile time only)
; SGPRBlocks: 2
; VGPRBlocks: 6
; NumSGPRsForWavesPerEU: 22
; NumVGPRsForWavesPerEU: 56
; AccumOffset: 56
; Occupancy: 8
; WaveLimiterHint : 1
; COMPUTE_PGM_RSRC2:SCRATCH_EN: 0
; COMPUTE_PGM_RSRC2:USER_SGPR: 2
; COMPUTE_PGM_RSRC2:TRAP_HANDLER: 0
; COMPUTE_PGM_RSRC2:TGID_X_EN: 1
; COMPUTE_PGM_RSRC2:TGID_Y_EN: 0
; COMPUTE_PGM_RSRC2:TGID_Z_EN: 0
; COMPUTE_PGM_RSRC2:TIDIG_COMP_CNT: 0
; COMPUTE_PGM_RSRC3_GFX90A:ACCUM_OFFSET: 13
; COMPUTE_PGM_RSRC3_GFX90A:TG_SPLIT: 0
	.section	.text._ZN9rocsparseL18bsrxmvn_3x3_kernelILj256ELj64E21rocsparse_complex_numIfEiiS2_S2_S2_EEvT3_20rocsparse_direction_NS_24const_host_device_scalarIT1_EES3_PKS3_PKT2_SC_S9_PKT4_PKT5_S7_PT6_21rocsparse_index_base_b,"axG",@progbits,_ZN9rocsparseL18bsrxmvn_3x3_kernelILj256ELj64E21rocsparse_complex_numIfEiiS2_S2_S2_EEvT3_20rocsparse_direction_NS_24const_host_device_scalarIT1_EES3_PKS3_PKT2_SC_S9_PKT4_PKT5_S7_PT6_21rocsparse_index_base_b,comdat
	.globl	_ZN9rocsparseL18bsrxmvn_3x3_kernelILj256ELj64E21rocsparse_complex_numIfEiiS2_S2_S2_EEvT3_20rocsparse_direction_NS_24const_host_device_scalarIT1_EES3_PKS3_PKT2_SC_S9_PKT4_PKT5_S7_PT6_21rocsparse_index_base_b ; -- Begin function _ZN9rocsparseL18bsrxmvn_3x3_kernelILj256ELj64E21rocsparse_complex_numIfEiiS2_S2_S2_EEvT3_20rocsparse_direction_NS_24const_host_device_scalarIT1_EES3_PKS3_PKT2_SC_S9_PKT4_PKT5_S7_PT6_21rocsparse_index_base_b
	.p2align	8
	.type	_ZN9rocsparseL18bsrxmvn_3x3_kernelILj256ELj64E21rocsparse_complex_numIfEiiS2_S2_S2_EEvT3_20rocsparse_direction_NS_24const_host_device_scalarIT1_EES3_PKS3_PKT2_SC_S9_PKT4_PKT5_S7_PT6_21rocsparse_index_base_b,@function
_ZN9rocsparseL18bsrxmvn_3x3_kernelILj256ELj64E21rocsparse_complex_numIfEiiS2_S2_S2_EEvT3_20rocsparse_direction_NS_24const_host_device_scalarIT1_EES3_PKS3_PKT2_SC_S9_PKT4_PKT5_S7_PT6_21rocsparse_index_base_b: ; @_ZN9rocsparseL18bsrxmvn_3x3_kernelILj256ELj64E21rocsparse_complex_numIfEiiS2_S2_S2_EEvT3_20rocsparse_direction_NS_24const_host_device_scalarIT1_EES3_PKS3_PKT2_SC_S9_PKT4_PKT5_S7_PT6_21rocsparse_index_base_b
; %bb.0:
	s_load_dwordx2 s[12:13], s[0:1], 0x58
	s_load_dwordx2 s[8:9], s[0:1], 0x8
	;; [unrolled: 1-line block ×3, first 2 shown]
	s_waitcnt lgkmcnt(0)
	s_bitcmp1_b32 s13, 0
	s_cselect_b64 s[4:5], -1, 0
	s_xor_b64 s[10:11], s[4:5], -1
	s_and_b64 vcc, exec, s[4:5]
	v_mov_b32_e32 v2, s8
	s_cbranch_vccnz .LBB14_2
; %bb.1:
	v_mov_b64_e32 v[2:3], s[8:9]
	flat_load_dword v2, v[2:3]
.LBB14_2:
	v_cndmask_b32_e64 v1, 0, 1, s[10:11]
	v_cmp_ne_u32_e64 s[4:5], 1, v1
	s_andn2_b64 vcc, exec, s[10:11]
	v_mov_b32_e32 v3, s9
	s_cbranch_vccz .LBB14_15
; %bb.3:
	s_and_b64 vcc, exec, s[4:5]
	v_mov_b32_e32 v4, s6
	s_cbranch_vccz .LBB14_16
.LBB14_4:
	s_and_b64 vcc, exec, s[4:5]
	v_mov_b32_e32 v5, s7
	s_cbranch_vccnz .LBB14_6
.LBB14_5:
	v_mov_b64_e32 v[6:7], s[6:7]
	flat_load_dword v5, v[6:7] offset:4
.LBB14_6:
	s_waitcnt vmcnt(0) lgkmcnt(0)
	v_and_b32_e32 v1, 0x7fffffff, v2
	v_cmp_eq_u32_e32 vcc, 0, v1
	v_cmp_eq_f32_e64 s[4:5], 0, v3
	s_and_b64 s[8:9], vcc, s[4:5]
	s_mov_b64 s[4:5], -1
	s_and_saveexec_b64 s[6:7], s[8:9]
; %bb.7:
	v_and_b32_e32 v1, 0x7fffffff, v5
	v_cmp_neq_f32_e32 vcc, 1.0, v4
	v_cmp_ne_u32_e64 s[4:5], 0, v1
	s_or_b64 s[4:5], vcc, s[4:5]
	s_orn2_b64 s[4:5], s[4:5], exec
; %bb.8:
	s_or_b64 exec, exec, s[6:7]
	s_and_saveexec_b64 s[6:7], s[4:5]
	s_cbranch_execz .LBB14_14
; %bb.9:
	s_load_dwordx2 s[4:5], s[0:1], 0x18
	s_load_dwordx2 s[14:15], s[0:1], 0x0
	v_lshrrev_b32_e32 v1, 6, v0
	v_lshl_or_b32 v6, s2, 2, v1
	s_mov_b64 s[2:3], 0
	s_waitcnt lgkmcnt(0)
	s_cmp_lg_u64 s[4:5], 0
	s_cbranch_scc0 .LBB14_17
; %bb.10:
	s_load_dword s6, s[0:1], 0x10
                                        ; implicit-def: $vgpr1
	s_waitcnt lgkmcnt(0)
	v_cmp_gt_i32_e32 vcc, s6, v6
	s_and_saveexec_b64 s[6:7], vcc
	s_xor_b64 s[6:7], exec, s[6:7]
	s_cbranch_execz .LBB14_12
; %bb.11:
	v_ashrrev_i32_e32 v7, 31, v6
	v_lshl_add_u64 v[8:9], v[6:7], 2, s[4:5]
	global_load_dword v1, v[8:9], off
	s_mov_b64 s[2:3], exec
	s_waitcnt vmcnt(0)
	v_subrev_u32_e32 v1, s12, v1
.LBB14_12:
	s_or_b64 exec, exec, s[6:7]
	s_branch .LBB14_18
.LBB14_13:
	v_cmp_gt_i32_e32 vcc, s14, v6
	s_andn2_b64 s[2:3], s[2:3], exec
	s_and_b64 s[4:5], vcc, exec
	s_or_b64 s[2:3], s[2:3], s[4:5]
	s_and_b64 exec, exec, s[2:3]
	s_cbranch_execnz .LBB14_19
.LBB14_14:
	s_endpgm
.LBB14_15:
	v_mov_b64_e32 v[4:5], s[8:9]
	flat_load_dword v3, v[4:5] offset:4
	s_and_b64 vcc, exec, s[4:5]
	v_mov_b32_e32 v4, s6
	s_cbranch_vccnz .LBB14_4
.LBB14_16:
	v_mov_b64_e32 v[4:5], s[6:7]
	flat_load_dword v4, v[4:5]
	s_and_b64 vcc, exec, s[4:5]
	v_mov_b32_e32 v5, s7
	s_cbranch_vccz .LBB14_5
	s_branch .LBB14_6
.LBB14_17:
                                        ; implicit-def: $vgpr1
	s_cbranch_execnz .LBB14_13
.LBB14_18:
	v_mov_b32_e32 v6, v1
	s_and_b64 exec, exec, s[2:3]
	s_cbranch_execz .LBB14_14
.LBB14_19:
	s_load_dwordx8 s[4:11], s[0:1], 0x20
	v_ashrrev_i32_e32 v7, 31, v6
	v_lshlrev_b64 v[8:9], 2, v[6:7]
	v_and_b32_e32 v7, 63, v0
	s_movk_i32 s2, 0x48
	s_waitcnt lgkmcnt(0)
	v_lshl_add_u64 v[10:11], s[4:5], 0, v[8:9]
	s_cmp_eq_u64 s[6:7], 0
	global_load_dword v12, v[10:11], off
	v_lshl_add_u64 v[10:11], v[10:11], 0, 4
	v_lshl_add_u64 v[8:9], s[6:7], 0, v[8:9]
	s_cselect_b64 vcc, -1, 0
	v_cndmask_b32_e32 v9, v9, v11, vcc
	v_cndmask_b32_e32 v8, v8, v10, vcc
	global_load_dword v8, v[8:9], off
	s_load_dwordx2 s[4:5], s[0:1], 0x40
	v_mov_b64_e32 v[0:1], s[10:11]
	s_cmp_eq_u32 s15, 1
	s_waitcnt vmcnt(1)
	v_subrev_u32_e32 v9, s12, v12
	v_add_u32_e32 v10, v9, v7
	v_mad_i64_i32 v[12:13], s[2:3], v10, s2, v[0:1]
	s_waitcnt vmcnt(0)
	v_subrev_u32_e32 v20, s12, v8
	v_cmp_lt_i32_e64 s[2:3], v10, v20
	s_cbranch_scc1 .LBB14_25
; %bb.20:
	v_mov_b32_e32 v15, 0
	v_mov_b32_e32 v14, v15
	;; [unrolled: 1-line block ×6, first 2 shown]
	s_and_saveexec_b64 s[6:7], s[2:3]
	s_cbranch_execz .LBB14_24
; %bb.21:
	v_mov_b32_e32 v8, 0
	s_mov_b64 s[10:11], 0
	s_mov_b64 s[14:15], 0x1200
	v_mov_b32_e32 v16, v10
	v_mov_b64_e32 v[18:19], v[12:13]
	v_mov_b32_e32 v9, v8
	v_mov_b32_e32 v0, v8
	;; [unrolled: 1-line block ×5, first 2 shown]
.LBB14_22:                              ; =>This Inner Loop Header: Depth=1
	v_ashrrev_i32_e32 v17, 31, v16
	v_lshl_add_u64 v[34:35], v[16:17], 2, s[8:9]
	global_load_dword v11, v[34:35], off
	global_load_dwordx4 v[22:25], v[18:19], off offset:48
	global_load_dwordx4 v[26:29], v[18:19], off offset:16
	global_load_dwordx4 v[30:33], v[18:19], off
	v_add_u32_e32 v16, 64, v16
	v_cmp_ge_i32_e32 vcc, v16, v20
	s_or_b64 s[10:11], vcc, s[10:11]
	s_waitcnt vmcnt(3)
	v_subrev_u32_e32 v11, s12, v11
	v_lshl_add_u32 v34, v11, 1, v11
	v_ashrrev_i32_e32 v35, 31, v34
	s_waitcnt lgkmcnt(0)
	v_lshl_add_u64 v[42:43], v[34:35], 3, s[4:5]
	global_load_dwordx2 v[44:45], v[42:43], off offset:16
	global_load_dwordx4 v[34:37], v[42:43], off
	global_load_dwordx4 v[38:41], v[18:19], off offset:32
	global_load_dwordx2 v[46:47], v[18:19], off offset:64
	s_waitcnt vmcnt(5)
	v_xor_b32_e32 v48, 0x80000000, v29
	v_mov_b32_e32 v49, v28
	s_waitcnt vmcnt(4)
	v_xor_b32_e32 v42, 0x80000000, v33
	v_mov_b32_e32 v43, v32
	v_xor_b32_e32 v52, 0x80000000, v25
	v_mov_b32_e32 v53, v24
	v_lshl_add_u64 v[18:19], v[18:19], 0, s[14:15]
	s_waitcnt vmcnt(2)
	v_pk_fma_f32 v[14:15], v[30:31], v[34:35], v[14:15] op_sel_hi:[1,0,1]
	v_pk_fma_f32 v[8:9], v[28:29], v[34:35], v[8:9] op_sel_hi:[1,0,1]
	;; [unrolled: 1-line block ×3, first 2 shown]
	v_pk_fma_f32 v[14:15], v[30:31], v[34:35], v[14:15] op_sel:[1,1,0] op_sel_hi:[0,1,1] neg_lo:[1,0,0]
	v_pk_fma_f32 v[8:9], v[48:49], v[34:35], v[8:9] op_sel:[0,1,0]
	v_pk_fma_f32 v[0:1], v[22:23], v[34:35], v[0:1] op_sel:[1,1,0] op_sel_hi:[0,1,1] neg_lo:[1,0,0]
	v_mov_b32_e32 v54, v37
	v_pk_fma_f32 v[14:15], v[32:33], v[36:37], v[14:15] op_sel_hi:[1,0,1]
	s_waitcnt vmcnt(1)
	v_pk_fma_f32 v[8:9], v[38:39], v[36:37], v[8:9] op_sel_hi:[1,0,1]
	v_pk_fma_f32 v[0:1], v[24:25], v[36:37], v[0:1] op_sel_hi:[1,0,1]
	;; [unrolled: 1-line block ×3, first 2 shown]
	v_pk_fma_f32 v[8:9], v[38:39], v[54:55], v[8:9] op_sel:[1,0,0] op_sel_hi:[0,0,1] neg_lo:[1,0,0]
	v_pk_fma_f32 v[0:1], v[52:53], v[54:55], v[0:1] op_sel_hi:[1,0,1]
	v_xor_b32_e32 v50, 0x80000000, v41
	v_mov_b32_e32 v51, v40
	v_pk_fma_f32 v[14:15], v[26:27], v[44:45], v[14:15] op_sel_hi:[1,0,1]
	v_pk_fma_f32 v[8:9], v[40:41], v[44:45], v[8:9] op_sel_hi:[1,0,1]
	s_waitcnt vmcnt(0)
	v_pk_fma_f32 v[0:1], v[46:47], v[44:45], v[0:1] op_sel_hi:[1,0,1]
	v_pk_fma_f32 v[14:15], v[26:27], v[44:45], v[14:15] op_sel:[1,1,0] op_sel_hi:[0,1,1] neg_lo:[1,0,0]
	v_pk_fma_f32 v[8:9], v[50:51], v[44:45], v[8:9] op_sel:[0,1,0]
	v_pk_fma_f32 v[0:1], v[46:47], v[44:45], v[0:1] op_sel:[1,1,0] op_sel_hi:[0,1,1] neg_lo:[1,0,0]
	s_andn2_b64 exec, exec, s[10:11]
	s_cbranch_execnz .LBB14_22
; %bb.23:
	s_or_b64 exec, exec, s[10:11]
.LBB14_24:
	s_or_b64 exec, exec, s[6:7]
	s_cbranch_execz .LBB14_26
	s_branch .LBB14_31
.LBB14_25:
                                        ; implicit-def: $vgpr15
                                        ; implicit-def: $vgpr1
                                        ; implicit-def: $vgpr9
.LBB14_26:
	v_mov_b32_e32 v15, 0
	v_mov_b32_e32 v14, v15
	v_mov_b32_e32 v1, v15
	v_mov_b32_e32 v0, v15
	v_mov_b32_e32 v9, v15
	v_mov_b32_e32 v8, v15
	s_and_saveexec_b64 s[6:7], s[2:3]
	s_cbranch_execz .LBB14_30
; %bb.27:
	v_mov_b32_e32 v8, 0
	s_mov_b64 s[2:3], 0
	s_mov_b64 s[10:11], 0x1200
	v_mov_b32_e32 v9, v8
	v_mov_b32_e32 v0, v8
	v_mov_b32_e32 v1, v8
	v_mov_b32_e32 v14, v8
	v_mov_b32_e32 v15, v8
.LBB14_28:                              ; =>This Inner Loop Header: Depth=1
	v_ashrrev_i32_e32 v11, 31, v10
	v_lshl_add_u64 v[30:31], v[10:11], 2, s[8:9]
	global_load_dword v11, v[30:31], off
	global_load_dwordx4 v[16:19], v[12:13], off offset:48
	global_load_dwordx4 v[22:25], v[12:13], off offset:16
	global_load_dwordx4 v[26:29], v[12:13], off
	v_add_u32_e32 v10, 64, v10
	v_cmp_ge_i32_e32 vcc, v10, v20
	s_or_b64 s[2:3], vcc, s[2:3]
	s_waitcnt vmcnt(3)
	v_subrev_u32_e32 v11, s12, v11
	v_lshl_add_u32 v30, v11, 1, v11
	v_ashrrev_i32_e32 v31, 31, v30
	s_waitcnt lgkmcnt(0)
	v_lshl_add_u64 v[38:39], v[30:31], 3, s[4:5]
	global_load_dwordx2 v[40:41], v[38:39], off offset:16
	global_load_dwordx4 v[30:33], v[38:39], off
	global_load_dwordx4 v[34:37], v[12:13], off offset:32
	global_load_dwordx2 v[42:43], v[12:13], off offset:64
	s_waitcnt vmcnt(4)
	v_xor_b32_e32 v44, 0x80000000, v29
	v_mov_b32_e32 v45, v28
	v_xor_b32_e32 v38, 0x80000000, v25
	v_mov_b32_e32 v39, v24
	;; [unrolled: 2-line block ×3, first 2 shown]
	v_lshl_add_u64 v[12:13], v[12:13], 0, s[10:11]
	s_waitcnt vmcnt(2)
	v_pk_fma_f32 v[14:15], v[26:27], v[30:31], v[14:15] op_sel_hi:[1,0,1]
	v_pk_fma_f32 v[8:9], v[28:29], v[30:31], v[8:9] op_sel_hi:[1,0,1]
	;; [unrolled: 1-line block ×3, first 2 shown]
	v_pk_fma_f32 v[14:15], v[26:27], v[30:31], v[14:15] op_sel:[1,1,0] op_sel_hi:[0,1,1] neg_lo:[1,0,0]
	v_pk_fma_f32 v[8:9], v[44:45], v[30:31], v[8:9] op_sel:[0,1,0]
	v_pk_fma_f32 v[0:1], v[22:23], v[30:31], v[0:1] op_sel:[1,1,0] op_sel_hi:[0,1,1] neg_lo:[1,0,0]
	s_waitcnt vmcnt(1)
	v_xor_b32_e32 v48, 0x80000000, v37
	v_mov_b32_e32 v49, v36
	v_mov_b32_e32 v50, v33
	v_pk_fma_f32 v[14:15], v[24:25], v[32:33], v[14:15] op_sel_hi:[1,0,1]
	v_pk_fma_f32 v[8:9], v[34:35], v[32:33], v[8:9] op_sel_hi:[1,0,1]
	;; [unrolled: 1-line block ×4, first 2 shown]
	v_pk_fma_f32 v[8:9], v[34:35], v[50:51], v[8:9] op_sel:[1,0,0] op_sel_hi:[0,0,1] neg_lo:[1,0,0]
	v_pk_fma_f32 v[0:1], v[48:49], v[50:51], v[0:1] op_sel_hi:[1,0,1]
	v_pk_fma_f32 v[14:15], v[16:17], v[40:41], v[14:15] op_sel_hi:[1,0,1]
	;; [unrolled: 1-line block ×3, first 2 shown]
	s_waitcnt vmcnt(0)
	v_pk_fma_f32 v[0:1], v[42:43], v[40:41], v[0:1] op_sel_hi:[1,0,1]
	v_pk_fma_f32 v[14:15], v[16:17], v[40:41], v[14:15] op_sel:[1,1,0] op_sel_hi:[0,1,1] neg_lo:[1,0,0]
	v_pk_fma_f32 v[8:9], v[46:47], v[40:41], v[8:9] op_sel:[0,1,0]
	v_pk_fma_f32 v[0:1], v[42:43], v[40:41], v[0:1] op_sel:[1,1,0] op_sel_hi:[0,1,1] neg_lo:[1,0,0]
	s_andn2_b64 exec, exec, s[2:3]
	s_cbranch_execnz .LBB14_28
; %bb.29:
	s_or_b64 exec, exec, s[2:3]
.LBB14_30:
	s_or_b64 exec, exec, s[6:7]
.LBB14_31:
	v_mov_b32_dpp v12, v15 row_shr:1 row_mask:0xf bank_mask:0xf
	v_add_f32_e32 v12, v15, v12
	v_mov_b32_dpp v10, v14 row_shr:1 row_mask:0xf bank_mask:0xf
	v_add_f32_e32 v10, v14, v10
	;; [unrolled: 2-line block ×8, first 2 shown]
	v_mov_b32_dpp v13, v12 row_bcast:15 row_mask:0xa bank_mask:0xf
	v_add_f32_e32 v13, v12, v13
	v_mov_b32_dpp v12, v8 row_shr:1 row_mask:0xf bank_mask:0xf
	v_add_f32_e32 v8, v8, v12
	v_mov_b32_dpp v11, v10 row_bcast:15 row_mask:0xa bank_mask:0xf
	v_add_f32_e32 v10, v10, v11
	v_mov_b32_dpp v12, v8 row_shr:2 row_mask:0xf bank_mask:0xf
	v_add_f32_e32 v8, v8, v12
	v_mov_b32_dpp v11, v10 row_bcast:31 row_mask:0xc bank_mask:0xf
	v_mov_b32_dpp v14, v13 row_bcast:31 row_mask:0xc bank_mask:0xf
	v_mov_b32_dpp v12, v8 row_shr:4 row_mask:0xf bank_mask:0xe
	v_add_f32_e32 v8, v8, v12
	v_cmp_eq_u32_e32 vcc, 63, v7
	s_nop 0
	v_mov_b32_dpp v12, v8 row_shr:8 row_mask:0xf bank_mask:0xc
	v_add_f32_e32 v8, v8, v12
	s_nop 1
	v_mov_b32_dpp v12, v8 row_bcast:15 row_mask:0xa bank_mask:0xf
	v_add_f32_e32 v8, v8, v12
	s_nop 0
	v_mov_b32_dpp v12, v9 row_shr:1 row_mask:0xf bank_mask:0xf
	v_add_f32_e32 v9, v9, v12
	v_mov_b32_dpp v15, v8 row_bcast:31 row_mask:0xc bank_mask:0xf
	s_nop 0
	v_mov_b32_dpp v12, v9 row_shr:2 row_mask:0xf bank_mask:0xf
	v_add_f32_e32 v9, v9, v12
	s_nop 1
	v_mov_b32_dpp v12, v9 row_shr:4 row_mask:0xf bank_mask:0xe
	v_add_f32_e32 v9, v9, v12
	s_nop 1
	v_mov_b32_dpp v12, v9 row_shr:8 row_mask:0xf bank_mask:0xc
	v_add_f32_e32 v9, v9, v12
	s_nop 1
	v_mov_b32_dpp v12, v9 row_bcast:15 row_mask:0xa bank_mask:0xf
	v_add_f32_e32 v9, v9, v12
	s_nop 0
	v_mov_b32_dpp v12, v0 row_shr:1 row_mask:0xf bank_mask:0xf
	v_add_f32_e32 v0, v0, v12
	v_mov_b32_dpp v17, v9 row_bcast:31 row_mask:0xc bank_mask:0xf
	s_nop 0
	v_mov_b32_dpp v12, v0 row_shr:2 row_mask:0xf bank_mask:0xf
	v_add_f32_e32 v0, v0, v12
	s_nop 1
	v_mov_b32_dpp v12, v0 row_shr:4 row_mask:0xf bank_mask:0xe
	v_add_f32_e32 v0, v0, v12
	;; [unrolled: 16-line block ×3, first 2 shown]
	s_nop 1
	v_mov_b32_dpp v12, v1 row_shr:8 row_mask:0xf bank_mask:0xc
	v_add_f32_e32 v1, v1, v12
	s_nop 1
	v_mov_b32_dpp v12, v1 row_bcast:15 row_mask:0xa bank_mask:0xf
	v_add_f32_e32 v1, v1, v12
	s_nop 1
	v_mov_b32_dpp v19, v1 row_bcast:31 row_mask:0xc bank_mask:0xf
	s_and_b64 exec, exec, vcc
	s_cbranch_execz .LBB14_14
; %bb.32:
	s_load_dwordx2 s[2:3], s[0:1], 0x50
	v_add_f32_e32 v12, v10, v11
	v_add_f32_e32 v10, v8, v15
	;; [unrolled: 1-line block ×3, first 2 shown]
	v_and_b32_e32 v1, 0x7fffffff, v4
	v_cmp_eq_u32_e32 vcc, 0, v1
	v_cmp_eq_f32_e64 s[0:1], 0, v5
	v_lshl_add_u32 v6, v6, 1, v6
	v_add_f32_e32 v16, v13, v14
	v_add_f32_e32 v14, v9, v17
	;; [unrolled: 1-line block ×3, first 2 shown]
	s_and_b64 s[0:1], vcc, s[0:1]
	v_ashrrev_i32_e32 v7, 31, v6
	s_waitcnt lgkmcnt(0)
	s_and_saveexec_b64 s[4:5], s[0:1]
	s_xor_b64 s[0:1], exec, s[4:5]
	s_cbranch_execz .LBB14_34
; %bb.33:
	v_xor_b32_e32 v18, 0x80000000, v3
	v_mov_b32_e32 v19, v2
	v_lshl_add_u64 v[20:21], v[6:7], 3, s[2:3]
	v_pk_mul_f32 v[4:5], v[16:17], v[18:19] op_sel_hi:[0,1]
	v_pk_mul_f32 v[6:7], v[14:15], v[18:19] op_sel_hi:[0,1]
	v_pk_fma_f32 v[4:5], v[2:3], v[12:13], v[4:5] op_sel_hi:[1,0,1]
	v_pk_fma_f32 v[6:7], v[2:3], v[10:11], v[6:7] op_sel_hi:[1,0,1]
	global_store_dwordx4 v[20:21], v[4:7], off
                                        ; implicit-def: $vgpr12
                                        ; implicit-def: $vgpr16
                                        ; implicit-def: $vgpr10
                                        ; implicit-def: $vgpr14
                                        ; implicit-def: $vgpr6
	s_nop 1
	v_pk_mul_f32 v[4:5], v[8:9], v[18:19] op_sel_hi:[0,1]
	v_pk_fma_f32 v[0:1], v[2:3], v[0:1], v[4:5] op_sel_hi:[1,0,1]
	global_store_dwordx2 v[20:21], v[0:1], off offset:16
                                        ; implicit-def: $vgpr3
                                        ; implicit-def: $vgpr4
                                        ; implicit-def: $vgpr0
                                        ; implicit-def: $vgpr8
.LBB14_34:
	s_andn2_saveexec_b64 s[0:1], s[0:1]
	s_cbranch_execz .LBB14_14
; %bb.35:
	v_lshl_add_u64 v[6:7], v[6:7], 3, s[2:3]
	global_load_dwordx4 v[18:21], v[6:7], off
	global_load_dwordx2 v[22:23], v[6:7], off offset:16
	v_xor_b32_e32 v24, 0x80000000, v3
	v_mov_b32_e32 v25, v2
	v_pk_mul_f32 v[16:17], v[16:17], v[24:25] op_sel_hi:[0,1]
	v_pk_mul_f32 v[14:15], v[14:15], v[24:25] op_sel_hi:[0,1]
	;; [unrolled: 1-line block ×3, first 2 shown]
	v_pk_fma_f32 v[12:13], v[2:3], v[12:13], v[16:17] op_sel_hi:[1,0,1]
	v_pk_fma_f32 v[10:11], v[2:3], v[10:11], v[14:15] op_sel_hi:[1,0,1]
	v_xor_b32_e32 v26, 0x80000000, v5
	v_mov_b32_e32 v27, v4
	v_pk_fma_f32 v[0:1], v[2:3], v[0:1], v[8:9] op_sel_hi:[1,0,1]
	s_waitcnt vmcnt(1)
	v_pk_fma_f32 v[2:3], v[4:5], v[18:19], v[12:13] op_sel_hi:[1,0,1]
	v_pk_fma_f32 v[8:9], v[4:5], v[20:21], v[10:11] op_sel_hi:[1,0,1]
	v_mov_b32_e32 v10, v21
	s_waitcnt vmcnt(0)
	v_pk_fma_f32 v[4:5], v[4:5], v[22:23], v[0:1] op_sel_hi:[1,0,1]
	v_pk_fma_f32 v[0:1], v[26:27], v[18:19], v[2:3] op_sel:[0,1,0]
	v_pk_fma_f32 v[2:3], v[26:27], v[10:11], v[8:9] op_sel_hi:[1,0,1]
	v_pk_fma_f32 v[4:5], v[26:27], v[22:23], v[4:5] op_sel:[0,1,0]
	global_store_dwordx4 v[6:7], v[0:3], off
	global_store_dwordx2 v[6:7], v[4:5], off offset:16
	s_endpgm
	.section	.rodata,"a",@progbits
	.p2align	6, 0x0
	.amdhsa_kernel _ZN9rocsparseL18bsrxmvn_3x3_kernelILj256ELj64E21rocsparse_complex_numIfEiiS2_S2_S2_EEvT3_20rocsparse_direction_NS_24const_host_device_scalarIT1_EES3_PKS3_PKT2_SC_S9_PKT4_PKT5_S7_PT6_21rocsparse_index_base_b
		.amdhsa_group_segment_fixed_size 0
		.amdhsa_private_segment_fixed_size 0
		.amdhsa_kernarg_size 96
		.amdhsa_user_sgpr_count 2
		.amdhsa_user_sgpr_dispatch_ptr 0
		.amdhsa_user_sgpr_queue_ptr 0
		.amdhsa_user_sgpr_kernarg_segment_ptr 1
		.amdhsa_user_sgpr_dispatch_id 0
		.amdhsa_user_sgpr_kernarg_preload_length 0
		.amdhsa_user_sgpr_kernarg_preload_offset 0
		.amdhsa_user_sgpr_private_segment_size 0
		.amdhsa_uses_dynamic_stack 0
		.amdhsa_enable_private_segment 0
		.amdhsa_system_sgpr_workgroup_id_x 1
		.amdhsa_system_sgpr_workgroup_id_y 0
		.amdhsa_system_sgpr_workgroup_id_z 0
		.amdhsa_system_sgpr_workgroup_info 0
		.amdhsa_system_vgpr_workitem_id 0
		.amdhsa_next_free_vgpr 56
		.amdhsa_next_free_sgpr 16
		.amdhsa_accum_offset 56
		.amdhsa_reserve_vcc 1
		.amdhsa_float_round_mode_32 0
		.amdhsa_float_round_mode_16_64 0
		.amdhsa_float_denorm_mode_32 3
		.amdhsa_float_denorm_mode_16_64 3
		.amdhsa_dx10_clamp 1
		.amdhsa_ieee_mode 1
		.amdhsa_fp16_overflow 0
		.amdhsa_tg_split 0
		.amdhsa_exception_fp_ieee_invalid_op 0
		.amdhsa_exception_fp_denorm_src 0
		.amdhsa_exception_fp_ieee_div_zero 0
		.amdhsa_exception_fp_ieee_overflow 0
		.amdhsa_exception_fp_ieee_underflow 0
		.amdhsa_exception_fp_ieee_inexact 0
		.amdhsa_exception_int_div_zero 0
	.end_amdhsa_kernel
	.section	.text._ZN9rocsparseL18bsrxmvn_3x3_kernelILj256ELj64E21rocsparse_complex_numIfEiiS2_S2_S2_EEvT3_20rocsparse_direction_NS_24const_host_device_scalarIT1_EES3_PKS3_PKT2_SC_S9_PKT4_PKT5_S7_PT6_21rocsparse_index_base_b,"axG",@progbits,_ZN9rocsparseL18bsrxmvn_3x3_kernelILj256ELj64E21rocsparse_complex_numIfEiiS2_S2_S2_EEvT3_20rocsparse_direction_NS_24const_host_device_scalarIT1_EES3_PKS3_PKT2_SC_S9_PKT4_PKT5_S7_PT6_21rocsparse_index_base_b,comdat
.Lfunc_end14:
	.size	_ZN9rocsparseL18bsrxmvn_3x3_kernelILj256ELj64E21rocsparse_complex_numIfEiiS2_S2_S2_EEvT3_20rocsparse_direction_NS_24const_host_device_scalarIT1_EES3_PKS3_PKT2_SC_S9_PKT4_PKT5_S7_PT6_21rocsparse_index_base_b, .Lfunc_end14-_ZN9rocsparseL18bsrxmvn_3x3_kernelILj256ELj64E21rocsparse_complex_numIfEiiS2_S2_S2_EEvT3_20rocsparse_direction_NS_24const_host_device_scalarIT1_EES3_PKS3_PKT2_SC_S9_PKT4_PKT5_S7_PT6_21rocsparse_index_base_b
                                        ; -- End function
	.section	.AMDGPU.csdata,"",@progbits
; Kernel info:
; codeLenInByte = 2272
; NumSgprs: 22
; NumVgprs: 56
; NumAgprs: 0
; TotalNumVgprs: 56
; ScratchSize: 0
; MemoryBound: 0
; FloatMode: 240
; IeeeMode: 1
; LDSByteSize: 0 bytes/workgroup (compile time only)
; SGPRBlocks: 2
; VGPRBlocks: 6
; NumSGPRsForWavesPerEU: 22
; NumVGPRsForWavesPerEU: 56
; AccumOffset: 56
; Occupancy: 8
; WaveLimiterHint : 1
; COMPUTE_PGM_RSRC2:SCRATCH_EN: 0
; COMPUTE_PGM_RSRC2:USER_SGPR: 2
; COMPUTE_PGM_RSRC2:TRAP_HANDLER: 0
; COMPUTE_PGM_RSRC2:TGID_X_EN: 1
; COMPUTE_PGM_RSRC2:TGID_Y_EN: 0
; COMPUTE_PGM_RSRC2:TGID_Z_EN: 0
; COMPUTE_PGM_RSRC2:TIDIG_COMP_CNT: 0
; COMPUTE_PGM_RSRC3_GFX90A:ACCUM_OFFSET: 13
; COMPUTE_PGM_RSRC3_GFX90A:TG_SPLIT: 0
	.section	.text._ZN9rocsparseL18bsrxmvn_3x3_kernelILj256ELj4E21rocsparse_complex_numIdEiiS2_S2_S2_EEvT3_20rocsparse_direction_NS_24const_host_device_scalarIT1_EES3_PKS3_PKT2_SC_S9_PKT4_PKT5_S7_PT6_21rocsparse_index_base_b,"axG",@progbits,_ZN9rocsparseL18bsrxmvn_3x3_kernelILj256ELj4E21rocsparse_complex_numIdEiiS2_S2_S2_EEvT3_20rocsparse_direction_NS_24const_host_device_scalarIT1_EES3_PKS3_PKT2_SC_S9_PKT4_PKT5_S7_PT6_21rocsparse_index_base_b,comdat
	.globl	_ZN9rocsparseL18bsrxmvn_3x3_kernelILj256ELj4E21rocsparse_complex_numIdEiiS2_S2_S2_EEvT3_20rocsparse_direction_NS_24const_host_device_scalarIT1_EES3_PKS3_PKT2_SC_S9_PKT4_PKT5_S7_PT6_21rocsparse_index_base_b ; -- Begin function _ZN9rocsparseL18bsrxmvn_3x3_kernelILj256ELj4E21rocsparse_complex_numIdEiiS2_S2_S2_EEvT3_20rocsparse_direction_NS_24const_host_device_scalarIT1_EES3_PKS3_PKT2_SC_S9_PKT4_PKT5_S7_PT6_21rocsparse_index_base_b
	.p2align	8
	.type	_ZN9rocsparseL18bsrxmvn_3x3_kernelILj256ELj4E21rocsparse_complex_numIdEiiS2_S2_S2_EEvT3_20rocsparse_direction_NS_24const_host_device_scalarIT1_EES3_PKS3_PKT2_SC_S9_PKT4_PKT5_S7_PT6_21rocsparse_index_base_b,@function
_ZN9rocsparseL18bsrxmvn_3x3_kernelILj256ELj4E21rocsparse_complex_numIdEiiS2_S2_S2_EEvT3_20rocsparse_direction_NS_24const_host_device_scalarIT1_EES3_PKS3_PKT2_SC_S9_PKT4_PKT5_S7_PT6_21rocsparse_index_base_b: ; @_ZN9rocsparseL18bsrxmvn_3x3_kernelILj256ELj4E21rocsparse_complex_numIdEiiS2_S2_S2_EEvT3_20rocsparse_direction_NS_24const_host_device_scalarIT1_EES3_PKS3_PKT2_SC_S9_PKT4_PKT5_S7_PT6_21rocsparse_index_base_b
; %bb.0:
	s_load_dwordx2 s[16:17], s[2:3], 0x68
	s_load_dwordx4 s[8:11], s[2:3], 0x8
	s_load_dwordx2 s[18:19], s[0:1], 0x4
	s_load_dwordx4 s[12:15], s[2:3], 0x50
	s_mov_b64 s[6:7], src_shared_base
	v_and_b32_e32 v2, 0x3ff, v0
	s_waitcnt lgkmcnt(0)
	s_bitcmp1_b32 s17, 0
	s_cselect_b64 s[0:1], -1, 0
	s_and_b64 vcc, s[0:1], exec
	s_cselect_b32 s5, s7, s9
	s_lshr_b32 s6, s18, 16
	s_mul_i32 s6, s6, s19
	v_mul_lo_u32 v3, s6, v2
	v_bfe_u32 v4, v0, 10, 10
	v_mad_u32_u24 v3, v4, s19, v3
	v_bfe_u32 v0, v0, 20, 10
	v_add_lshl_u32 v0, v3, v0, 3
	v_mov_b32_e32 v1, s8
	v_add_u32_e32 v3, 0x800, v0
	v_mov_b64_e32 v[4:5], s[8:9]
	v_mov_b64_e32 v[6:7], s[12:13]
	ds_write2st64_b64 v0, v[6:7], v[4:5] offset1:4
	v_cndmask_b32_e64 v4, v1, v3, s[0:1]
	v_mov_b32_e32 v5, s5
	flat_load_dwordx2 v[16:17], v[4:5]
	s_xor_b64 s[18:19], s[0:1], -1
	v_mov_b64_e32 v[18:19], s[10:11]
	s_cbranch_vccnz .LBB15_2
; %bb.1:
	v_mov_b64_e32 v[4:5], s[8:9]
	flat_load_dwordx2 v[18:19], v[4:5] offset:8
.LBB15_2:
	s_and_b64 s[8:9], s[0:1], exec
	s_cselect_b32 s5, s7, s13
	v_mov_b32_e32 v1, s12
	v_cndmask_b32_e64 v0, v1, v0, s[0:1]
	v_mov_b32_e32 v1, s5
	flat_load_dwordx2 v[12:13], v[0:1]
	s_andn2_b64 vcc, exec, s[18:19]
	v_mov_b64_e32 v[14:15], s[14:15]
	s_cbranch_vccnz .LBB15_4
; %bb.3:
	v_mov_b64_e32 v[0:1], s[12:13]
	flat_load_dwordx2 v[14:15], v[0:1] offset:8
.LBB15_4:
	s_waitcnt vmcnt(0) lgkmcnt(0)
	v_cmp_eq_f64_e32 vcc, 0, v[16:17]
	v_cmp_eq_f64_e64 s[0:1], 0, v[18:19]
	s_and_b64 s[8:9], vcc, s[0:1]
	s_mov_b64 s[0:1], -1
	s_and_saveexec_b64 s[6:7], s[8:9]
; %bb.5:
	v_cmp_neq_f64_e32 vcc, 1.0, v[12:13]
	v_cmp_neq_f64_e64 s[0:1], 0, v[14:15]
	s_or_b64 s[0:1], vcc, s[0:1]
	s_orn2_b64 s[0:1], s[0:1], exec
; %bb.6:
	s_or_b64 exec, exec, s[6:7]
	s_and_saveexec_b64 s[6:7], s[0:1]
	s_cbranch_execz .LBB15_12
; %bb.7:
	s_load_dwordx2 s[6:7], s[2:3], 0x20
	s_load_dwordx2 s[0:1], s[2:3], 0x0
	v_lshrrev_b32_e32 v0, 2, v2
	v_lshl_or_b32 v0, s4, 6, v0
	s_mov_b64 s[4:5], 0
	s_waitcnt lgkmcnt(0)
	s_cmp_lg_u64 s[6:7], 0
	s_cbranch_scc0 .LBB15_13
; %bb.8:
	s_load_dword s8, s[2:3], 0x18
                                        ; implicit-def: $vgpr1
	s_waitcnt lgkmcnt(0)
	v_cmp_gt_i32_e32 vcc, s8, v0
	s_and_saveexec_b64 s[8:9], vcc
	s_xor_b64 s[8:9], exec, s[8:9]
	s_cbranch_execz .LBB15_10
; %bb.9:
	v_ashrrev_i32_e32 v1, 31, v0
	v_lshl_add_u64 v[4:5], v[0:1], 2, s[6:7]
	global_load_dword v1, v[4:5], off
	s_mov_b64 s[4:5], exec
	s_waitcnt vmcnt(0)
	v_subrev_u32_e32 v1, s16, v1
.LBB15_10:
	s_or_b64 exec, exec, s[8:9]
	s_branch .LBB15_14
.LBB15_11:
	v_cmp_gt_i32_e32 vcc, s0, v0
	s_andn2_b64 s[4:5], s[4:5], exec
	s_and_b64 s[6:7], vcc, exec
	s_or_b64 s[4:5], s[4:5], s[6:7]
	s_and_b64 exec, exec, s[4:5]
	s_cbranch_execnz .LBB15_15
.LBB15_12:
	s_endpgm
.LBB15_13:
                                        ; implicit-def: $vgpr1
	s_cbranch_execnz .LBB15_11
.LBB15_14:
	v_mov_b32_e32 v0, v1
	s_and_b64 exec, exec, s[4:5]
	s_cbranch_execz .LBB15_12
.LBB15_15:
	s_load_dwordx8 s[4:11], s[2:3], 0x28
	v_ashrrev_i32_e32 v1, 31, v0
	v_lshlrev_b64 v[4:5], 2, v[0:1]
	v_and_b32_e32 v1, 3, v2
	s_movk_i32 s0, 0x90
	s_waitcnt lgkmcnt(0)
	v_lshl_add_u64 v[6:7], s[4:5], 0, v[4:5]
	s_cmp_eq_u64 s[6:7], 0
	global_load_dword v8, v[6:7], off
	v_lshl_add_u64 v[6:7], v[6:7], 0, 4
	v_lshl_add_u64 v[4:5], s[6:7], 0, v[4:5]
	s_cselect_b64 vcc, -1, 0
	v_cndmask_b32_e32 v5, v5, v7, vcc
	v_cndmask_b32_e32 v4, v4, v6, vcc
	global_load_dword v4, v[4:5], off
	s_load_dwordx2 s[4:5], s[2:3], 0x48
	v_mov_b64_e32 v[2:3], s[10:11]
	s_cmp_eq_u32 s1, 1
	s_waitcnt vmcnt(1)
	v_subrev_u32_e32 v5, s16, v8
	v_add_u32_e32 v8, v5, v1
	v_mad_i64_i32 v[10:11], s[6:7], v8, s0, v[2:3]
	s_waitcnt vmcnt(0)
	v_subrev_u32_e32 v30, s16, v4
	v_cmp_lt_i32_e64 s[0:1], v8, v30
	s_cbranch_scc1 .LBB15_21
; %bb.16:
	v_mov_b64_e32 v[4:5], 0
	s_mov_b64 s[6:7], 0
	v_mov_b64_e32 v[22:23], v[4:5]
	v_mov_b64_e32 v[20:21], v[4:5]
	v_mov_b64_e32 v[2:3], v[4:5]
	v_mov_b64_e32 v[24:25], v[4:5]
	v_mov_b64_e32 v[6:7], v[4:5]
	s_and_saveexec_b64 s[10:11], s[0:1]
	s_cbranch_execz .LBB15_20
; %bb.17:
	v_mov_b64_e32 v[4:5], 0
	s_mov_b64 s[12:13], 0
	s_mov_b64 s[14:15], 0x240
	v_mov_b32_e32 v26, v8
	v_mov_b64_e32 v[28:29], v[10:11]
	v_mov_b64_e32 v[22:23], v[4:5]
	;; [unrolled: 1-line block ×6, first 2 shown]
.LBB15_18:                              ; =>This Inner Loop Header: Depth=1
	v_ashrrev_i32_e32 v27, 31, v26
	v_lshl_add_u64 v[68:69], v[26:27], 2, s[8:9]
	global_load_dword v9, v[68:69], off
	global_load_dwordx4 v[32:35], v[28:29], off offset:48
	global_load_dwordx4 v[36:39], v[28:29], off offset:32
	;; [unrolled: 1-line block ×3, first 2 shown]
	global_load_dwordx4 v[44:47], v[28:29], off
	global_load_dwordx4 v[48:51], v[28:29], off offset:112
	global_load_dwordx4 v[52:55], v[28:29], off offset:96
	;; [unrolled: 1-line block ×5, first 2 shown]
	v_add_u32_e32 v26, 4, v26
	v_cmp_ge_i32_e32 vcc, v26, v30
	v_lshl_add_u64 v[28:29], v[28:29], 0, s[14:15]
	s_or_b64 s[12:13], vcc, s[12:13]
	s_waitcnt vmcnt(9)
	v_subrev_u32_e32 v9, s16, v9
	v_lshl_add_u32 v68, v9, 1, v9
	v_ashrrev_i32_e32 v69, 31, v68
	s_waitcnt lgkmcnt(0)
	v_lshl_add_u64 v[80:81], v[68:69], 4, s[4:5]
	global_load_dwordx4 v[68:71], v[80:81], off
	global_load_dwordx4 v[72:75], v[80:81], off offset:16
	global_load_dwordx4 v[76:79], v[80:81], off offset:32
	s_waitcnt vmcnt(2)
	v_fmac_f64_e32 v[22:23], v[44:45], v[68:69]
	v_fmac_f64_e32 v[4:5], v[46:47], v[68:69]
	v_fmac_f64_e32 v[24:25], v[32:33], v[68:69]
	v_fmac_f64_e32 v[6:7], v[34:35], v[68:69]
	v_fmac_f64_e32 v[20:21], v[52:53], v[68:69]
	v_fmac_f64_e32 v[2:3], v[54:55], v[68:69]
	v_fma_f64 v[22:23], -v[46:47], v[70:71], v[22:23]
	v_fmac_f64_e32 v[4:5], v[44:45], v[70:71]
	v_fma_f64 v[24:25], -v[34:35], v[70:71], v[24:25]
	v_fmac_f64_e32 v[6:7], v[32:33], v[70:71]
	v_fma_f64 v[20:21], -v[54:55], v[70:71], v[20:21]
	v_fmac_f64_e32 v[2:3], v[52:53], v[70:71]
	s_waitcnt vmcnt(1)
	v_fmac_f64_e32 v[22:23], v[40:41], v[72:73]
	v_fmac_f64_e32 v[4:5], v[42:43], v[72:73]
	v_fmac_f64_e32 v[24:25], v[60:61], v[72:73]
	v_fmac_f64_e32 v[6:7], v[62:63], v[72:73]
	v_fmac_f64_e32 v[20:21], v[48:49], v[72:73]
	v_fmac_f64_e32 v[2:3], v[50:51], v[72:73]
	v_fma_f64 v[22:23], -v[42:43], v[74:75], v[22:23]
	v_fmac_f64_e32 v[4:5], v[40:41], v[74:75]
	v_fma_f64 v[24:25], -v[62:63], v[74:75], v[24:25]
	v_fmac_f64_e32 v[6:7], v[60:61], v[74:75]
	v_fma_f64 v[20:21], -v[50:51], v[74:75], v[20:21]
	v_fmac_f64_e32 v[2:3], v[48:49], v[74:75]
	;; [unrolled: 13-line block ×3, first 2 shown]
	s_andn2_b64 exec, exec, s[12:13]
	s_cbranch_execnz .LBB15_18
; %bb.19:
	s_or_b64 exec, exec, s[12:13]
.LBB15_20:
	s_or_b64 exec, exec, s[10:11]
	s_andn2_b64 vcc, exec, s[6:7]
	s_cbranch_vccz .LBB15_22
	s_branch .LBB15_27
.LBB15_21:
                                        ; implicit-def: $vgpr4_vgpr5
                                        ; implicit-def: $vgpr22_vgpr23
                                        ; implicit-def: $vgpr20_vgpr21
                                        ; implicit-def: $vgpr2_vgpr3
                                        ; implicit-def: $vgpr24_vgpr25
                                        ; implicit-def: $vgpr6_vgpr7
.LBB15_22:
	v_mov_b64_e32 v[4:5], 0
	v_mov_b64_e32 v[22:23], v[4:5]
	;; [unrolled: 1-line block ×6, first 2 shown]
	s_and_saveexec_b64 s[6:7], s[0:1]
	s_cbranch_execz .LBB15_26
; %bb.23:
	v_mov_b64_e32 v[4:5], 0
	s_mov_b64 s[0:1], 0
	s_mov_b64 s[10:11], 0x240
	v_mov_b64_e32 v[22:23], v[4:5]
	v_mov_b64_e32 v[20:21], v[4:5]
	;; [unrolled: 1-line block ×5, first 2 shown]
.LBB15_24:                              ; =>This Inner Loop Header: Depth=1
	v_ashrrev_i32_e32 v9, 31, v8
	v_lshl_add_u64 v[64:65], v[8:9], 2, s[8:9]
	global_load_dword v9, v[64:65], off
	global_load_dwordx4 v[26:29], v[10:11], off offset:48
	global_load_dwordx4 v[32:35], v[10:11], off offset:32
	;; [unrolled: 1-line block ×3, first 2 shown]
	global_load_dwordx4 v[40:43], v[10:11], off
	global_load_dwordx4 v[44:47], v[10:11], off offset:112
	global_load_dwordx4 v[48:51], v[10:11], off offset:96
	;; [unrolled: 1-line block ×5, first 2 shown]
	v_add_u32_e32 v8, 4, v8
	v_cmp_ge_i32_e32 vcc, v8, v30
	v_lshl_add_u64 v[10:11], v[10:11], 0, s[10:11]
	s_or_b64 s[0:1], vcc, s[0:1]
	s_waitcnt vmcnt(9)
	v_subrev_u32_e32 v9, s16, v9
	v_lshl_add_u32 v64, v9, 1, v9
	v_ashrrev_i32_e32 v65, 31, v64
	s_waitcnt lgkmcnt(0)
	v_lshl_add_u64 v[76:77], v[64:65], 4, s[4:5]
	global_load_dwordx4 v[64:67], v[76:77], off
	global_load_dwordx4 v[68:71], v[76:77], off offset:16
	global_load_dwordx4 v[72:75], v[76:77], off offset:32
	s_waitcnt vmcnt(2)
	v_fmac_f64_e32 v[22:23], v[40:41], v[64:65]
	v_fmac_f64_e32 v[4:5], v[42:43], v[64:65]
	v_fmac_f64_e32 v[24:25], v[36:37], v[64:65]
	v_fmac_f64_e32 v[6:7], v[38:39], v[64:65]
	v_fmac_f64_e32 v[20:21], v[32:33], v[64:65]
	v_fmac_f64_e32 v[2:3], v[34:35], v[64:65]
	v_fma_f64 v[22:23], -v[42:43], v[66:67], v[22:23]
	v_fmac_f64_e32 v[4:5], v[40:41], v[66:67]
	v_fma_f64 v[24:25], -v[38:39], v[66:67], v[24:25]
	v_fmac_f64_e32 v[6:7], v[36:37], v[66:67]
	v_fma_f64 v[20:21], -v[34:35], v[66:67], v[20:21]
	v_fmac_f64_e32 v[2:3], v[32:33], v[66:67]
	s_waitcnt vmcnt(1)
	v_fmac_f64_e32 v[22:23], v[26:27], v[68:69]
	v_fmac_f64_e32 v[4:5], v[28:29], v[68:69]
	v_fmac_f64_e32 v[24:25], v[56:57], v[68:69]
	v_fmac_f64_e32 v[6:7], v[58:59], v[68:69]
	v_fmac_f64_e32 v[20:21], v[52:53], v[68:69]
	v_fmac_f64_e32 v[2:3], v[54:55], v[68:69]
	v_fma_f64 v[22:23], -v[28:29], v[70:71], v[22:23]
	v_fmac_f64_e32 v[4:5], v[26:27], v[70:71]
	v_fma_f64 v[24:25], -v[58:59], v[70:71], v[24:25]
	v_fmac_f64_e32 v[6:7], v[56:57], v[70:71]
	v_fma_f64 v[20:21], -v[54:55], v[70:71], v[20:21]
	v_fmac_f64_e32 v[2:3], v[52:53], v[70:71]
	;; [unrolled: 13-line block ×3, first 2 shown]
	s_andn2_b64 exec, exec, s[0:1]
	s_cbranch_execnz .LBB15_24
; %bb.25:
	s_or_b64 exec, exec, s[0:1]
.LBB15_26:
	s_or_b64 exec, exec, s[6:7]
.LBB15_27:
	v_mov_b32_dpp v8, v22 row_shr:1 row_mask:0xf bank_mask:0xf
	v_mov_b32_dpp v9, v23 row_shr:1 row_mask:0xf bank_mask:0xf
	v_add_f64 v[8:9], v[22:23], v[8:9]
	v_mov_b32_dpp v22, v4 row_shr:1 row_mask:0xf bank_mask:0xf
	v_mov_b32_dpp v23, v5 row_shr:1 row_mask:0xf bank_mask:0xf
	;; [unrolled: 1-line block ×10, first 2 shown]
	v_add_f64 v[4:5], v[4:5], v[22:23]
	v_add_f64 v[24:25], v[24:25], v[26:27]
	;; [unrolled: 1-line block ×5, first 2 shown]
	v_mov_b32_dpp v10, v8 row_shr:2 row_mask:0xf bank_mask:0xf
	v_mov_b32_dpp v11, v9 row_shr:2 row_mask:0xf bank_mask:0xf
	;; [unrolled: 1-line block ×12, first 2 shown]
	v_cmp_eq_u32_e32 vcc, 3, v1
	s_and_b64 exec, exec, vcc
	s_cbranch_execz .LBB15_12
; %bb.28:
	s_load_dwordx2 s[2:3], s[2:3], 0x60
	v_add_f64 v[4:5], v[4:5], v[22:23]
	v_add_f64 v[6:7], v[6:7], v[28:29]
	v_add_f64 v[2:3], v[2:3], v[32:33]
	v_add_f64 v[34:35], v[8:9], v[10:11]
	v_add_f64 v[22:23], v[24:25], v[26:27]
	v_add_f64 v[24:25], v[20:21], v[30:31]
	v_cmp_eq_f64_e32 vcc, 0, v[12:13]
	v_cmp_eq_f64_e64 s[0:1], 0, v[14:15]
	v_mul_f64 v[8:9], v[4:5], -v[18:19]
	v_mul_f64 v[10:11], v[16:17], v[4:5]
	v_lshl_add_u32 v20, v0, 1, v0
	v_mul_f64 v[4:5], v[6:7], -v[18:19]
	v_mul_f64 v[6:7], v[16:17], v[6:7]
	v_mul_f64 v[0:1], v[2:3], -v[18:19]
	v_mul_f64 v[2:3], v[16:17], v[2:3]
	s_and_b64 s[0:1], vcc, s[0:1]
	v_fmac_f64_e32 v[8:9], v[16:17], v[34:35]
	v_fmac_f64_e32 v[10:11], v[18:19], v[34:35]
	v_ashrrev_i32_e32 v21, 31, v20
	v_fmac_f64_e32 v[4:5], v[16:17], v[22:23]
	v_fmac_f64_e32 v[6:7], v[18:19], v[22:23]
	;; [unrolled: 1-line block ×4, first 2 shown]
	s_waitcnt lgkmcnt(0)
	s_and_saveexec_b64 s[4:5], s[0:1]
	s_xor_b64 s[0:1], exec, s[4:5]
	s_cbranch_execz .LBB15_30
; %bb.29:
	v_lshl_add_u64 v[12:13], v[20:21], 4, s[2:3]
	global_store_dwordx4 v[12:13], v[8:11], off
	global_store_dwordx4 v[12:13], v[4:7], off offset:16
	global_store_dwordx4 v[12:13], v[0:3], off offset:32
                                        ; implicit-def: $vgpr12_vgpr13
                                        ; implicit-def: $vgpr14_vgpr15
                                        ; implicit-def: $vgpr20
                                        ; implicit-def: $vgpr8_vgpr9
                                        ; implicit-def: $vgpr4_vgpr5
                                        ; implicit-def: $vgpr0_vgpr1
.LBB15_30:
	s_andn2_saveexec_b64 s[0:1], s[0:1]
	s_cbranch_execz .LBB15_12
; %bb.31:
	v_lshl_add_u64 v[28:29], v[20:21], 4, s[2:3]
	global_load_dwordx4 v[16:19], v[28:29], off
	global_load_dwordx4 v[20:23], v[28:29], off offset:16
	global_load_dwordx4 v[24:27], v[28:29], off offset:32
	s_waitcnt vmcnt(2)
	v_fmac_f64_e32 v[8:9], v[12:13], v[16:17]
	v_fmac_f64_e32 v[10:11], v[14:15], v[16:17]
	s_waitcnt vmcnt(1)
	v_fmac_f64_e32 v[4:5], v[12:13], v[20:21]
	v_fmac_f64_e32 v[6:7], v[14:15], v[20:21]
	;; [unrolled: 3-line block ×3, first 2 shown]
	v_fma_f64 v[8:9], -v[14:15], v[18:19], v[8:9]
	v_fmac_f64_e32 v[10:11], v[12:13], v[18:19]
	v_fma_f64 v[4:5], -v[14:15], v[22:23], v[4:5]
	v_fmac_f64_e32 v[6:7], v[12:13], v[22:23]
	;; [unrolled: 2-line block ×3, first 2 shown]
	global_store_dwordx4 v[28:29], v[8:11], off
	global_store_dwordx4 v[28:29], v[4:7], off offset:16
	global_store_dwordx4 v[28:29], v[0:3], off offset:32
	s_endpgm
	.section	.rodata,"a",@progbits
	.p2align	6, 0x0
	.amdhsa_kernel _ZN9rocsparseL18bsrxmvn_3x3_kernelILj256ELj4E21rocsparse_complex_numIdEiiS2_S2_S2_EEvT3_20rocsparse_direction_NS_24const_host_device_scalarIT1_EES3_PKS3_PKT2_SC_S9_PKT4_PKT5_S7_PT6_21rocsparse_index_base_b
		.amdhsa_group_segment_fixed_size 4096
		.amdhsa_private_segment_fixed_size 0
		.amdhsa_kernarg_size 112
		.amdhsa_user_sgpr_count 4
		.amdhsa_user_sgpr_dispatch_ptr 1
		.amdhsa_user_sgpr_queue_ptr 0
		.amdhsa_user_sgpr_kernarg_segment_ptr 1
		.amdhsa_user_sgpr_dispatch_id 0
		.amdhsa_user_sgpr_kernarg_preload_length 0
		.amdhsa_user_sgpr_kernarg_preload_offset 0
		.amdhsa_user_sgpr_private_segment_size 0
		.amdhsa_uses_dynamic_stack 0
		.amdhsa_enable_private_segment 0
		.amdhsa_system_sgpr_workgroup_id_x 1
		.amdhsa_system_sgpr_workgroup_id_y 0
		.amdhsa_system_sgpr_workgroup_id_z 0
		.amdhsa_system_sgpr_workgroup_info 0
		.amdhsa_system_vgpr_workitem_id 2
		.amdhsa_next_free_vgpr 82
		.amdhsa_next_free_sgpr 20
		.amdhsa_accum_offset 84
		.amdhsa_reserve_vcc 1
		.amdhsa_float_round_mode_32 0
		.amdhsa_float_round_mode_16_64 0
		.amdhsa_float_denorm_mode_32 3
		.amdhsa_float_denorm_mode_16_64 3
		.amdhsa_dx10_clamp 1
		.amdhsa_ieee_mode 1
		.amdhsa_fp16_overflow 0
		.amdhsa_tg_split 0
		.amdhsa_exception_fp_ieee_invalid_op 0
		.amdhsa_exception_fp_denorm_src 0
		.amdhsa_exception_fp_ieee_div_zero 0
		.amdhsa_exception_fp_ieee_overflow 0
		.amdhsa_exception_fp_ieee_underflow 0
		.amdhsa_exception_fp_ieee_inexact 0
		.amdhsa_exception_int_div_zero 0
	.end_amdhsa_kernel
	.section	.text._ZN9rocsparseL18bsrxmvn_3x3_kernelILj256ELj4E21rocsparse_complex_numIdEiiS2_S2_S2_EEvT3_20rocsparse_direction_NS_24const_host_device_scalarIT1_EES3_PKS3_PKT2_SC_S9_PKT4_PKT5_S7_PT6_21rocsparse_index_base_b,"axG",@progbits,_ZN9rocsparseL18bsrxmvn_3x3_kernelILj256ELj4E21rocsparse_complex_numIdEiiS2_S2_S2_EEvT3_20rocsparse_direction_NS_24const_host_device_scalarIT1_EES3_PKS3_PKT2_SC_S9_PKT4_PKT5_S7_PT6_21rocsparse_index_base_b,comdat
.Lfunc_end15:
	.size	_ZN9rocsparseL18bsrxmvn_3x3_kernelILj256ELj4E21rocsparse_complex_numIdEiiS2_S2_S2_EEvT3_20rocsparse_direction_NS_24const_host_device_scalarIT1_EES3_PKS3_PKT2_SC_S9_PKT4_PKT5_S7_PT6_21rocsparse_index_base_b, .Lfunc_end15-_ZN9rocsparseL18bsrxmvn_3x3_kernelILj256ELj4E21rocsparse_complex_numIdEiiS2_S2_S2_EEvT3_20rocsparse_direction_NS_24const_host_device_scalarIT1_EES3_PKS3_PKT2_SC_S9_PKT4_PKT5_S7_PT6_21rocsparse_index_base_b
                                        ; -- End function
	.section	.AMDGPU.csdata,"",@progbits
; Kernel info:
; codeLenInByte = 2108
; NumSgprs: 26
; NumVgprs: 82
; NumAgprs: 0
; TotalNumVgprs: 82
; ScratchSize: 0
; MemoryBound: 0
; FloatMode: 240
; IeeeMode: 1
; LDSByteSize: 4096 bytes/workgroup (compile time only)
; SGPRBlocks: 3
; VGPRBlocks: 10
; NumSGPRsForWavesPerEU: 26
; NumVGPRsForWavesPerEU: 82
; AccumOffset: 84
; Occupancy: 5
; WaveLimiterHint : 1
; COMPUTE_PGM_RSRC2:SCRATCH_EN: 0
; COMPUTE_PGM_RSRC2:USER_SGPR: 4
; COMPUTE_PGM_RSRC2:TRAP_HANDLER: 0
; COMPUTE_PGM_RSRC2:TGID_X_EN: 1
; COMPUTE_PGM_RSRC2:TGID_Y_EN: 0
; COMPUTE_PGM_RSRC2:TGID_Z_EN: 0
; COMPUTE_PGM_RSRC2:TIDIG_COMP_CNT: 2
; COMPUTE_PGM_RSRC3_GFX90A:ACCUM_OFFSET: 20
; COMPUTE_PGM_RSRC3_GFX90A:TG_SPLIT: 0
	.section	.text._ZN9rocsparseL18bsrxmvn_3x3_kernelILj256ELj8E21rocsparse_complex_numIdEiiS2_S2_S2_EEvT3_20rocsparse_direction_NS_24const_host_device_scalarIT1_EES3_PKS3_PKT2_SC_S9_PKT4_PKT5_S7_PT6_21rocsparse_index_base_b,"axG",@progbits,_ZN9rocsparseL18bsrxmvn_3x3_kernelILj256ELj8E21rocsparse_complex_numIdEiiS2_S2_S2_EEvT3_20rocsparse_direction_NS_24const_host_device_scalarIT1_EES3_PKS3_PKT2_SC_S9_PKT4_PKT5_S7_PT6_21rocsparse_index_base_b,comdat
	.globl	_ZN9rocsparseL18bsrxmvn_3x3_kernelILj256ELj8E21rocsparse_complex_numIdEiiS2_S2_S2_EEvT3_20rocsparse_direction_NS_24const_host_device_scalarIT1_EES3_PKS3_PKT2_SC_S9_PKT4_PKT5_S7_PT6_21rocsparse_index_base_b ; -- Begin function _ZN9rocsparseL18bsrxmvn_3x3_kernelILj256ELj8E21rocsparse_complex_numIdEiiS2_S2_S2_EEvT3_20rocsparse_direction_NS_24const_host_device_scalarIT1_EES3_PKS3_PKT2_SC_S9_PKT4_PKT5_S7_PT6_21rocsparse_index_base_b
	.p2align	8
	.type	_ZN9rocsparseL18bsrxmvn_3x3_kernelILj256ELj8E21rocsparse_complex_numIdEiiS2_S2_S2_EEvT3_20rocsparse_direction_NS_24const_host_device_scalarIT1_EES3_PKS3_PKT2_SC_S9_PKT4_PKT5_S7_PT6_21rocsparse_index_base_b,@function
_ZN9rocsparseL18bsrxmvn_3x3_kernelILj256ELj8E21rocsparse_complex_numIdEiiS2_S2_S2_EEvT3_20rocsparse_direction_NS_24const_host_device_scalarIT1_EES3_PKS3_PKT2_SC_S9_PKT4_PKT5_S7_PT6_21rocsparse_index_base_b: ; @_ZN9rocsparseL18bsrxmvn_3x3_kernelILj256ELj8E21rocsparse_complex_numIdEiiS2_S2_S2_EEvT3_20rocsparse_direction_NS_24const_host_device_scalarIT1_EES3_PKS3_PKT2_SC_S9_PKT4_PKT5_S7_PT6_21rocsparse_index_base_b
; %bb.0:
	s_load_dwordx2 s[16:17], s[2:3], 0x68
	s_load_dwordx4 s[8:11], s[2:3], 0x8
	s_load_dwordx2 s[18:19], s[0:1], 0x4
	s_load_dwordx4 s[12:15], s[2:3], 0x50
	s_mov_b64 s[6:7], src_shared_base
	v_and_b32_e32 v2, 0x3ff, v0
	s_waitcnt lgkmcnt(0)
	s_bitcmp1_b32 s17, 0
	s_cselect_b64 s[0:1], -1, 0
	s_and_b64 vcc, s[0:1], exec
	s_cselect_b32 s5, s7, s9
	s_lshr_b32 s6, s18, 16
	s_mul_i32 s6, s6, s19
	v_mul_lo_u32 v3, s6, v2
	v_bfe_u32 v4, v0, 10, 10
	v_mad_u32_u24 v3, v4, s19, v3
	v_bfe_u32 v0, v0, 20, 10
	v_add_lshl_u32 v0, v3, v0, 3
	v_mov_b32_e32 v1, s8
	v_add_u32_e32 v3, 0x800, v0
	v_mov_b64_e32 v[4:5], s[8:9]
	v_mov_b64_e32 v[6:7], s[12:13]
	ds_write2st64_b64 v0, v[6:7], v[4:5] offset1:4
	v_cndmask_b32_e64 v4, v1, v3, s[0:1]
	v_mov_b32_e32 v5, s5
	flat_load_dwordx2 v[16:17], v[4:5]
	s_xor_b64 s[18:19], s[0:1], -1
	v_mov_b64_e32 v[18:19], s[10:11]
	s_cbranch_vccnz .LBB16_2
; %bb.1:
	v_mov_b64_e32 v[4:5], s[8:9]
	flat_load_dwordx2 v[18:19], v[4:5] offset:8
.LBB16_2:
	s_and_b64 s[8:9], s[0:1], exec
	s_cselect_b32 s5, s7, s13
	v_mov_b32_e32 v1, s12
	v_cndmask_b32_e64 v0, v1, v0, s[0:1]
	v_mov_b32_e32 v1, s5
	flat_load_dwordx2 v[12:13], v[0:1]
	s_andn2_b64 vcc, exec, s[18:19]
	v_mov_b64_e32 v[14:15], s[14:15]
	s_cbranch_vccnz .LBB16_4
; %bb.3:
	v_mov_b64_e32 v[0:1], s[12:13]
	flat_load_dwordx2 v[14:15], v[0:1] offset:8
.LBB16_4:
	s_waitcnt vmcnt(0) lgkmcnt(0)
	v_cmp_eq_f64_e32 vcc, 0, v[16:17]
	v_cmp_eq_f64_e64 s[0:1], 0, v[18:19]
	s_and_b64 s[8:9], vcc, s[0:1]
	s_mov_b64 s[0:1], -1
	s_and_saveexec_b64 s[6:7], s[8:9]
; %bb.5:
	v_cmp_neq_f64_e32 vcc, 1.0, v[12:13]
	v_cmp_neq_f64_e64 s[0:1], 0, v[14:15]
	s_or_b64 s[0:1], vcc, s[0:1]
	s_orn2_b64 s[0:1], s[0:1], exec
; %bb.6:
	s_or_b64 exec, exec, s[6:7]
	s_and_saveexec_b64 s[6:7], s[0:1]
	s_cbranch_execz .LBB16_12
; %bb.7:
	s_load_dwordx2 s[6:7], s[2:3], 0x20
	s_load_dwordx2 s[0:1], s[2:3], 0x0
	v_lshrrev_b32_e32 v0, 3, v2
	v_lshl_or_b32 v0, s4, 5, v0
	s_mov_b64 s[4:5], 0
	s_waitcnt lgkmcnt(0)
	s_cmp_lg_u64 s[6:7], 0
	s_cbranch_scc0 .LBB16_13
; %bb.8:
	s_load_dword s8, s[2:3], 0x18
                                        ; implicit-def: $vgpr1
	s_waitcnt lgkmcnt(0)
	v_cmp_gt_i32_e32 vcc, s8, v0
	s_and_saveexec_b64 s[8:9], vcc
	s_xor_b64 s[8:9], exec, s[8:9]
	s_cbranch_execz .LBB16_10
; %bb.9:
	v_ashrrev_i32_e32 v1, 31, v0
	v_lshl_add_u64 v[4:5], v[0:1], 2, s[6:7]
	global_load_dword v1, v[4:5], off
	s_mov_b64 s[4:5], exec
	s_waitcnt vmcnt(0)
	v_subrev_u32_e32 v1, s16, v1
.LBB16_10:
	s_or_b64 exec, exec, s[8:9]
	s_branch .LBB16_14
.LBB16_11:
	v_cmp_gt_i32_e32 vcc, s0, v0
	s_andn2_b64 s[4:5], s[4:5], exec
	s_and_b64 s[6:7], vcc, exec
	s_or_b64 s[4:5], s[4:5], s[6:7]
	s_and_b64 exec, exec, s[4:5]
	s_cbranch_execnz .LBB16_15
.LBB16_12:
	s_endpgm
.LBB16_13:
                                        ; implicit-def: $vgpr1
	s_cbranch_execnz .LBB16_11
.LBB16_14:
	v_mov_b32_e32 v0, v1
	s_and_b64 exec, exec, s[4:5]
	s_cbranch_execz .LBB16_12
.LBB16_15:
	s_load_dwordx8 s[4:11], s[2:3], 0x28
	v_ashrrev_i32_e32 v1, 31, v0
	v_lshlrev_b64 v[4:5], 2, v[0:1]
	v_and_b32_e32 v1, 7, v2
	s_movk_i32 s0, 0x90
	s_waitcnt lgkmcnt(0)
	v_lshl_add_u64 v[6:7], s[4:5], 0, v[4:5]
	s_cmp_eq_u64 s[6:7], 0
	global_load_dword v8, v[6:7], off
	v_lshl_add_u64 v[6:7], v[6:7], 0, 4
	v_lshl_add_u64 v[4:5], s[6:7], 0, v[4:5]
	s_cselect_b64 vcc, -1, 0
	v_cndmask_b32_e32 v5, v5, v7, vcc
	v_cndmask_b32_e32 v4, v4, v6, vcc
	global_load_dword v4, v[4:5], off
	s_load_dwordx2 s[4:5], s[2:3], 0x48
	v_mov_b64_e32 v[2:3], s[10:11]
	s_cmp_eq_u32 s1, 1
	s_waitcnt vmcnt(1)
	v_subrev_u32_e32 v5, s16, v8
	v_add_u32_e32 v8, v5, v1
	v_mad_i64_i32 v[10:11], s[6:7], v8, s0, v[2:3]
	s_waitcnt vmcnt(0)
	v_subrev_u32_e32 v30, s16, v4
	v_cmp_lt_i32_e64 s[0:1], v8, v30
	s_cbranch_scc1 .LBB16_21
; %bb.16:
	v_mov_b64_e32 v[4:5], 0
	s_mov_b64 s[6:7], 0
	v_mov_b64_e32 v[24:25], v[4:5]
	v_mov_b64_e32 v[20:21], v[4:5]
	;; [unrolled: 1-line block ×5, first 2 shown]
	s_and_saveexec_b64 s[10:11], s[0:1]
	s_cbranch_execz .LBB16_20
; %bb.17:
	v_mov_b64_e32 v[4:5], 0
	s_mov_b64 s[12:13], 0
	s_mov_b64 s[14:15], 0x480
	v_mov_b32_e32 v26, v8
	v_mov_b64_e32 v[28:29], v[10:11]
	v_mov_b64_e32 v[24:25], v[4:5]
	;; [unrolled: 1-line block ×6, first 2 shown]
.LBB16_18:                              ; =>This Inner Loop Header: Depth=1
	v_ashrrev_i32_e32 v27, 31, v26
	v_lshl_add_u64 v[68:69], v[26:27], 2, s[8:9]
	global_load_dword v9, v[68:69], off
	global_load_dwordx4 v[32:35], v[28:29], off offset:48
	global_load_dwordx4 v[36:39], v[28:29], off offset:32
	;; [unrolled: 1-line block ×3, first 2 shown]
	global_load_dwordx4 v[44:47], v[28:29], off
	global_load_dwordx4 v[48:51], v[28:29], off offset:112
	global_load_dwordx4 v[52:55], v[28:29], off offset:96
	global_load_dwordx4 v[56:59], v[28:29], off offset:80
	global_load_dwordx4 v[60:63], v[28:29], off offset:64
	global_load_dwordx4 v[64:67], v[28:29], off offset:128
	v_add_u32_e32 v26, 8, v26
	v_cmp_ge_i32_e32 vcc, v26, v30
	v_lshl_add_u64 v[28:29], v[28:29], 0, s[14:15]
	s_or_b64 s[12:13], vcc, s[12:13]
	s_waitcnt vmcnt(9)
	v_subrev_u32_e32 v9, s16, v9
	v_lshl_add_u32 v68, v9, 1, v9
	v_ashrrev_i32_e32 v69, 31, v68
	s_waitcnt lgkmcnt(0)
	v_lshl_add_u64 v[80:81], v[68:69], 4, s[4:5]
	global_load_dwordx4 v[68:71], v[80:81], off
	global_load_dwordx4 v[72:75], v[80:81], off offset:16
	global_load_dwordx4 v[76:79], v[80:81], off offset:32
	s_waitcnt vmcnt(2)
	v_fmac_f64_e32 v[24:25], v[44:45], v[68:69]
	v_fmac_f64_e32 v[4:5], v[46:47], v[68:69]
	v_fmac_f64_e32 v[22:23], v[32:33], v[68:69]
	v_fmac_f64_e32 v[6:7], v[34:35], v[68:69]
	v_fmac_f64_e32 v[20:21], v[52:53], v[68:69]
	v_fmac_f64_e32 v[2:3], v[54:55], v[68:69]
	v_fma_f64 v[24:25], -v[46:47], v[70:71], v[24:25]
	v_fmac_f64_e32 v[4:5], v[44:45], v[70:71]
	v_fma_f64 v[22:23], -v[34:35], v[70:71], v[22:23]
	v_fmac_f64_e32 v[6:7], v[32:33], v[70:71]
	v_fma_f64 v[20:21], -v[54:55], v[70:71], v[20:21]
	v_fmac_f64_e32 v[2:3], v[52:53], v[70:71]
	s_waitcnt vmcnt(1)
	v_fmac_f64_e32 v[24:25], v[40:41], v[72:73]
	v_fmac_f64_e32 v[4:5], v[42:43], v[72:73]
	v_fmac_f64_e32 v[22:23], v[60:61], v[72:73]
	v_fmac_f64_e32 v[6:7], v[62:63], v[72:73]
	v_fmac_f64_e32 v[20:21], v[48:49], v[72:73]
	v_fmac_f64_e32 v[2:3], v[50:51], v[72:73]
	v_fma_f64 v[24:25], -v[42:43], v[74:75], v[24:25]
	v_fmac_f64_e32 v[4:5], v[40:41], v[74:75]
	v_fma_f64 v[22:23], -v[62:63], v[74:75], v[22:23]
	v_fmac_f64_e32 v[6:7], v[60:61], v[74:75]
	v_fma_f64 v[20:21], -v[50:51], v[74:75], v[20:21]
	v_fmac_f64_e32 v[2:3], v[48:49], v[74:75]
	;; [unrolled: 13-line block ×3, first 2 shown]
	s_andn2_b64 exec, exec, s[12:13]
	s_cbranch_execnz .LBB16_18
; %bb.19:
	s_or_b64 exec, exec, s[12:13]
.LBB16_20:
	s_or_b64 exec, exec, s[10:11]
	s_andn2_b64 vcc, exec, s[6:7]
	s_cbranch_vccz .LBB16_22
	s_branch .LBB16_27
.LBB16_21:
                                        ; implicit-def: $vgpr4_vgpr5
                                        ; implicit-def: $vgpr24_vgpr25
                                        ; implicit-def: $vgpr20_vgpr21
                                        ; implicit-def: $vgpr2_vgpr3
                                        ; implicit-def: $vgpr22_vgpr23
                                        ; implicit-def: $vgpr6_vgpr7
.LBB16_22:
	v_mov_b64_e32 v[4:5], 0
	v_mov_b64_e32 v[24:25], v[4:5]
	;; [unrolled: 1-line block ×6, first 2 shown]
	s_and_saveexec_b64 s[6:7], s[0:1]
	s_cbranch_execz .LBB16_26
; %bb.23:
	v_mov_b64_e32 v[4:5], 0
	s_mov_b64 s[0:1], 0
	s_mov_b64 s[10:11], 0x480
	v_mov_b64_e32 v[24:25], v[4:5]
	v_mov_b64_e32 v[20:21], v[4:5]
	;; [unrolled: 1-line block ×5, first 2 shown]
.LBB16_24:                              ; =>This Inner Loop Header: Depth=1
	v_ashrrev_i32_e32 v9, 31, v8
	v_lshl_add_u64 v[64:65], v[8:9], 2, s[8:9]
	global_load_dword v9, v[64:65], off
	global_load_dwordx4 v[26:29], v[10:11], off offset:48
	global_load_dwordx4 v[32:35], v[10:11], off offset:32
	global_load_dwordx4 v[36:39], v[10:11], off offset:16
	global_load_dwordx4 v[40:43], v[10:11], off
	global_load_dwordx4 v[44:47], v[10:11], off offset:112
	global_load_dwordx4 v[48:51], v[10:11], off offset:96
	;; [unrolled: 1-line block ×5, first 2 shown]
	v_add_u32_e32 v8, 8, v8
	v_cmp_ge_i32_e32 vcc, v8, v30
	v_lshl_add_u64 v[10:11], v[10:11], 0, s[10:11]
	s_or_b64 s[0:1], vcc, s[0:1]
	s_waitcnt vmcnt(9)
	v_subrev_u32_e32 v9, s16, v9
	v_lshl_add_u32 v64, v9, 1, v9
	v_ashrrev_i32_e32 v65, 31, v64
	s_waitcnt lgkmcnt(0)
	v_lshl_add_u64 v[76:77], v[64:65], 4, s[4:5]
	global_load_dwordx4 v[64:67], v[76:77], off
	global_load_dwordx4 v[68:71], v[76:77], off offset:16
	global_load_dwordx4 v[72:75], v[76:77], off offset:32
	s_waitcnt vmcnt(2)
	v_fmac_f64_e32 v[24:25], v[40:41], v[64:65]
	v_fmac_f64_e32 v[4:5], v[42:43], v[64:65]
	v_fmac_f64_e32 v[22:23], v[36:37], v[64:65]
	v_fmac_f64_e32 v[6:7], v[38:39], v[64:65]
	v_fmac_f64_e32 v[20:21], v[32:33], v[64:65]
	v_fmac_f64_e32 v[2:3], v[34:35], v[64:65]
	v_fma_f64 v[24:25], -v[42:43], v[66:67], v[24:25]
	v_fmac_f64_e32 v[4:5], v[40:41], v[66:67]
	v_fma_f64 v[22:23], -v[38:39], v[66:67], v[22:23]
	v_fmac_f64_e32 v[6:7], v[36:37], v[66:67]
	v_fma_f64 v[20:21], -v[34:35], v[66:67], v[20:21]
	v_fmac_f64_e32 v[2:3], v[32:33], v[66:67]
	s_waitcnt vmcnt(1)
	v_fmac_f64_e32 v[24:25], v[26:27], v[68:69]
	v_fmac_f64_e32 v[4:5], v[28:29], v[68:69]
	v_fmac_f64_e32 v[22:23], v[56:57], v[68:69]
	v_fmac_f64_e32 v[6:7], v[58:59], v[68:69]
	v_fmac_f64_e32 v[20:21], v[52:53], v[68:69]
	v_fmac_f64_e32 v[2:3], v[54:55], v[68:69]
	v_fma_f64 v[24:25], -v[28:29], v[70:71], v[24:25]
	v_fmac_f64_e32 v[4:5], v[26:27], v[70:71]
	v_fma_f64 v[22:23], -v[58:59], v[70:71], v[22:23]
	v_fmac_f64_e32 v[6:7], v[56:57], v[70:71]
	v_fma_f64 v[20:21], -v[54:55], v[70:71], v[20:21]
	v_fmac_f64_e32 v[2:3], v[52:53], v[70:71]
	;; [unrolled: 13-line block ×3, first 2 shown]
	s_andn2_b64 exec, exec, s[0:1]
	s_cbranch_execnz .LBB16_24
; %bb.25:
	s_or_b64 exec, exec, s[0:1]
.LBB16_26:
	s_or_b64 exec, exec, s[6:7]
.LBB16_27:
	v_mov_b32_dpp v8, v24 row_shr:1 row_mask:0xf bank_mask:0xf
	v_mov_b32_dpp v9, v25 row_shr:1 row_mask:0xf bank_mask:0xf
	v_add_f64 v[8:9], v[24:25], v[8:9]
	v_mov_b32_dpp v24, v4 row_shr:1 row_mask:0xf bank_mask:0xf
	v_mov_b32_dpp v25, v5 row_shr:1 row_mask:0xf bank_mask:0xf
	;; [unrolled: 1-line block ×10, first 2 shown]
	v_add_f64 v[4:5], v[4:5], v[24:25]
	v_add_f64 v[22:23], v[22:23], v[26:27]
	;; [unrolled: 1-line block ×5, first 2 shown]
	v_mov_b32_dpp v10, v8 row_shr:2 row_mask:0xf bank_mask:0xf
	v_mov_b32_dpp v11, v9 row_shr:2 row_mask:0xf bank_mask:0xf
	;; [unrolled: 1-line block ×12, first 2 shown]
	v_add_f64 v[8:9], v[8:9], v[10:11]
	v_add_f64 v[4:5], v[4:5], v[24:25]
	;; [unrolled: 1-line block ×6, first 2 shown]
	v_mov_b32_dpp v10, v8 row_shr:4 row_mask:0xf bank_mask:0xe
	v_mov_b32_dpp v11, v9 row_shr:4 row_mask:0xf bank_mask:0xe
	;; [unrolled: 1-line block ×12, first 2 shown]
	v_cmp_eq_u32_e32 vcc, 7, v1
	s_and_b64 exec, exec, vcc
	s_cbranch_execz .LBB16_12
; %bb.28:
	s_load_dwordx2 s[2:3], s[2:3], 0x60
	v_add_f64 v[4:5], v[4:5], v[24:25]
	v_add_f64 v[6:7], v[6:7], v[28:29]
	;; [unrolled: 1-line block ×6, first 2 shown]
	v_cmp_eq_f64_e32 vcc, 0, v[12:13]
	v_cmp_eq_f64_e64 s[0:1], 0, v[14:15]
	v_mul_f64 v[8:9], v[4:5], -v[18:19]
	v_mul_f64 v[10:11], v[16:17], v[4:5]
	v_lshl_add_u32 v20, v0, 1, v0
	v_mul_f64 v[4:5], v[6:7], -v[18:19]
	v_mul_f64 v[6:7], v[16:17], v[6:7]
	v_mul_f64 v[0:1], v[2:3], -v[18:19]
	v_mul_f64 v[2:3], v[16:17], v[2:3]
	s_and_b64 s[0:1], vcc, s[0:1]
	v_fmac_f64_e32 v[8:9], v[16:17], v[34:35]
	v_fmac_f64_e32 v[10:11], v[18:19], v[34:35]
	v_ashrrev_i32_e32 v21, 31, v20
	v_fmac_f64_e32 v[4:5], v[16:17], v[22:23]
	v_fmac_f64_e32 v[6:7], v[18:19], v[22:23]
	;; [unrolled: 1-line block ×4, first 2 shown]
	s_waitcnt lgkmcnt(0)
	s_and_saveexec_b64 s[4:5], s[0:1]
	s_xor_b64 s[0:1], exec, s[4:5]
	s_cbranch_execz .LBB16_30
; %bb.29:
	v_lshl_add_u64 v[12:13], v[20:21], 4, s[2:3]
	global_store_dwordx4 v[12:13], v[8:11], off
	global_store_dwordx4 v[12:13], v[4:7], off offset:16
	global_store_dwordx4 v[12:13], v[0:3], off offset:32
                                        ; implicit-def: $vgpr12_vgpr13
                                        ; implicit-def: $vgpr14_vgpr15
                                        ; implicit-def: $vgpr20
                                        ; implicit-def: $vgpr8_vgpr9
                                        ; implicit-def: $vgpr4_vgpr5
                                        ; implicit-def: $vgpr0_vgpr1
.LBB16_30:
	s_andn2_saveexec_b64 s[0:1], s[0:1]
	s_cbranch_execz .LBB16_12
; %bb.31:
	v_lshl_add_u64 v[28:29], v[20:21], 4, s[2:3]
	global_load_dwordx4 v[16:19], v[28:29], off
	global_load_dwordx4 v[20:23], v[28:29], off offset:16
	global_load_dwordx4 v[24:27], v[28:29], off offset:32
	s_waitcnt vmcnt(2)
	v_fmac_f64_e32 v[8:9], v[12:13], v[16:17]
	v_fmac_f64_e32 v[10:11], v[14:15], v[16:17]
	s_waitcnt vmcnt(1)
	v_fmac_f64_e32 v[4:5], v[12:13], v[20:21]
	v_fmac_f64_e32 v[6:7], v[14:15], v[20:21]
	;; [unrolled: 3-line block ×3, first 2 shown]
	v_fma_f64 v[8:9], -v[14:15], v[18:19], v[8:9]
	v_fmac_f64_e32 v[10:11], v[12:13], v[18:19]
	v_fma_f64 v[4:5], -v[14:15], v[22:23], v[4:5]
	v_fmac_f64_e32 v[6:7], v[12:13], v[22:23]
	;; [unrolled: 2-line block ×3, first 2 shown]
	global_store_dwordx4 v[28:29], v[8:11], off
	global_store_dwordx4 v[28:29], v[4:7], off offset:16
	global_store_dwordx4 v[28:29], v[0:3], off offset:32
	s_endpgm
	.section	.rodata,"a",@progbits
	.p2align	6, 0x0
	.amdhsa_kernel _ZN9rocsparseL18bsrxmvn_3x3_kernelILj256ELj8E21rocsparse_complex_numIdEiiS2_S2_S2_EEvT3_20rocsparse_direction_NS_24const_host_device_scalarIT1_EES3_PKS3_PKT2_SC_S9_PKT4_PKT5_S7_PT6_21rocsparse_index_base_b
		.amdhsa_group_segment_fixed_size 4096
		.amdhsa_private_segment_fixed_size 0
		.amdhsa_kernarg_size 112
		.amdhsa_user_sgpr_count 4
		.amdhsa_user_sgpr_dispatch_ptr 1
		.amdhsa_user_sgpr_queue_ptr 0
		.amdhsa_user_sgpr_kernarg_segment_ptr 1
		.amdhsa_user_sgpr_dispatch_id 0
		.amdhsa_user_sgpr_kernarg_preload_length 0
		.amdhsa_user_sgpr_kernarg_preload_offset 0
		.amdhsa_user_sgpr_private_segment_size 0
		.amdhsa_uses_dynamic_stack 0
		.amdhsa_enable_private_segment 0
		.amdhsa_system_sgpr_workgroup_id_x 1
		.amdhsa_system_sgpr_workgroup_id_y 0
		.amdhsa_system_sgpr_workgroup_id_z 0
		.amdhsa_system_sgpr_workgroup_info 0
		.amdhsa_system_vgpr_workitem_id 2
		.amdhsa_next_free_vgpr 82
		.amdhsa_next_free_sgpr 20
		.amdhsa_accum_offset 84
		.amdhsa_reserve_vcc 1
		.amdhsa_float_round_mode_32 0
		.amdhsa_float_round_mode_16_64 0
		.amdhsa_float_denorm_mode_32 3
		.amdhsa_float_denorm_mode_16_64 3
		.amdhsa_dx10_clamp 1
		.amdhsa_ieee_mode 1
		.amdhsa_fp16_overflow 0
		.amdhsa_tg_split 0
		.amdhsa_exception_fp_ieee_invalid_op 0
		.amdhsa_exception_fp_denorm_src 0
		.amdhsa_exception_fp_ieee_div_zero 0
		.amdhsa_exception_fp_ieee_overflow 0
		.amdhsa_exception_fp_ieee_underflow 0
		.amdhsa_exception_fp_ieee_inexact 0
		.amdhsa_exception_int_div_zero 0
	.end_amdhsa_kernel
	.section	.text._ZN9rocsparseL18bsrxmvn_3x3_kernelILj256ELj8E21rocsparse_complex_numIdEiiS2_S2_S2_EEvT3_20rocsparse_direction_NS_24const_host_device_scalarIT1_EES3_PKS3_PKT2_SC_S9_PKT4_PKT5_S7_PT6_21rocsparse_index_base_b,"axG",@progbits,_ZN9rocsparseL18bsrxmvn_3x3_kernelILj256ELj8E21rocsparse_complex_numIdEiiS2_S2_S2_EEvT3_20rocsparse_direction_NS_24const_host_device_scalarIT1_EES3_PKS3_PKT2_SC_S9_PKT4_PKT5_S7_PT6_21rocsparse_index_base_b,comdat
.Lfunc_end16:
	.size	_ZN9rocsparseL18bsrxmvn_3x3_kernelILj256ELj8E21rocsparse_complex_numIdEiiS2_S2_S2_EEvT3_20rocsparse_direction_NS_24const_host_device_scalarIT1_EES3_PKS3_PKT2_SC_S9_PKT4_PKT5_S7_PT6_21rocsparse_index_base_b, .Lfunc_end16-_ZN9rocsparseL18bsrxmvn_3x3_kernelILj256ELj8E21rocsparse_complex_numIdEiiS2_S2_S2_EEvT3_20rocsparse_direction_NS_24const_host_device_scalarIT1_EES3_PKS3_PKT2_SC_S9_PKT4_PKT5_S7_PT6_21rocsparse_index_base_b
                                        ; -- End function
	.section	.AMDGPU.csdata,"",@progbits
; Kernel info:
; codeLenInByte = 2252
; NumSgprs: 26
; NumVgprs: 82
; NumAgprs: 0
; TotalNumVgprs: 82
; ScratchSize: 0
; MemoryBound: 0
; FloatMode: 240
; IeeeMode: 1
; LDSByteSize: 4096 bytes/workgroup (compile time only)
; SGPRBlocks: 3
; VGPRBlocks: 10
; NumSGPRsForWavesPerEU: 26
; NumVGPRsForWavesPerEU: 82
; AccumOffset: 84
; Occupancy: 5
; WaveLimiterHint : 1
; COMPUTE_PGM_RSRC2:SCRATCH_EN: 0
; COMPUTE_PGM_RSRC2:USER_SGPR: 4
; COMPUTE_PGM_RSRC2:TRAP_HANDLER: 0
; COMPUTE_PGM_RSRC2:TGID_X_EN: 1
; COMPUTE_PGM_RSRC2:TGID_Y_EN: 0
; COMPUTE_PGM_RSRC2:TGID_Z_EN: 0
; COMPUTE_PGM_RSRC2:TIDIG_COMP_CNT: 2
; COMPUTE_PGM_RSRC3_GFX90A:ACCUM_OFFSET: 20
; COMPUTE_PGM_RSRC3_GFX90A:TG_SPLIT: 0
	.section	.text._ZN9rocsparseL18bsrxmvn_3x3_kernelILj256ELj16E21rocsparse_complex_numIdEiiS2_S2_S2_EEvT3_20rocsparse_direction_NS_24const_host_device_scalarIT1_EES3_PKS3_PKT2_SC_S9_PKT4_PKT5_S7_PT6_21rocsparse_index_base_b,"axG",@progbits,_ZN9rocsparseL18bsrxmvn_3x3_kernelILj256ELj16E21rocsparse_complex_numIdEiiS2_S2_S2_EEvT3_20rocsparse_direction_NS_24const_host_device_scalarIT1_EES3_PKS3_PKT2_SC_S9_PKT4_PKT5_S7_PT6_21rocsparse_index_base_b,comdat
	.globl	_ZN9rocsparseL18bsrxmvn_3x3_kernelILj256ELj16E21rocsparse_complex_numIdEiiS2_S2_S2_EEvT3_20rocsparse_direction_NS_24const_host_device_scalarIT1_EES3_PKS3_PKT2_SC_S9_PKT4_PKT5_S7_PT6_21rocsparse_index_base_b ; -- Begin function _ZN9rocsparseL18bsrxmvn_3x3_kernelILj256ELj16E21rocsparse_complex_numIdEiiS2_S2_S2_EEvT3_20rocsparse_direction_NS_24const_host_device_scalarIT1_EES3_PKS3_PKT2_SC_S9_PKT4_PKT5_S7_PT6_21rocsparse_index_base_b
	.p2align	8
	.type	_ZN9rocsparseL18bsrxmvn_3x3_kernelILj256ELj16E21rocsparse_complex_numIdEiiS2_S2_S2_EEvT3_20rocsparse_direction_NS_24const_host_device_scalarIT1_EES3_PKS3_PKT2_SC_S9_PKT4_PKT5_S7_PT6_21rocsparse_index_base_b,@function
_ZN9rocsparseL18bsrxmvn_3x3_kernelILj256ELj16E21rocsparse_complex_numIdEiiS2_S2_S2_EEvT3_20rocsparse_direction_NS_24const_host_device_scalarIT1_EES3_PKS3_PKT2_SC_S9_PKT4_PKT5_S7_PT6_21rocsparse_index_base_b: ; @_ZN9rocsparseL18bsrxmvn_3x3_kernelILj256ELj16E21rocsparse_complex_numIdEiiS2_S2_S2_EEvT3_20rocsparse_direction_NS_24const_host_device_scalarIT1_EES3_PKS3_PKT2_SC_S9_PKT4_PKT5_S7_PT6_21rocsparse_index_base_b
; %bb.0:
	s_load_dwordx2 s[16:17], s[2:3], 0x68
	s_load_dwordx4 s[8:11], s[2:3], 0x8
	s_load_dwordx2 s[18:19], s[0:1], 0x4
	s_load_dwordx4 s[12:15], s[2:3], 0x50
	s_mov_b64 s[6:7], src_shared_base
	v_and_b32_e32 v2, 0x3ff, v0
	s_waitcnt lgkmcnt(0)
	s_bitcmp1_b32 s17, 0
	s_cselect_b64 s[0:1], -1, 0
	s_and_b64 vcc, s[0:1], exec
	s_cselect_b32 s5, s7, s9
	s_lshr_b32 s6, s18, 16
	s_mul_i32 s6, s6, s19
	v_mul_lo_u32 v3, s6, v2
	v_bfe_u32 v4, v0, 10, 10
	v_mad_u32_u24 v3, v4, s19, v3
	v_bfe_u32 v0, v0, 20, 10
	v_add_lshl_u32 v0, v3, v0, 3
	v_mov_b32_e32 v1, s8
	v_add_u32_e32 v3, 0x800, v0
	v_mov_b64_e32 v[4:5], s[8:9]
	v_mov_b64_e32 v[6:7], s[12:13]
	ds_write2st64_b64 v0, v[6:7], v[4:5] offset1:4
	v_cndmask_b32_e64 v4, v1, v3, s[0:1]
	v_mov_b32_e32 v5, s5
	flat_load_dwordx2 v[16:17], v[4:5]
	s_xor_b64 s[18:19], s[0:1], -1
	v_mov_b64_e32 v[18:19], s[10:11]
	s_cbranch_vccnz .LBB17_2
; %bb.1:
	v_mov_b64_e32 v[4:5], s[8:9]
	flat_load_dwordx2 v[18:19], v[4:5] offset:8
.LBB17_2:
	s_and_b64 s[8:9], s[0:1], exec
	s_cselect_b32 s5, s7, s13
	v_mov_b32_e32 v1, s12
	v_cndmask_b32_e64 v0, v1, v0, s[0:1]
	v_mov_b32_e32 v1, s5
	flat_load_dwordx2 v[12:13], v[0:1]
	s_andn2_b64 vcc, exec, s[18:19]
	v_mov_b64_e32 v[14:15], s[14:15]
	s_cbranch_vccnz .LBB17_4
; %bb.3:
	v_mov_b64_e32 v[0:1], s[12:13]
	flat_load_dwordx2 v[14:15], v[0:1] offset:8
.LBB17_4:
	s_waitcnt vmcnt(0) lgkmcnt(0)
	v_cmp_eq_f64_e32 vcc, 0, v[16:17]
	v_cmp_eq_f64_e64 s[0:1], 0, v[18:19]
	s_and_b64 s[8:9], vcc, s[0:1]
	s_mov_b64 s[0:1], -1
	s_and_saveexec_b64 s[6:7], s[8:9]
; %bb.5:
	v_cmp_neq_f64_e32 vcc, 1.0, v[12:13]
	v_cmp_neq_f64_e64 s[0:1], 0, v[14:15]
	s_or_b64 s[0:1], vcc, s[0:1]
	s_orn2_b64 s[0:1], s[0:1], exec
; %bb.6:
	s_or_b64 exec, exec, s[6:7]
	s_and_saveexec_b64 s[6:7], s[0:1]
	s_cbranch_execz .LBB17_12
; %bb.7:
	s_load_dwordx2 s[6:7], s[2:3], 0x20
	s_load_dwordx2 s[0:1], s[2:3], 0x0
	v_lshrrev_b32_e32 v0, 4, v2
	v_lshl_or_b32 v0, s4, 4, v0
	s_mov_b64 s[4:5], 0
	s_waitcnt lgkmcnt(0)
	s_cmp_lg_u64 s[6:7], 0
	s_cbranch_scc0 .LBB17_13
; %bb.8:
	s_load_dword s8, s[2:3], 0x18
                                        ; implicit-def: $vgpr1
	s_waitcnt lgkmcnt(0)
	v_cmp_gt_i32_e32 vcc, s8, v0
	s_and_saveexec_b64 s[8:9], vcc
	s_xor_b64 s[8:9], exec, s[8:9]
	s_cbranch_execz .LBB17_10
; %bb.9:
	v_ashrrev_i32_e32 v1, 31, v0
	v_lshl_add_u64 v[4:5], v[0:1], 2, s[6:7]
	global_load_dword v1, v[4:5], off
	s_mov_b64 s[4:5], exec
	s_waitcnt vmcnt(0)
	v_subrev_u32_e32 v1, s16, v1
.LBB17_10:
	s_or_b64 exec, exec, s[8:9]
	s_branch .LBB17_14
.LBB17_11:
	v_cmp_gt_i32_e32 vcc, s0, v0
	s_andn2_b64 s[4:5], s[4:5], exec
	s_and_b64 s[6:7], vcc, exec
	s_or_b64 s[4:5], s[4:5], s[6:7]
	s_and_b64 exec, exec, s[4:5]
	s_cbranch_execnz .LBB17_15
.LBB17_12:
	s_endpgm
.LBB17_13:
                                        ; implicit-def: $vgpr1
	s_cbranch_execnz .LBB17_11
.LBB17_14:
	v_mov_b32_e32 v0, v1
	s_and_b64 exec, exec, s[4:5]
	s_cbranch_execz .LBB17_12
.LBB17_15:
	s_load_dwordx8 s[4:11], s[2:3], 0x28
	v_ashrrev_i32_e32 v1, 31, v0
	v_lshlrev_b64 v[4:5], 2, v[0:1]
	v_and_b32_e32 v1, 15, v2
	s_movk_i32 s0, 0x90
	s_waitcnt lgkmcnt(0)
	v_lshl_add_u64 v[6:7], s[4:5], 0, v[4:5]
	s_cmp_eq_u64 s[6:7], 0
	global_load_dword v8, v[6:7], off
	v_lshl_add_u64 v[6:7], v[6:7], 0, 4
	v_lshl_add_u64 v[4:5], s[6:7], 0, v[4:5]
	s_cselect_b64 vcc, -1, 0
	v_cndmask_b32_e32 v5, v5, v7, vcc
	v_cndmask_b32_e32 v4, v4, v6, vcc
	global_load_dword v4, v[4:5], off
	s_load_dwordx2 s[4:5], s[2:3], 0x48
	v_mov_b64_e32 v[2:3], s[10:11]
	s_cmp_eq_u32 s1, 1
	s_waitcnt vmcnt(1)
	v_subrev_u32_e32 v5, s16, v8
	v_add_u32_e32 v10, v5, v1
	v_mad_i64_i32 v[20:21], s[6:7], v10, s0, v[2:3]
	s_waitcnt vmcnt(0)
	v_subrev_u32_e32 v30, s16, v4
	v_cmp_lt_i32_e64 s[0:1], v10, v30
	s_cbranch_scc1 .LBB17_21
; %bb.16:
	v_mov_b64_e32 v[4:5], 0
	s_mov_b64 s[6:7], 0
	v_mov_b64_e32 v[24:25], v[4:5]
	v_mov_b64_e32 v[8:9], v[4:5]
	;; [unrolled: 1-line block ×5, first 2 shown]
	s_and_saveexec_b64 s[10:11], s[0:1]
	s_cbranch_execz .LBB17_20
; %bb.17:
	v_mov_b64_e32 v[4:5], 0
	s_mov_b64 s[12:13], 0
	s_mov_b64 s[14:15], 0x900
	v_mov_b32_e32 v26, v10
	v_mov_b64_e32 v[28:29], v[20:21]
	v_mov_b64_e32 v[24:25], v[4:5]
	;; [unrolled: 1-line block ×6, first 2 shown]
.LBB17_18:                              ; =>This Inner Loop Header: Depth=1
	v_ashrrev_i32_e32 v27, 31, v26
	v_lshl_add_u64 v[68:69], v[26:27], 2, s[8:9]
	global_load_dword v11, v[68:69], off
	global_load_dwordx4 v[32:35], v[28:29], off offset:48
	global_load_dwordx4 v[36:39], v[28:29], off offset:32
	;; [unrolled: 1-line block ×3, first 2 shown]
	global_load_dwordx4 v[44:47], v[28:29], off
	global_load_dwordx4 v[48:51], v[28:29], off offset:112
	global_load_dwordx4 v[52:55], v[28:29], off offset:96
	global_load_dwordx4 v[56:59], v[28:29], off offset:80
	global_load_dwordx4 v[60:63], v[28:29], off offset:64
	global_load_dwordx4 v[64:67], v[28:29], off offset:128
	v_add_u32_e32 v26, 16, v26
	v_cmp_ge_i32_e32 vcc, v26, v30
	v_lshl_add_u64 v[28:29], v[28:29], 0, s[14:15]
	s_or_b64 s[12:13], vcc, s[12:13]
	s_waitcnt vmcnt(9)
	v_subrev_u32_e32 v11, s16, v11
	v_lshl_add_u32 v68, v11, 1, v11
	v_ashrrev_i32_e32 v69, 31, v68
	s_waitcnt lgkmcnt(0)
	v_lshl_add_u64 v[80:81], v[68:69], 4, s[4:5]
	global_load_dwordx4 v[68:71], v[80:81], off
	global_load_dwordx4 v[72:75], v[80:81], off offset:16
	global_load_dwordx4 v[76:79], v[80:81], off offset:32
	s_waitcnt vmcnt(2)
	v_fmac_f64_e32 v[24:25], v[44:45], v[68:69]
	v_fmac_f64_e32 v[4:5], v[46:47], v[68:69]
	v_fmac_f64_e32 v[22:23], v[32:33], v[68:69]
	v_fmac_f64_e32 v[6:7], v[34:35], v[68:69]
	v_fmac_f64_e32 v[8:9], v[52:53], v[68:69]
	v_fmac_f64_e32 v[2:3], v[54:55], v[68:69]
	v_fma_f64 v[24:25], -v[46:47], v[70:71], v[24:25]
	v_fmac_f64_e32 v[4:5], v[44:45], v[70:71]
	v_fma_f64 v[22:23], -v[34:35], v[70:71], v[22:23]
	v_fmac_f64_e32 v[6:7], v[32:33], v[70:71]
	v_fma_f64 v[8:9], -v[54:55], v[70:71], v[8:9]
	v_fmac_f64_e32 v[2:3], v[52:53], v[70:71]
	s_waitcnt vmcnt(1)
	v_fmac_f64_e32 v[24:25], v[40:41], v[72:73]
	v_fmac_f64_e32 v[4:5], v[42:43], v[72:73]
	v_fmac_f64_e32 v[22:23], v[60:61], v[72:73]
	v_fmac_f64_e32 v[6:7], v[62:63], v[72:73]
	v_fmac_f64_e32 v[8:9], v[48:49], v[72:73]
	v_fmac_f64_e32 v[2:3], v[50:51], v[72:73]
	v_fma_f64 v[24:25], -v[42:43], v[74:75], v[24:25]
	v_fmac_f64_e32 v[4:5], v[40:41], v[74:75]
	v_fma_f64 v[22:23], -v[62:63], v[74:75], v[22:23]
	v_fmac_f64_e32 v[6:7], v[60:61], v[74:75]
	v_fma_f64 v[8:9], -v[50:51], v[74:75], v[8:9]
	v_fmac_f64_e32 v[2:3], v[48:49], v[74:75]
	;; [unrolled: 13-line block ×3, first 2 shown]
	s_andn2_b64 exec, exec, s[12:13]
	s_cbranch_execnz .LBB17_18
; %bb.19:
	s_or_b64 exec, exec, s[12:13]
.LBB17_20:
	s_or_b64 exec, exec, s[10:11]
	s_andn2_b64 vcc, exec, s[6:7]
	s_cbranch_vccz .LBB17_22
	s_branch .LBB17_27
.LBB17_21:
                                        ; implicit-def: $vgpr4_vgpr5
                                        ; implicit-def: $vgpr24_vgpr25
                                        ; implicit-def: $vgpr8_vgpr9
                                        ; implicit-def: $vgpr2_vgpr3
                                        ; implicit-def: $vgpr22_vgpr23
                                        ; implicit-def: $vgpr6_vgpr7
.LBB17_22:
	v_mov_b64_e32 v[4:5], 0
	v_mov_b64_e32 v[24:25], v[4:5]
	;; [unrolled: 1-line block ×6, first 2 shown]
	s_and_saveexec_b64 s[6:7], s[0:1]
	s_cbranch_execz .LBB17_26
; %bb.23:
	v_mov_b64_e32 v[4:5], 0
	s_mov_b64 s[0:1], 0
	s_mov_b64 s[10:11], 0x900
	v_mov_b64_e32 v[24:25], v[4:5]
	v_mov_b64_e32 v[8:9], v[4:5]
	;; [unrolled: 1-line block ×5, first 2 shown]
.LBB17_24:                              ; =>This Inner Loop Header: Depth=1
	v_ashrrev_i32_e32 v11, 31, v10
	v_lshl_add_u64 v[64:65], v[10:11], 2, s[8:9]
	global_load_dword v11, v[64:65], off
	global_load_dwordx4 v[26:29], v[20:21], off offset:48
	global_load_dwordx4 v[32:35], v[20:21], off offset:32
	;; [unrolled: 1-line block ×3, first 2 shown]
	global_load_dwordx4 v[40:43], v[20:21], off
	global_load_dwordx4 v[44:47], v[20:21], off offset:112
	global_load_dwordx4 v[48:51], v[20:21], off offset:96
	;; [unrolled: 1-line block ×5, first 2 shown]
	v_add_u32_e32 v10, 16, v10
	v_cmp_ge_i32_e32 vcc, v10, v30
	v_lshl_add_u64 v[20:21], v[20:21], 0, s[10:11]
	s_or_b64 s[0:1], vcc, s[0:1]
	s_waitcnt vmcnt(9)
	v_subrev_u32_e32 v11, s16, v11
	v_lshl_add_u32 v64, v11, 1, v11
	v_ashrrev_i32_e32 v65, 31, v64
	s_waitcnt lgkmcnt(0)
	v_lshl_add_u64 v[76:77], v[64:65], 4, s[4:5]
	global_load_dwordx4 v[64:67], v[76:77], off
	global_load_dwordx4 v[68:71], v[76:77], off offset:16
	global_load_dwordx4 v[72:75], v[76:77], off offset:32
	s_waitcnt vmcnt(2)
	v_fmac_f64_e32 v[24:25], v[40:41], v[64:65]
	v_fmac_f64_e32 v[4:5], v[42:43], v[64:65]
	v_fmac_f64_e32 v[22:23], v[36:37], v[64:65]
	v_fmac_f64_e32 v[6:7], v[38:39], v[64:65]
	v_fmac_f64_e32 v[8:9], v[32:33], v[64:65]
	v_fmac_f64_e32 v[2:3], v[34:35], v[64:65]
	v_fma_f64 v[24:25], -v[42:43], v[66:67], v[24:25]
	v_fmac_f64_e32 v[4:5], v[40:41], v[66:67]
	v_fma_f64 v[22:23], -v[38:39], v[66:67], v[22:23]
	v_fmac_f64_e32 v[6:7], v[36:37], v[66:67]
	v_fma_f64 v[8:9], -v[34:35], v[66:67], v[8:9]
	v_fmac_f64_e32 v[2:3], v[32:33], v[66:67]
	s_waitcnt vmcnt(1)
	v_fmac_f64_e32 v[24:25], v[26:27], v[68:69]
	v_fmac_f64_e32 v[4:5], v[28:29], v[68:69]
	v_fmac_f64_e32 v[22:23], v[56:57], v[68:69]
	v_fmac_f64_e32 v[6:7], v[58:59], v[68:69]
	v_fmac_f64_e32 v[8:9], v[52:53], v[68:69]
	v_fmac_f64_e32 v[2:3], v[54:55], v[68:69]
	v_fma_f64 v[24:25], -v[28:29], v[70:71], v[24:25]
	v_fmac_f64_e32 v[4:5], v[26:27], v[70:71]
	v_fma_f64 v[22:23], -v[58:59], v[70:71], v[22:23]
	v_fmac_f64_e32 v[6:7], v[56:57], v[70:71]
	v_fma_f64 v[8:9], -v[54:55], v[70:71], v[8:9]
	v_fmac_f64_e32 v[2:3], v[52:53], v[70:71]
	;; [unrolled: 13-line block ×3, first 2 shown]
	s_andn2_b64 exec, exec, s[0:1]
	s_cbranch_execnz .LBB17_24
; %bb.25:
	s_or_b64 exec, exec, s[0:1]
.LBB17_26:
	s_or_b64 exec, exec, s[6:7]
.LBB17_27:
	v_mov_b32_dpp v10, v24 row_shr:1 row_mask:0xf bank_mask:0xf
	v_mov_b32_dpp v11, v25 row_shr:1 row_mask:0xf bank_mask:0xf
	v_add_f64 v[10:11], v[24:25], v[10:11]
	v_mov_b32_dpp v24, v4 row_shr:1 row_mask:0xf bank_mask:0xf
	v_mov_b32_dpp v25, v5 row_shr:1 row_mask:0xf bank_mask:0xf
	;; [unrolled: 1-line block ×10, first 2 shown]
	v_add_f64 v[4:5], v[4:5], v[24:25]
	v_add_f64 v[22:23], v[22:23], v[26:27]
	;; [unrolled: 1-line block ×5, first 2 shown]
	v_mov_b32_dpp v20, v10 row_shr:2 row_mask:0xf bank_mask:0xf
	v_mov_b32_dpp v21, v11 row_shr:2 row_mask:0xf bank_mask:0xf
	v_mov_b32_dpp v24, v4 row_shr:2 row_mask:0xf bank_mask:0xf
	v_mov_b32_dpp v25, v5 row_shr:2 row_mask:0xf bank_mask:0xf
	v_mov_b32_dpp v26, v22 row_shr:2 row_mask:0xf bank_mask:0xf
	v_mov_b32_dpp v27, v23 row_shr:2 row_mask:0xf bank_mask:0xf
	v_mov_b32_dpp v28, v6 row_shr:2 row_mask:0xf bank_mask:0xf
	v_mov_b32_dpp v29, v7 row_shr:2 row_mask:0xf bank_mask:0xf
	v_mov_b32_dpp v30, v8 row_shr:2 row_mask:0xf bank_mask:0xf
	v_mov_b32_dpp v31, v9 row_shr:2 row_mask:0xf bank_mask:0xf
	v_mov_b32_dpp v32, v2 row_shr:2 row_mask:0xf bank_mask:0xf
	v_mov_b32_dpp v33, v3 row_shr:2 row_mask:0xf bank_mask:0xf
	v_add_f64 v[10:11], v[10:11], v[20:21]
	v_add_f64 v[4:5], v[4:5], v[24:25]
	;; [unrolled: 1-line block ×6, first 2 shown]
	v_mov_b32_dpp v20, v10 row_shr:4 row_mask:0xf bank_mask:0xe
	v_mov_b32_dpp v21, v11 row_shr:4 row_mask:0xf bank_mask:0xe
	;; [unrolled: 1-line block ×12, first 2 shown]
	v_add_f64 v[10:11], v[10:11], v[20:21]
	v_add_f64 v[4:5], v[4:5], v[24:25]
	;; [unrolled: 1-line block ×6, first 2 shown]
	v_mov_b32_dpp v20, v10 row_shr:8 row_mask:0xf bank_mask:0xc
	v_mov_b32_dpp v21, v11 row_shr:8 row_mask:0xf bank_mask:0xc
	;; [unrolled: 1-line block ×12, first 2 shown]
	v_cmp_eq_u32_e32 vcc, 15, v1
	s_and_b64 exec, exec, vcc
	s_cbranch_execz .LBB17_12
; %bb.28:
	s_load_dwordx2 s[2:3], s[2:3], 0x60
	v_add_f64 v[4:5], v[4:5], v[24:25]
	v_add_f64 v[6:7], v[6:7], v[28:29]
	;; [unrolled: 1-line block ×6, first 2 shown]
	v_cmp_eq_f64_e32 vcc, 0, v[12:13]
	v_cmp_eq_f64_e64 s[0:1], 0, v[14:15]
	v_mul_f64 v[8:9], v[4:5], -v[18:19]
	v_mul_f64 v[10:11], v[16:17], v[4:5]
	v_lshl_add_u32 v20, v0, 1, v0
	v_mul_f64 v[4:5], v[6:7], -v[18:19]
	v_mul_f64 v[6:7], v[16:17], v[6:7]
	v_mul_f64 v[0:1], v[2:3], -v[18:19]
	v_mul_f64 v[2:3], v[16:17], v[2:3]
	s_and_b64 s[0:1], vcc, s[0:1]
	v_fmac_f64_e32 v[8:9], v[16:17], v[34:35]
	v_fmac_f64_e32 v[10:11], v[18:19], v[34:35]
	v_ashrrev_i32_e32 v21, 31, v20
	v_fmac_f64_e32 v[4:5], v[16:17], v[22:23]
	v_fmac_f64_e32 v[6:7], v[18:19], v[22:23]
	v_fmac_f64_e32 v[0:1], v[16:17], v[24:25]
	v_fmac_f64_e32 v[2:3], v[18:19], v[24:25]
	s_waitcnt lgkmcnt(0)
	s_and_saveexec_b64 s[4:5], s[0:1]
	s_xor_b64 s[0:1], exec, s[4:5]
	s_cbranch_execz .LBB17_30
; %bb.29:
	v_lshl_add_u64 v[12:13], v[20:21], 4, s[2:3]
	global_store_dwordx4 v[12:13], v[8:11], off
	global_store_dwordx4 v[12:13], v[4:7], off offset:16
	global_store_dwordx4 v[12:13], v[0:3], off offset:32
                                        ; implicit-def: $vgpr12_vgpr13
                                        ; implicit-def: $vgpr14_vgpr15
                                        ; implicit-def: $vgpr20
                                        ; implicit-def: $vgpr8_vgpr9
                                        ; implicit-def: $vgpr4_vgpr5
                                        ; implicit-def: $vgpr0_vgpr1
.LBB17_30:
	s_andn2_saveexec_b64 s[0:1], s[0:1]
	s_cbranch_execz .LBB17_12
; %bb.31:
	v_lshl_add_u64 v[28:29], v[20:21], 4, s[2:3]
	global_load_dwordx4 v[16:19], v[28:29], off
	global_load_dwordx4 v[20:23], v[28:29], off offset:16
	global_load_dwordx4 v[24:27], v[28:29], off offset:32
	s_waitcnt vmcnt(2)
	v_fmac_f64_e32 v[8:9], v[12:13], v[16:17]
	v_fmac_f64_e32 v[10:11], v[14:15], v[16:17]
	s_waitcnt vmcnt(1)
	v_fmac_f64_e32 v[4:5], v[12:13], v[20:21]
	v_fmac_f64_e32 v[6:7], v[14:15], v[20:21]
	;; [unrolled: 3-line block ×3, first 2 shown]
	v_fma_f64 v[8:9], -v[14:15], v[18:19], v[8:9]
	v_fmac_f64_e32 v[10:11], v[12:13], v[18:19]
	v_fma_f64 v[4:5], -v[14:15], v[22:23], v[4:5]
	v_fmac_f64_e32 v[6:7], v[12:13], v[22:23]
	;; [unrolled: 2-line block ×3, first 2 shown]
	global_store_dwordx4 v[28:29], v[8:11], off
	global_store_dwordx4 v[28:29], v[4:7], off offset:16
	global_store_dwordx4 v[28:29], v[0:3], off offset:32
	s_endpgm
	.section	.rodata,"a",@progbits
	.p2align	6, 0x0
	.amdhsa_kernel _ZN9rocsparseL18bsrxmvn_3x3_kernelILj256ELj16E21rocsparse_complex_numIdEiiS2_S2_S2_EEvT3_20rocsparse_direction_NS_24const_host_device_scalarIT1_EES3_PKS3_PKT2_SC_S9_PKT4_PKT5_S7_PT6_21rocsparse_index_base_b
		.amdhsa_group_segment_fixed_size 4096
		.amdhsa_private_segment_fixed_size 0
		.amdhsa_kernarg_size 112
		.amdhsa_user_sgpr_count 4
		.amdhsa_user_sgpr_dispatch_ptr 1
		.amdhsa_user_sgpr_queue_ptr 0
		.amdhsa_user_sgpr_kernarg_segment_ptr 1
		.amdhsa_user_sgpr_dispatch_id 0
		.amdhsa_user_sgpr_kernarg_preload_length 0
		.amdhsa_user_sgpr_kernarg_preload_offset 0
		.amdhsa_user_sgpr_private_segment_size 0
		.amdhsa_uses_dynamic_stack 0
		.amdhsa_enable_private_segment 0
		.amdhsa_system_sgpr_workgroup_id_x 1
		.amdhsa_system_sgpr_workgroup_id_y 0
		.amdhsa_system_sgpr_workgroup_id_z 0
		.amdhsa_system_sgpr_workgroup_info 0
		.amdhsa_system_vgpr_workitem_id 2
		.amdhsa_next_free_vgpr 82
		.amdhsa_next_free_sgpr 20
		.amdhsa_accum_offset 84
		.amdhsa_reserve_vcc 1
		.amdhsa_float_round_mode_32 0
		.amdhsa_float_round_mode_16_64 0
		.amdhsa_float_denorm_mode_32 3
		.amdhsa_float_denorm_mode_16_64 3
		.amdhsa_dx10_clamp 1
		.amdhsa_ieee_mode 1
		.amdhsa_fp16_overflow 0
		.amdhsa_tg_split 0
		.amdhsa_exception_fp_ieee_invalid_op 0
		.amdhsa_exception_fp_denorm_src 0
		.amdhsa_exception_fp_ieee_div_zero 0
		.amdhsa_exception_fp_ieee_overflow 0
		.amdhsa_exception_fp_ieee_underflow 0
		.amdhsa_exception_fp_ieee_inexact 0
		.amdhsa_exception_int_div_zero 0
	.end_amdhsa_kernel
	.section	.text._ZN9rocsparseL18bsrxmvn_3x3_kernelILj256ELj16E21rocsparse_complex_numIdEiiS2_S2_S2_EEvT3_20rocsparse_direction_NS_24const_host_device_scalarIT1_EES3_PKS3_PKT2_SC_S9_PKT4_PKT5_S7_PT6_21rocsparse_index_base_b,"axG",@progbits,_ZN9rocsparseL18bsrxmvn_3x3_kernelILj256ELj16E21rocsparse_complex_numIdEiiS2_S2_S2_EEvT3_20rocsparse_direction_NS_24const_host_device_scalarIT1_EES3_PKS3_PKT2_SC_S9_PKT4_PKT5_S7_PT6_21rocsparse_index_base_b,comdat
.Lfunc_end17:
	.size	_ZN9rocsparseL18bsrxmvn_3x3_kernelILj256ELj16E21rocsparse_complex_numIdEiiS2_S2_S2_EEvT3_20rocsparse_direction_NS_24const_host_device_scalarIT1_EES3_PKS3_PKT2_SC_S9_PKT4_PKT5_S7_PT6_21rocsparse_index_base_b, .Lfunc_end17-_ZN9rocsparseL18bsrxmvn_3x3_kernelILj256ELj16E21rocsparse_complex_numIdEiiS2_S2_S2_EEvT3_20rocsparse_direction_NS_24const_host_device_scalarIT1_EES3_PKS3_PKT2_SC_S9_PKT4_PKT5_S7_PT6_21rocsparse_index_base_b
                                        ; -- End function
	.section	.AMDGPU.csdata,"",@progbits
; Kernel info:
; codeLenInByte = 2396
; NumSgprs: 26
; NumVgprs: 82
; NumAgprs: 0
; TotalNumVgprs: 82
; ScratchSize: 0
; MemoryBound: 0
; FloatMode: 240
; IeeeMode: 1
; LDSByteSize: 4096 bytes/workgroup (compile time only)
; SGPRBlocks: 3
; VGPRBlocks: 10
; NumSGPRsForWavesPerEU: 26
; NumVGPRsForWavesPerEU: 82
; AccumOffset: 84
; Occupancy: 5
; WaveLimiterHint : 1
; COMPUTE_PGM_RSRC2:SCRATCH_EN: 0
; COMPUTE_PGM_RSRC2:USER_SGPR: 4
; COMPUTE_PGM_RSRC2:TRAP_HANDLER: 0
; COMPUTE_PGM_RSRC2:TGID_X_EN: 1
; COMPUTE_PGM_RSRC2:TGID_Y_EN: 0
; COMPUTE_PGM_RSRC2:TGID_Z_EN: 0
; COMPUTE_PGM_RSRC2:TIDIG_COMP_CNT: 2
; COMPUTE_PGM_RSRC3_GFX90A:ACCUM_OFFSET: 20
; COMPUTE_PGM_RSRC3_GFX90A:TG_SPLIT: 0
	.section	.text._ZN9rocsparseL18bsrxmvn_3x3_kernelILj256ELj32E21rocsparse_complex_numIdEiiS2_S2_S2_EEvT3_20rocsparse_direction_NS_24const_host_device_scalarIT1_EES3_PKS3_PKT2_SC_S9_PKT4_PKT5_S7_PT6_21rocsparse_index_base_b,"axG",@progbits,_ZN9rocsparseL18bsrxmvn_3x3_kernelILj256ELj32E21rocsparse_complex_numIdEiiS2_S2_S2_EEvT3_20rocsparse_direction_NS_24const_host_device_scalarIT1_EES3_PKS3_PKT2_SC_S9_PKT4_PKT5_S7_PT6_21rocsparse_index_base_b,comdat
	.globl	_ZN9rocsparseL18bsrxmvn_3x3_kernelILj256ELj32E21rocsparse_complex_numIdEiiS2_S2_S2_EEvT3_20rocsparse_direction_NS_24const_host_device_scalarIT1_EES3_PKS3_PKT2_SC_S9_PKT4_PKT5_S7_PT6_21rocsparse_index_base_b ; -- Begin function _ZN9rocsparseL18bsrxmvn_3x3_kernelILj256ELj32E21rocsparse_complex_numIdEiiS2_S2_S2_EEvT3_20rocsparse_direction_NS_24const_host_device_scalarIT1_EES3_PKS3_PKT2_SC_S9_PKT4_PKT5_S7_PT6_21rocsparse_index_base_b
	.p2align	8
	.type	_ZN9rocsparseL18bsrxmvn_3x3_kernelILj256ELj32E21rocsparse_complex_numIdEiiS2_S2_S2_EEvT3_20rocsparse_direction_NS_24const_host_device_scalarIT1_EES3_PKS3_PKT2_SC_S9_PKT4_PKT5_S7_PT6_21rocsparse_index_base_b,@function
_ZN9rocsparseL18bsrxmvn_3x3_kernelILj256ELj32E21rocsparse_complex_numIdEiiS2_S2_S2_EEvT3_20rocsparse_direction_NS_24const_host_device_scalarIT1_EES3_PKS3_PKT2_SC_S9_PKT4_PKT5_S7_PT6_21rocsparse_index_base_b: ; @_ZN9rocsparseL18bsrxmvn_3x3_kernelILj256ELj32E21rocsparse_complex_numIdEiiS2_S2_S2_EEvT3_20rocsparse_direction_NS_24const_host_device_scalarIT1_EES3_PKS3_PKT2_SC_S9_PKT4_PKT5_S7_PT6_21rocsparse_index_base_b
; %bb.0:
	s_load_dwordx2 s[16:17], s[2:3], 0x68
	s_load_dwordx4 s[8:11], s[2:3], 0x8
	s_load_dwordx2 s[18:19], s[0:1], 0x4
	s_load_dwordx4 s[12:15], s[2:3], 0x50
	s_mov_b64 s[6:7], src_shared_base
	v_and_b32_e32 v2, 0x3ff, v0
	s_waitcnt lgkmcnt(0)
	s_bitcmp1_b32 s17, 0
	s_cselect_b64 s[0:1], -1, 0
	s_and_b64 vcc, s[0:1], exec
	s_cselect_b32 s5, s7, s9
	s_lshr_b32 s6, s18, 16
	s_mul_i32 s6, s6, s19
	v_mul_lo_u32 v3, s6, v2
	v_bfe_u32 v4, v0, 10, 10
	v_mad_u32_u24 v3, v4, s19, v3
	v_bfe_u32 v0, v0, 20, 10
	v_add_lshl_u32 v0, v3, v0, 3
	v_mov_b32_e32 v1, s8
	v_add_u32_e32 v3, 0x800, v0
	v_mov_b64_e32 v[4:5], s[8:9]
	v_mov_b64_e32 v[6:7], s[12:13]
	ds_write2st64_b64 v0, v[6:7], v[4:5] offset1:4
	v_cndmask_b32_e64 v4, v1, v3, s[0:1]
	v_mov_b32_e32 v5, s5
	flat_load_dwordx2 v[16:17], v[4:5]
	s_xor_b64 s[18:19], s[0:1], -1
	v_mov_b64_e32 v[18:19], s[10:11]
	s_cbranch_vccnz .LBB18_2
; %bb.1:
	v_mov_b64_e32 v[4:5], s[8:9]
	flat_load_dwordx2 v[18:19], v[4:5] offset:8
.LBB18_2:
	s_and_b64 s[8:9], s[0:1], exec
	s_cselect_b32 s5, s7, s13
	v_mov_b32_e32 v1, s12
	v_cndmask_b32_e64 v0, v1, v0, s[0:1]
	v_mov_b32_e32 v1, s5
	flat_load_dwordx2 v[12:13], v[0:1]
	s_andn2_b64 vcc, exec, s[18:19]
	v_mov_b64_e32 v[14:15], s[14:15]
	s_cbranch_vccnz .LBB18_4
; %bb.3:
	v_mov_b64_e32 v[0:1], s[12:13]
	flat_load_dwordx2 v[14:15], v[0:1] offset:8
.LBB18_4:
	s_waitcnt vmcnt(0) lgkmcnt(0)
	v_cmp_eq_f64_e32 vcc, 0, v[16:17]
	v_cmp_eq_f64_e64 s[0:1], 0, v[18:19]
	s_and_b64 s[8:9], vcc, s[0:1]
	s_mov_b64 s[0:1], -1
	s_and_saveexec_b64 s[6:7], s[8:9]
; %bb.5:
	v_cmp_neq_f64_e32 vcc, 1.0, v[12:13]
	v_cmp_neq_f64_e64 s[0:1], 0, v[14:15]
	s_or_b64 s[0:1], vcc, s[0:1]
	s_orn2_b64 s[0:1], s[0:1], exec
; %bb.6:
	s_or_b64 exec, exec, s[6:7]
	s_and_saveexec_b64 s[6:7], s[0:1]
	s_cbranch_execz .LBB18_12
; %bb.7:
	s_load_dwordx2 s[6:7], s[2:3], 0x20
	s_load_dwordx2 s[0:1], s[2:3], 0x0
	v_lshrrev_b32_e32 v0, 5, v2
	v_lshl_or_b32 v0, s4, 3, v0
	s_mov_b64 s[4:5], 0
	s_waitcnt lgkmcnt(0)
	s_cmp_lg_u64 s[6:7], 0
	s_cbranch_scc0 .LBB18_13
; %bb.8:
	s_load_dword s8, s[2:3], 0x18
                                        ; implicit-def: $vgpr1
	s_waitcnt lgkmcnt(0)
	v_cmp_gt_i32_e32 vcc, s8, v0
	s_and_saveexec_b64 s[8:9], vcc
	s_xor_b64 s[8:9], exec, s[8:9]
	s_cbranch_execz .LBB18_10
; %bb.9:
	v_ashrrev_i32_e32 v1, 31, v0
	v_lshl_add_u64 v[4:5], v[0:1], 2, s[6:7]
	global_load_dword v1, v[4:5], off
	s_mov_b64 s[4:5], exec
	s_waitcnt vmcnt(0)
	v_subrev_u32_e32 v1, s16, v1
.LBB18_10:
	s_or_b64 exec, exec, s[8:9]
	s_branch .LBB18_14
.LBB18_11:
	v_cmp_gt_i32_e32 vcc, s0, v0
	s_andn2_b64 s[4:5], s[4:5], exec
	s_and_b64 s[6:7], vcc, exec
	s_or_b64 s[4:5], s[4:5], s[6:7]
	s_and_b64 exec, exec, s[4:5]
	s_cbranch_execnz .LBB18_15
.LBB18_12:
	s_endpgm
.LBB18_13:
                                        ; implicit-def: $vgpr1
	s_cbranch_execnz .LBB18_11
.LBB18_14:
	v_mov_b32_e32 v0, v1
	s_and_b64 exec, exec, s[4:5]
	s_cbranch_execz .LBB18_12
.LBB18_15:
	s_load_dwordx8 s[4:11], s[2:3], 0x28
	v_ashrrev_i32_e32 v1, 31, v0
	v_lshlrev_b64 v[4:5], 2, v[0:1]
	v_and_b32_e32 v1, 31, v2
	s_movk_i32 s0, 0x90
	s_waitcnt lgkmcnt(0)
	v_lshl_add_u64 v[6:7], s[4:5], 0, v[4:5]
	s_cmp_eq_u64 s[6:7], 0
	global_load_dword v8, v[6:7], off
	v_lshl_add_u64 v[6:7], v[6:7], 0, 4
	v_lshl_add_u64 v[4:5], s[6:7], 0, v[4:5]
	s_cselect_b64 vcc, -1, 0
	v_cndmask_b32_e32 v5, v5, v7, vcc
	v_cndmask_b32_e32 v4, v4, v6, vcc
	global_load_dword v4, v[4:5], off
	s_load_dwordx2 s[4:5], s[2:3], 0x48
	v_mov_b64_e32 v[2:3], s[10:11]
	s_cmp_eq_u32 s1, 1
	s_waitcnt vmcnt(1)
	v_subrev_u32_e32 v5, s16, v8
	v_add_u32_e32 v10, v5, v1
	v_mad_i64_i32 v[20:21], s[6:7], v10, s0, v[2:3]
	s_waitcnt vmcnt(0)
	v_subrev_u32_e32 v30, s16, v4
	v_cmp_lt_i32_e64 s[0:1], v10, v30
	s_cbranch_scc1 .LBB18_21
; %bb.16:
	v_mov_b64_e32 v[6:7], 0
	s_mov_b64 s[6:7], 0
	v_mov_b64_e32 v[24:25], v[6:7]
	v_mov_b64_e32 v[8:9], v[6:7]
	;; [unrolled: 1-line block ×5, first 2 shown]
	s_and_saveexec_b64 s[10:11], s[0:1]
	s_cbranch_execz .LBB18_20
; %bb.17:
	v_mov_b64_e32 v[6:7], 0
	s_mov_b64 s[12:13], 0
	s_mov_b64 s[14:15], 0x1200
	v_mov_b32_e32 v26, v10
	v_mov_b64_e32 v[28:29], v[20:21]
	v_mov_b64_e32 v[24:25], v[6:7]
	;; [unrolled: 1-line block ×6, first 2 shown]
.LBB18_18:                              ; =>This Inner Loop Header: Depth=1
	v_ashrrev_i32_e32 v27, 31, v26
	v_lshl_add_u64 v[68:69], v[26:27], 2, s[8:9]
	global_load_dword v11, v[68:69], off
	global_load_dwordx4 v[32:35], v[28:29], off offset:48
	global_load_dwordx4 v[36:39], v[28:29], off offset:32
	;; [unrolled: 1-line block ×3, first 2 shown]
	global_load_dwordx4 v[44:47], v[28:29], off
	global_load_dwordx4 v[48:51], v[28:29], off offset:112
	global_load_dwordx4 v[52:55], v[28:29], off offset:96
	;; [unrolled: 1-line block ×5, first 2 shown]
	v_add_u32_e32 v26, 32, v26
	v_cmp_ge_i32_e32 vcc, v26, v30
	v_lshl_add_u64 v[28:29], v[28:29], 0, s[14:15]
	s_or_b64 s[12:13], vcc, s[12:13]
	s_waitcnt vmcnt(9)
	v_subrev_u32_e32 v11, s16, v11
	v_lshl_add_u32 v68, v11, 1, v11
	v_ashrrev_i32_e32 v69, 31, v68
	s_waitcnt lgkmcnt(0)
	v_lshl_add_u64 v[80:81], v[68:69], 4, s[4:5]
	global_load_dwordx4 v[68:71], v[80:81], off
	global_load_dwordx4 v[72:75], v[80:81], off offset:16
	global_load_dwordx4 v[76:79], v[80:81], off offset:32
	s_waitcnt vmcnt(2)
	v_fmac_f64_e32 v[24:25], v[44:45], v[68:69]
	v_fmac_f64_e32 v[6:7], v[46:47], v[68:69]
	v_fmac_f64_e32 v[22:23], v[32:33], v[68:69]
	v_fmac_f64_e32 v[4:5], v[34:35], v[68:69]
	v_fmac_f64_e32 v[8:9], v[52:53], v[68:69]
	v_fmac_f64_e32 v[2:3], v[54:55], v[68:69]
	v_fma_f64 v[24:25], -v[46:47], v[70:71], v[24:25]
	v_fmac_f64_e32 v[6:7], v[44:45], v[70:71]
	v_fma_f64 v[22:23], -v[34:35], v[70:71], v[22:23]
	v_fmac_f64_e32 v[4:5], v[32:33], v[70:71]
	v_fma_f64 v[8:9], -v[54:55], v[70:71], v[8:9]
	v_fmac_f64_e32 v[2:3], v[52:53], v[70:71]
	s_waitcnt vmcnt(1)
	v_fmac_f64_e32 v[24:25], v[40:41], v[72:73]
	v_fmac_f64_e32 v[6:7], v[42:43], v[72:73]
	v_fmac_f64_e32 v[22:23], v[60:61], v[72:73]
	v_fmac_f64_e32 v[4:5], v[62:63], v[72:73]
	v_fmac_f64_e32 v[8:9], v[48:49], v[72:73]
	v_fmac_f64_e32 v[2:3], v[50:51], v[72:73]
	v_fma_f64 v[24:25], -v[42:43], v[74:75], v[24:25]
	v_fmac_f64_e32 v[6:7], v[40:41], v[74:75]
	v_fma_f64 v[22:23], -v[62:63], v[74:75], v[22:23]
	v_fmac_f64_e32 v[4:5], v[60:61], v[74:75]
	v_fma_f64 v[8:9], -v[50:51], v[74:75], v[8:9]
	v_fmac_f64_e32 v[2:3], v[48:49], v[74:75]
	;; [unrolled: 13-line block ×3, first 2 shown]
	s_andn2_b64 exec, exec, s[12:13]
	s_cbranch_execnz .LBB18_18
; %bb.19:
	s_or_b64 exec, exec, s[12:13]
.LBB18_20:
	s_or_b64 exec, exec, s[10:11]
	s_andn2_b64 vcc, exec, s[6:7]
	s_cbranch_vccz .LBB18_22
	s_branch .LBB18_27
.LBB18_21:
                                        ; implicit-def: $vgpr6_vgpr7
                                        ; implicit-def: $vgpr24_vgpr25
                                        ; implicit-def: $vgpr8_vgpr9
                                        ; implicit-def: $vgpr2_vgpr3
                                        ; implicit-def: $vgpr22_vgpr23
                                        ; implicit-def: $vgpr4_vgpr5
.LBB18_22:
	v_mov_b64_e32 v[6:7], 0
	v_mov_b64_e32 v[24:25], v[6:7]
	;; [unrolled: 1-line block ×6, first 2 shown]
	s_and_saveexec_b64 s[6:7], s[0:1]
	s_cbranch_execz .LBB18_26
; %bb.23:
	v_mov_b64_e32 v[6:7], 0
	s_mov_b64 s[0:1], 0
	s_mov_b64 s[10:11], 0x1200
	v_mov_b64_e32 v[24:25], v[6:7]
	v_mov_b64_e32 v[8:9], v[6:7]
	;; [unrolled: 1-line block ×5, first 2 shown]
.LBB18_24:                              ; =>This Inner Loop Header: Depth=1
	v_ashrrev_i32_e32 v11, 31, v10
	v_lshl_add_u64 v[64:65], v[10:11], 2, s[8:9]
	global_load_dword v11, v[64:65], off
	global_load_dwordx4 v[26:29], v[20:21], off offset:48
	global_load_dwordx4 v[32:35], v[20:21], off offset:32
	;; [unrolled: 1-line block ×3, first 2 shown]
	global_load_dwordx4 v[40:43], v[20:21], off
	global_load_dwordx4 v[44:47], v[20:21], off offset:112
	global_load_dwordx4 v[48:51], v[20:21], off offset:96
	;; [unrolled: 1-line block ×5, first 2 shown]
	v_add_u32_e32 v10, 32, v10
	v_cmp_ge_i32_e32 vcc, v10, v30
	v_lshl_add_u64 v[20:21], v[20:21], 0, s[10:11]
	s_or_b64 s[0:1], vcc, s[0:1]
	s_waitcnt vmcnt(9)
	v_subrev_u32_e32 v11, s16, v11
	v_lshl_add_u32 v64, v11, 1, v11
	v_ashrrev_i32_e32 v65, 31, v64
	s_waitcnt lgkmcnt(0)
	v_lshl_add_u64 v[76:77], v[64:65], 4, s[4:5]
	global_load_dwordx4 v[64:67], v[76:77], off
	global_load_dwordx4 v[68:71], v[76:77], off offset:16
	global_load_dwordx4 v[72:75], v[76:77], off offset:32
	s_waitcnt vmcnt(2)
	v_fmac_f64_e32 v[24:25], v[40:41], v[64:65]
	v_fmac_f64_e32 v[6:7], v[42:43], v[64:65]
	v_fmac_f64_e32 v[22:23], v[36:37], v[64:65]
	v_fmac_f64_e32 v[4:5], v[38:39], v[64:65]
	v_fmac_f64_e32 v[8:9], v[32:33], v[64:65]
	v_fmac_f64_e32 v[2:3], v[34:35], v[64:65]
	v_fma_f64 v[24:25], -v[42:43], v[66:67], v[24:25]
	v_fmac_f64_e32 v[6:7], v[40:41], v[66:67]
	v_fma_f64 v[22:23], -v[38:39], v[66:67], v[22:23]
	v_fmac_f64_e32 v[4:5], v[36:37], v[66:67]
	v_fma_f64 v[8:9], -v[34:35], v[66:67], v[8:9]
	v_fmac_f64_e32 v[2:3], v[32:33], v[66:67]
	s_waitcnt vmcnt(1)
	v_fmac_f64_e32 v[24:25], v[26:27], v[68:69]
	v_fmac_f64_e32 v[6:7], v[28:29], v[68:69]
	v_fmac_f64_e32 v[22:23], v[56:57], v[68:69]
	v_fmac_f64_e32 v[4:5], v[58:59], v[68:69]
	v_fmac_f64_e32 v[8:9], v[52:53], v[68:69]
	v_fmac_f64_e32 v[2:3], v[54:55], v[68:69]
	v_fma_f64 v[24:25], -v[28:29], v[70:71], v[24:25]
	v_fmac_f64_e32 v[6:7], v[26:27], v[70:71]
	v_fma_f64 v[22:23], -v[58:59], v[70:71], v[22:23]
	v_fmac_f64_e32 v[4:5], v[56:57], v[70:71]
	v_fma_f64 v[8:9], -v[54:55], v[70:71], v[8:9]
	v_fmac_f64_e32 v[2:3], v[52:53], v[70:71]
	;; [unrolled: 13-line block ×3, first 2 shown]
	s_andn2_b64 exec, exec, s[0:1]
	s_cbranch_execnz .LBB18_24
; %bb.25:
	s_or_b64 exec, exec, s[0:1]
.LBB18_26:
	s_or_b64 exec, exec, s[6:7]
.LBB18_27:
	v_mov_b32_dpp v10, v24 row_shr:1 row_mask:0xf bank_mask:0xf
	v_mov_b32_dpp v11, v25 row_shr:1 row_mask:0xf bank_mask:0xf
	v_add_f64 v[10:11], v[24:25], v[10:11]
	v_mov_b32_dpp v24, v6 row_shr:1 row_mask:0xf bank_mask:0xf
	v_mov_b32_dpp v25, v7 row_shr:1 row_mask:0xf bank_mask:0xf
	;; [unrolled: 1-line block ×10, first 2 shown]
	v_add_f64 v[6:7], v[6:7], v[24:25]
	v_add_f64 v[22:23], v[22:23], v[26:27]
	v_add_f64 v[4:5], v[4:5], v[28:29]
	v_add_f64 v[8:9], v[8:9], v[30:31]
	v_add_f64 v[2:3], v[2:3], v[32:33]
	v_mov_b32_dpp v20, v10 row_shr:2 row_mask:0xf bank_mask:0xf
	v_mov_b32_dpp v21, v11 row_shr:2 row_mask:0xf bank_mask:0xf
	v_mov_b32_dpp v24, v6 row_shr:2 row_mask:0xf bank_mask:0xf
	v_mov_b32_dpp v25, v7 row_shr:2 row_mask:0xf bank_mask:0xf
	v_mov_b32_dpp v26, v22 row_shr:2 row_mask:0xf bank_mask:0xf
	v_mov_b32_dpp v27, v23 row_shr:2 row_mask:0xf bank_mask:0xf
	v_mov_b32_dpp v28, v4 row_shr:2 row_mask:0xf bank_mask:0xf
	v_mov_b32_dpp v29, v5 row_shr:2 row_mask:0xf bank_mask:0xf
	v_mov_b32_dpp v30, v8 row_shr:2 row_mask:0xf bank_mask:0xf
	v_mov_b32_dpp v31, v9 row_shr:2 row_mask:0xf bank_mask:0xf
	v_mov_b32_dpp v32, v2 row_shr:2 row_mask:0xf bank_mask:0xf
	v_mov_b32_dpp v33, v3 row_shr:2 row_mask:0xf bank_mask:0xf
	v_add_f64 v[10:11], v[10:11], v[20:21]
	v_add_f64 v[6:7], v[6:7], v[24:25]
	v_add_f64 v[22:23], v[22:23], v[26:27]
	v_add_f64 v[4:5], v[4:5], v[28:29]
	v_add_f64 v[8:9], v[8:9], v[30:31]
	v_add_f64 v[2:3], v[2:3], v[32:33]
	v_mov_b32_dpp v20, v10 row_shr:4 row_mask:0xf bank_mask:0xe
	v_mov_b32_dpp v21, v11 row_shr:4 row_mask:0xf bank_mask:0xe
	v_mov_b32_dpp v24, v6 row_shr:4 row_mask:0xf bank_mask:0xe
	v_mov_b32_dpp v25, v7 row_shr:4 row_mask:0xf bank_mask:0xe
	v_mov_b32_dpp v26, v22 row_shr:4 row_mask:0xf bank_mask:0xe
	v_mov_b32_dpp v27, v23 row_shr:4 row_mask:0xf bank_mask:0xe
	v_mov_b32_dpp v28, v4 row_shr:4 row_mask:0xf bank_mask:0xe
	v_mov_b32_dpp v29, v5 row_shr:4 row_mask:0xf bank_mask:0xe
	v_mov_b32_dpp v30, v8 row_shr:4 row_mask:0xf bank_mask:0xe
	v_mov_b32_dpp v31, v9 row_shr:4 row_mask:0xf bank_mask:0xe
	v_mov_b32_dpp v32, v2 row_shr:4 row_mask:0xf bank_mask:0xe
	v_mov_b32_dpp v33, v3 row_shr:4 row_mask:0xf bank_mask:0xe
	v_add_f64 v[10:11], v[10:11], v[20:21]
	;; [unrolled: 18-line block ×3, first 2 shown]
	v_add_f64 v[6:7], v[6:7], v[24:25]
	v_add_f64 v[22:23], v[22:23], v[26:27]
	;; [unrolled: 1-line block ×5, first 2 shown]
	v_mov_b32_dpp v20, v10 row_bcast:15 row_mask:0xa bank_mask:0xf
	v_mov_b32_dpp v21, v11 row_bcast:15 row_mask:0xa bank_mask:0xf
	;; [unrolled: 1-line block ×12, first 2 shown]
	v_cmp_eq_u32_e32 vcc, 31, v1
	s_and_b64 exec, exec, vcc
	s_cbranch_execz .LBB18_12
; %bb.28:
	s_load_dwordx2 s[2:3], s[2:3], 0x60
	v_add_f64 v[6:7], v[6:7], v[24:25]
	v_add_f64 v[24:25], v[4:5], v[28:29]
	;; [unrolled: 1-line block ×6, first 2 shown]
	v_cmp_eq_f64_e32 vcc, 0, v[12:13]
	v_cmp_eq_f64_e64 s[0:1], 0, v[14:15]
	v_mul_f64 v[8:9], v[6:7], -v[18:19]
	v_mul_f64 v[10:11], v[16:17], v[6:7]
	v_lshl_add_u32 v20, v0, 1, v0
	v_mul_f64 v[4:5], v[24:25], -v[18:19]
	v_mul_f64 v[6:7], v[16:17], v[24:25]
	v_mul_f64 v[0:1], v[2:3], -v[18:19]
	v_mul_f64 v[2:3], v[16:17], v[2:3]
	s_and_b64 s[0:1], vcc, s[0:1]
	v_fmac_f64_e32 v[8:9], v[16:17], v[34:35]
	v_fmac_f64_e32 v[10:11], v[18:19], v[34:35]
	v_ashrrev_i32_e32 v21, 31, v20
	v_fmac_f64_e32 v[4:5], v[16:17], v[22:23]
	v_fmac_f64_e32 v[6:7], v[18:19], v[22:23]
	;; [unrolled: 1-line block ×4, first 2 shown]
	s_waitcnt lgkmcnt(0)
	s_and_saveexec_b64 s[4:5], s[0:1]
	s_xor_b64 s[0:1], exec, s[4:5]
	s_cbranch_execz .LBB18_30
; %bb.29:
	v_lshl_add_u64 v[12:13], v[20:21], 4, s[2:3]
	global_store_dwordx4 v[12:13], v[8:11], off
	global_store_dwordx4 v[12:13], v[4:7], off offset:16
	global_store_dwordx4 v[12:13], v[0:3], off offset:32
                                        ; implicit-def: $vgpr12_vgpr13
                                        ; implicit-def: $vgpr14_vgpr15
                                        ; implicit-def: $vgpr20
                                        ; implicit-def: $vgpr8_vgpr9
                                        ; implicit-def: $vgpr4_vgpr5
                                        ; implicit-def: $vgpr0_vgpr1
.LBB18_30:
	s_andn2_saveexec_b64 s[0:1], s[0:1]
	s_cbranch_execz .LBB18_12
; %bb.31:
	v_lshl_add_u64 v[28:29], v[20:21], 4, s[2:3]
	global_load_dwordx4 v[16:19], v[28:29], off
	global_load_dwordx4 v[20:23], v[28:29], off offset:16
	global_load_dwordx4 v[24:27], v[28:29], off offset:32
	s_waitcnt vmcnt(2)
	v_fmac_f64_e32 v[8:9], v[12:13], v[16:17]
	v_fmac_f64_e32 v[10:11], v[14:15], v[16:17]
	s_waitcnt vmcnt(1)
	v_fmac_f64_e32 v[4:5], v[12:13], v[20:21]
	v_fmac_f64_e32 v[6:7], v[14:15], v[20:21]
	;; [unrolled: 3-line block ×3, first 2 shown]
	v_fma_f64 v[8:9], -v[14:15], v[18:19], v[8:9]
	v_fmac_f64_e32 v[10:11], v[12:13], v[18:19]
	v_fma_f64 v[4:5], -v[14:15], v[22:23], v[4:5]
	v_fmac_f64_e32 v[6:7], v[12:13], v[22:23]
	;; [unrolled: 2-line block ×3, first 2 shown]
	global_store_dwordx4 v[28:29], v[8:11], off
	global_store_dwordx4 v[28:29], v[4:7], off offset:16
	global_store_dwordx4 v[28:29], v[0:3], off offset:32
	s_endpgm
	.section	.rodata,"a",@progbits
	.p2align	6, 0x0
	.amdhsa_kernel _ZN9rocsparseL18bsrxmvn_3x3_kernelILj256ELj32E21rocsparse_complex_numIdEiiS2_S2_S2_EEvT3_20rocsparse_direction_NS_24const_host_device_scalarIT1_EES3_PKS3_PKT2_SC_S9_PKT4_PKT5_S7_PT6_21rocsparse_index_base_b
		.amdhsa_group_segment_fixed_size 4096
		.amdhsa_private_segment_fixed_size 0
		.amdhsa_kernarg_size 112
		.amdhsa_user_sgpr_count 4
		.amdhsa_user_sgpr_dispatch_ptr 1
		.amdhsa_user_sgpr_queue_ptr 0
		.amdhsa_user_sgpr_kernarg_segment_ptr 1
		.amdhsa_user_sgpr_dispatch_id 0
		.amdhsa_user_sgpr_kernarg_preload_length 0
		.amdhsa_user_sgpr_kernarg_preload_offset 0
		.amdhsa_user_sgpr_private_segment_size 0
		.amdhsa_uses_dynamic_stack 0
		.amdhsa_enable_private_segment 0
		.amdhsa_system_sgpr_workgroup_id_x 1
		.amdhsa_system_sgpr_workgroup_id_y 0
		.amdhsa_system_sgpr_workgroup_id_z 0
		.amdhsa_system_sgpr_workgroup_info 0
		.amdhsa_system_vgpr_workitem_id 2
		.amdhsa_next_free_vgpr 82
		.amdhsa_next_free_sgpr 20
		.amdhsa_accum_offset 84
		.amdhsa_reserve_vcc 1
		.amdhsa_float_round_mode_32 0
		.amdhsa_float_round_mode_16_64 0
		.amdhsa_float_denorm_mode_32 3
		.amdhsa_float_denorm_mode_16_64 3
		.amdhsa_dx10_clamp 1
		.amdhsa_ieee_mode 1
		.amdhsa_fp16_overflow 0
		.amdhsa_tg_split 0
		.amdhsa_exception_fp_ieee_invalid_op 0
		.amdhsa_exception_fp_denorm_src 0
		.amdhsa_exception_fp_ieee_div_zero 0
		.amdhsa_exception_fp_ieee_overflow 0
		.amdhsa_exception_fp_ieee_underflow 0
		.amdhsa_exception_fp_ieee_inexact 0
		.amdhsa_exception_int_div_zero 0
	.end_amdhsa_kernel
	.section	.text._ZN9rocsparseL18bsrxmvn_3x3_kernelILj256ELj32E21rocsparse_complex_numIdEiiS2_S2_S2_EEvT3_20rocsparse_direction_NS_24const_host_device_scalarIT1_EES3_PKS3_PKT2_SC_S9_PKT4_PKT5_S7_PT6_21rocsparse_index_base_b,"axG",@progbits,_ZN9rocsparseL18bsrxmvn_3x3_kernelILj256ELj32E21rocsparse_complex_numIdEiiS2_S2_S2_EEvT3_20rocsparse_direction_NS_24const_host_device_scalarIT1_EES3_PKS3_PKT2_SC_S9_PKT4_PKT5_S7_PT6_21rocsparse_index_base_b,comdat
.Lfunc_end18:
	.size	_ZN9rocsparseL18bsrxmvn_3x3_kernelILj256ELj32E21rocsparse_complex_numIdEiiS2_S2_S2_EEvT3_20rocsparse_direction_NS_24const_host_device_scalarIT1_EES3_PKS3_PKT2_SC_S9_PKT4_PKT5_S7_PT6_21rocsparse_index_base_b, .Lfunc_end18-_ZN9rocsparseL18bsrxmvn_3x3_kernelILj256ELj32E21rocsparse_complex_numIdEiiS2_S2_S2_EEvT3_20rocsparse_direction_NS_24const_host_device_scalarIT1_EES3_PKS3_PKT2_SC_S9_PKT4_PKT5_S7_PT6_21rocsparse_index_base_b
                                        ; -- End function
	.section	.AMDGPU.csdata,"",@progbits
; Kernel info:
; codeLenInByte = 2540
; NumSgprs: 26
; NumVgprs: 82
; NumAgprs: 0
; TotalNumVgprs: 82
; ScratchSize: 0
; MemoryBound: 0
; FloatMode: 240
; IeeeMode: 1
; LDSByteSize: 4096 bytes/workgroup (compile time only)
; SGPRBlocks: 3
; VGPRBlocks: 10
; NumSGPRsForWavesPerEU: 26
; NumVGPRsForWavesPerEU: 82
; AccumOffset: 84
; Occupancy: 5
; WaveLimiterHint : 1
; COMPUTE_PGM_RSRC2:SCRATCH_EN: 0
; COMPUTE_PGM_RSRC2:USER_SGPR: 4
; COMPUTE_PGM_RSRC2:TRAP_HANDLER: 0
; COMPUTE_PGM_RSRC2:TGID_X_EN: 1
; COMPUTE_PGM_RSRC2:TGID_Y_EN: 0
; COMPUTE_PGM_RSRC2:TGID_Z_EN: 0
; COMPUTE_PGM_RSRC2:TIDIG_COMP_CNT: 2
; COMPUTE_PGM_RSRC3_GFX90A:ACCUM_OFFSET: 20
; COMPUTE_PGM_RSRC3_GFX90A:TG_SPLIT: 0
	.section	.text._ZN9rocsparseL18bsrxmvn_3x3_kernelILj256ELj64E21rocsparse_complex_numIdEiiS2_S2_S2_EEvT3_20rocsparse_direction_NS_24const_host_device_scalarIT1_EES3_PKS3_PKT2_SC_S9_PKT4_PKT5_S7_PT6_21rocsparse_index_base_b,"axG",@progbits,_ZN9rocsparseL18bsrxmvn_3x3_kernelILj256ELj64E21rocsparse_complex_numIdEiiS2_S2_S2_EEvT3_20rocsparse_direction_NS_24const_host_device_scalarIT1_EES3_PKS3_PKT2_SC_S9_PKT4_PKT5_S7_PT6_21rocsparse_index_base_b,comdat
	.globl	_ZN9rocsparseL18bsrxmvn_3x3_kernelILj256ELj64E21rocsparse_complex_numIdEiiS2_S2_S2_EEvT3_20rocsparse_direction_NS_24const_host_device_scalarIT1_EES3_PKS3_PKT2_SC_S9_PKT4_PKT5_S7_PT6_21rocsparse_index_base_b ; -- Begin function _ZN9rocsparseL18bsrxmvn_3x3_kernelILj256ELj64E21rocsparse_complex_numIdEiiS2_S2_S2_EEvT3_20rocsparse_direction_NS_24const_host_device_scalarIT1_EES3_PKS3_PKT2_SC_S9_PKT4_PKT5_S7_PT6_21rocsparse_index_base_b
	.p2align	8
	.type	_ZN9rocsparseL18bsrxmvn_3x3_kernelILj256ELj64E21rocsparse_complex_numIdEiiS2_S2_S2_EEvT3_20rocsparse_direction_NS_24const_host_device_scalarIT1_EES3_PKS3_PKT2_SC_S9_PKT4_PKT5_S7_PT6_21rocsparse_index_base_b,@function
_ZN9rocsparseL18bsrxmvn_3x3_kernelILj256ELj64E21rocsparse_complex_numIdEiiS2_S2_S2_EEvT3_20rocsparse_direction_NS_24const_host_device_scalarIT1_EES3_PKS3_PKT2_SC_S9_PKT4_PKT5_S7_PT6_21rocsparse_index_base_b: ; @_ZN9rocsparseL18bsrxmvn_3x3_kernelILj256ELj64E21rocsparse_complex_numIdEiiS2_S2_S2_EEvT3_20rocsparse_direction_NS_24const_host_device_scalarIT1_EES3_PKS3_PKT2_SC_S9_PKT4_PKT5_S7_PT6_21rocsparse_index_base_b
; %bb.0:
	s_load_dwordx2 s[16:17], s[2:3], 0x68
	s_load_dwordx4 s[8:11], s[2:3], 0x8
	s_load_dwordx2 s[18:19], s[0:1], 0x4
	s_load_dwordx4 s[12:15], s[2:3], 0x50
	s_mov_b64 s[6:7], src_shared_base
	v_and_b32_e32 v2, 0x3ff, v0
	s_waitcnt lgkmcnt(0)
	s_bitcmp1_b32 s17, 0
	s_cselect_b64 s[0:1], -1, 0
	s_and_b64 vcc, s[0:1], exec
	s_cselect_b32 s5, s7, s9
	s_lshr_b32 s6, s18, 16
	s_mul_i32 s6, s6, s19
	v_mul_lo_u32 v3, s6, v2
	v_bfe_u32 v4, v0, 10, 10
	v_mad_u32_u24 v3, v4, s19, v3
	v_bfe_u32 v0, v0, 20, 10
	v_add_lshl_u32 v0, v3, v0, 3
	v_mov_b32_e32 v1, s8
	v_add_u32_e32 v3, 0x800, v0
	v_mov_b64_e32 v[4:5], s[8:9]
	v_mov_b64_e32 v[6:7], s[12:13]
	ds_write2st64_b64 v0, v[6:7], v[4:5] offset1:4
	v_cndmask_b32_e64 v4, v1, v3, s[0:1]
	v_mov_b32_e32 v5, s5
	flat_load_dwordx2 v[16:17], v[4:5]
	s_xor_b64 s[18:19], s[0:1], -1
	v_mov_b64_e32 v[18:19], s[10:11]
	s_cbranch_vccnz .LBB19_2
; %bb.1:
	v_mov_b64_e32 v[4:5], s[8:9]
	flat_load_dwordx2 v[18:19], v[4:5] offset:8
.LBB19_2:
	s_and_b64 s[8:9], s[0:1], exec
	s_cselect_b32 s5, s7, s13
	v_mov_b32_e32 v1, s12
	v_cndmask_b32_e64 v0, v1, v0, s[0:1]
	v_mov_b32_e32 v1, s5
	flat_load_dwordx2 v[12:13], v[0:1]
	s_andn2_b64 vcc, exec, s[18:19]
	v_mov_b64_e32 v[14:15], s[14:15]
	s_cbranch_vccnz .LBB19_4
; %bb.3:
	v_mov_b64_e32 v[0:1], s[12:13]
	flat_load_dwordx2 v[14:15], v[0:1] offset:8
.LBB19_4:
	s_waitcnt vmcnt(0) lgkmcnt(0)
	v_cmp_eq_f64_e32 vcc, 0, v[16:17]
	v_cmp_eq_f64_e64 s[0:1], 0, v[18:19]
	s_and_b64 s[8:9], vcc, s[0:1]
	s_mov_b64 s[0:1], -1
	s_and_saveexec_b64 s[6:7], s[8:9]
; %bb.5:
	v_cmp_neq_f64_e32 vcc, 1.0, v[12:13]
	v_cmp_neq_f64_e64 s[0:1], 0, v[14:15]
	s_or_b64 s[0:1], vcc, s[0:1]
	s_orn2_b64 s[0:1], s[0:1], exec
; %bb.6:
	s_or_b64 exec, exec, s[6:7]
	s_and_saveexec_b64 s[6:7], s[0:1]
	s_cbranch_execz .LBB19_12
; %bb.7:
	s_load_dwordx2 s[6:7], s[2:3], 0x20
	s_load_dwordx2 s[0:1], s[2:3], 0x0
	v_lshrrev_b32_e32 v0, 6, v2
	v_lshl_or_b32 v0, s4, 2, v0
	s_mov_b64 s[4:5], 0
	s_waitcnt lgkmcnt(0)
	s_cmp_lg_u64 s[6:7], 0
	s_cbranch_scc0 .LBB19_13
; %bb.8:
	s_load_dword s8, s[2:3], 0x18
                                        ; implicit-def: $vgpr1
	s_waitcnt lgkmcnt(0)
	v_cmp_gt_i32_e32 vcc, s8, v0
	s_and_saveexec_b64 s[8:9], vcc
	s_xor_b64 s[8:9], exec, s[8:9]
	s_cbranch_execz .LBB19_10
; %bb.9:
	v_ashrrev_i32_e32 v1, 31, v0
	v_lshl_add_u64 v[4:5], v[0:1], 2, s[6:7]
	global_load_dword v1, v[4:5], off
	s_mov_b64 s[4:5], exec
	s_waitcnt vmcnt(0)
	v_subrev_u32_e32 v1, s16, v1
.LBB19_10:
	s_or_b64 exec, exec, s[8:9]
	s_branch .LBB19_14
.LBB19_11:
	v_cmp_gt_i32_e32 vcc, s0, v0
	s_andn2_b64 s[4:5], s[4:5], exec
	s_and_b64 s[6:7], vcc, exec
	s_or_b64 s[4:5], s[4:5], s[6:7]
	s_and_b64 exec, exec, s[4:5]
	s_cbranch_execnz .LBB19_15
.LBB19_12:
	s_endpgm
.LBB19_13:
                                        ; implicit-def: $vgpr1
	s_cbranch_execnz .LBB19_11
.LBB19_14:
	v_mov_b32_e32 v0, v1
	s_and_b64 exec, exec, s[4:5]
	s_cbranch_execz .LBB19_12
.LBB19_15:
	s_load_dwordx8 s[4:11], s[2:3], 0x28
	v_ashrrev_i32_e32 v1, 31, v0
	v_lshlrev_b64 v[4:5], 2, v[0:1]
	v_and_b32_e32 v1, 63, v2
	s_movk_i32 s0, 0x90
	s_waitcnt lgkmcnt(0)
	v_lshl_add_u64 v[6:7], s[4:5], 0, v[4:5]
	s_cmp_eq_u64 s[6:7], 0
	global_load_dword v8, v[6:7], off
	v_lshl_add_u64 v[6:7], v[6:7], 0, 4
	v_lshl_add_u64 v[4:5], s[6:7], 0, v[4:5]
	s_cselect_b64 vcc, -1, 0
	v_cndmask_b32_e32 v5, v5, v7, vcc
	v_cndmask_b32_e32 v4, v4, v6, vcc
	global_load_dword v4, v[4:5], off
	s_load_dwordx2 s[4:5], s[2:3], 0x48
	v_mov_b64_e32 v[2:3], s[10:11]
	s_cmp_eq_u32 s1, 1
	s_waitcnt vmcnt(1)
	v_subrev_u32_e32 v5, s16, v8
	v_add_u32_e32 v10, v5, v1
	v_mad_i64_i32 v[20:21], s[6:7], v10, s0, v[2:3]
	s_waitcnt vmcnt(0)
	v_subrev_u32_e32 v30, s16, v4
	v_cmp_lt_i32_e64 s[0:1], v10, v30
	s_cbranch_scc1 .LBB19_21
; %bb.16:
	v_mov_b64_e32 v[8:9], 0
	s_mov_b64 s[6:7], 0
	v_mov_b64_e32 v[24:25], v[8:9]
	v_mov_b64_e32 v[6:7], v[8:9]
	;; [unrolled: 1-line block ×5, first 2 shown]
	s_and_saveexec_b64 s[10:11], s[0:1]
	s_cbranch_execz .LBB19_20
; %bb.17:
	v_mov_b64_e32 v[8:9], 0
	s_mov_b64 s[12:13], 0
	s_mov_b64 s[14:15], 0x2400
	v_mov_b32_e32 v26, v10
	v_mov_b64_e32 v[28:29], v[20:21]
	v_mov_b64_e32 v[24:25], v[8:9]
	;; [unrolled: 1-line block ×6, first 2 shown]
.LBB19_18:                              ; =>This Inner Loop Header: Depth=1
	v_ashrrev_i32_e32 v27, 31, v26
	v_lshl_add_u64 v[68:69], v[26:27], 2, s[8:9]
	global_load_dword v11, v[68:69], off
	global_load_dwordx4 v[32:35], v[28:29], off offset:48
	global_load_dwordx4 v[36:39], v[28:29], off offset:32
	;; [unrolled: 1-line block ×3, first 2 shown]
	global_load_dwordx4 v[44:47], v[28:29], off
	global_load_dwordx4 v[48:51], v[28:29], off offset:112
	global_load_dwordx4 v[52:55], v[28:29], off offset:96
	global_load_dwordx4 v[56:59], v[28:29], off offset:80
	global_load_dwordx4 v[60:63], v[28:29], off offset:64
	global_load_dwordx4 v[64:67], v[28:29], off offset:128
	v_add_u32_e32 v26, 64, v26
	v_cmp_ge_i32_e32 vcc, v26, v30
	v_lshl_add_u64 v[28:29], v[28:29], 0, s[14:15]
	s_or_b64 s[12:13], vcc, s[12:13]
	s_waitcnt vmcnt(9)
	v_subrev_u32_e32 v11, s16, v11
	v_lshl_add_u32 v68, v11, 1, v11
	v_ashrrev_i32_e32 v69, 31, v68
	s_waitcnt lgkmcnt(0)
	v_lshl_add_u64 v[80:81], v[68:69], 4, s[4:5]
	global_load_dwordx4 v[68:71], v[80:81], off
	global_load_dwordx4 v[72:75], v[80:81], off offset:16
	global_load_dwordx4 v[76:79], v[80:81], off offset:32
	s_waitcnt vmcnt(2)
	v_fmac_f64_e32 v[24:25], v[44:45], v[68:69]
	v_fmac_f64_e32 v[8:9], v[46:47], v[68:69]
	v_fmac_f64_e32 v[22:23], v[32:33], v[68:69]
	v_fmac_f64_e32 v[4:5], v[34:35], v[68:69]
	v_fmac_f64_e32 v[6:7], v[52:53], v[68:69]
	v_fmac_f64_e32 v[2:3], v[54:55], v[68:69]
	v_fma_f64 v[24:25], -v[46:47], v[70:71], v[24:25]
	v_fmac_f64_e32 v[8:9], v[44:45], v[70:71]
	v_fma_f64 v[22:23], -v[34:35], v[70:71], v[22:23]
	v_fmac_f64_e32 v[4:5], v[32:33], v[70:71]
	v_fma_f64 v[6:7], -v[54:55], v[70:71], v[6:7]
	v_fmac_f64_e32 v[2:3], v[52:53], v[70:71]
	s_waitcnt vmcnt(1)
	v_fmac_f64_e32 v[24:25], v[40:41], v[72:73]
	v_fmac_f64_e32 v[8:9], v[42:43], v[72:73]
	v_fmac_f64_e32 v[22:23], v[60:61], v[72:73]
	v_fmac_f64_e32 v[4:5], v[62:63], v[72:73]
	v_fmac_f64_e32 v[6:7], v[48:49], v[72:73]
	v_fmac_f64_e32 v[2:3], v[50:51], v[72:73]
	v_fma_f64 v[24:25], -v[42:43], v[74:75], v[24:25]
	v_fmac_f64_e32 v[8:9], v[40:41], v[74:75]
	v_fma_f64 v[22:23], -v[62:63], v[74:75], v[22:23]
	v_fmac_f64_e32 v[4:5], v[60:61], v[74:75]
	v_fma_f64 v[6:7], -v[50:51], v[74:75], v[6:7]
	v_fmac_f64_e32 v[2:3], v[48:49], v[74:75]
	;; [unrolled: 13-line block ×3, first 2 shown]
	s_andn2_b64 exec, exec, s[12:13]
	s_cbranch_execnz .LBB19_18
; %bb.19:
	s_or_b64 exec, exec, s[12:13]
.LBB19_20:
	s_or_b64 exec, exec, s[10:11]
	s_andn2_b64 vcc, exec, s[6:7]
	s_cbranch_vccz .LBB19_22
	s_branch .LBB19_27
.LBB19_21:
                                        ; implicit-def: $vgpr8_vgpr9
                                        ; implicit-def: $vgpr24_vgpr25
                                        ; implicit-def: $vgpr6_vgpr7
                                        ; implicit-def: $vgpr2_vgpr3
                                        ; implicit-def: $vgpr22_vgpr23
                                        ; implicit-def: $vgpr4_vgpr5
.LBB19_22:
	v_mov_b64_e32 v[8:9], 0
	v_mov_b64_e32 v[24:25], v[8:9]
	;; [unrolled: 1-line block ×6, first 2 shown]
	s_and_saveexec_b64 s[6:7], s[0:1]
	s_cbranch_execz .LBB19_26
; %bb.23:
	v_mov_b64_e32 v[8:9], 0
	s_mov_b64 s[0:1], 0
	s_mov_b64 s[10:11], 0x2400
	v_mov_b64_e32 v[24:25], v[8:9]
	v_mov_b64_e32 v[6:7], v[8:9]
	;; [unrolled: 1-line block ×5, first 2 shown]
.LBB19_24:                              ; =>This Inner Loop Header: Depth=1
	v_ashrrev_i32_e32 v11, 31, v10
	v_lshl_add_u64 v[64:65], v[10:11], 2, s[8:9]
	global_load_dword v11, v[64:65], off
	global_load_dwordx4 v[26:29], v[20:21], off offset:48
	global_load_dwordx4 v[32:35], v[20:21], off offset:32
	;; [unrolled: 1-line block ×3, first 2 shown]
	global_load_dwordx4 v[40:43], v[20:21], off
	global_load_dwordx4 v[44:47], v[20:21], off offset:112
	global_load_dwordx4 v[48:51], v[20:21], off offset:96
	;; [unrolled: 1-line block ×5, first 2 shown]
	v_add_u32_e32 v10, 64, v10
	v_cmp_ge_i32_e32 vcc, v10, v30
	v_lshl_add_u64 v[20:21], v[20:21], 0, s[10:11]
	s_or_b64 s[0:1], vcc, s[0:1]
	s_waitcnt vmcnt(9)
	v_subrev_u32_e32 v11, s16, v11
	v_lshl_add_u32 v64, v11, 1, v11
	v_ashrrev_i32_e32 v65, 31, v64
	s_waitcnt lgkmcnt(0)
	v_lshl_add_u64 v[76:77], v[64:65], 4, s[4:5]
	global_load_dwordx4 v[64:67], v[76:77], off
	global_load_dwordx4 v[68:71], v[76:77], off offset:16
	global_load_dwordx4 v[72:75], v[76:77], off offset:32
	s_waitcnt vmcnt(2)
	v_fmac_f64_e32 v[24:25], v[40:41], v[64:65]
	v_fmac_f64_e32 v[8:9], v[42:43], v[64:65]
	v_fmac_f64_e32 v[22:23], v[36:37], v[64:65]
	v_fmac_f64_e32 v[4:5], v[38:39], v[64:65]
	v_fmac_f64_e32 v[6:7], v[32:33], v[64:65]
	v_fmac_f64_e32 v[2:3], v[34:35], v[64:65]
	v_fma_f64 v[24:25], -v[42:43], v[66:67], v[24:25]
	v_fmac_f64_e32 v[8:9], v[40:41], v[66:67]
	v_fma_f64 v[22:23], -v[38:39], v[66:67], v[22:23]
	v_fmac_f64_e32 v[4:5], v[36:37], v[66:67]
	v_fma_f64 v[6:7], -v[34:35], v[66:67], v[6:7]
	v_fmac_f64_e32 v[2:3], v[32:33], v[66:67]
	s_waitcnt vmcnt(1)
	v_fmac_f64_e32 v[24:25], v[26:27], v[68:69]
	v_fmac_f64_e32 v[8:9], v[28:29], v[68:69]
	v_fmac_f64_e32 v[22:23], v[56:57], v[68:69]
	v_fmac_f64_e32 v[4:5], v[58:59], v[68:69]
	v_fmac_f64_e32 v[6:7], v[52:53], v[68:69]
	v_fmac_f64_e32 v[2:3], v[54:55], v[68:69]
	v_fma_f64 v[24:25], -v[28:29], v[70:71], v[24:25]
	v_fmac_f64_e32 v[8:9], v[26:27], v[70:71]
	v_fma_f64 v[22:23], -v[58:59], v[70:71], v[22:23]
	v_fmac_f64_e32 v[4:5], v[56:57], v[70:71]
	v_fma_f64 v[6:7], -v[54:55], v[70:71], v[6:7]
	v_fmac_f64_e32 v[2:3], v[52:53], v[70:71]
	s_waitcnt vmcnt(0)
	v_fmac_f64_e32 v[24:25], v[48:49], v[72:73]
	v_fmac_f64_e32 v[8:9], v[50:51], v[72:73]
	v_fmac_f64_e32 v[22:23], v[44:45], v[72:73]
	v_fmac_f64_e32 v[4:5], v[46:47], v[72:73]
	v_fmac_f64_e32 v[6:7], v[60:61], v[72:73]
	v_fmac_f64_e32 v[2:3], v[62:63], v[72:73]
	v_fma_f64 v[24:25], -v[50:51], v[74:75], v[24:25]
	v_fmac_f64_e32 v[8:9], v[48:49], v[74:75]
	v_fma_f64 v[22:23], -v[46:47], v[74:75], v[22:23]
	v_fmac_f64_e32 v[4:5], v[44:45], v[74:75]
	v_fma_f64 v[6:7], -v[62:63], v[74:75], v[6:7]
	v_fmac_f64_e32 v[2:3], v[60:61], v[74:75]
	s_andn2_b64 exec, exec, s[0:1]
	s_cbranch_execnz .LBB19_24
; %bb.25:
	s_or_b64 exec, exec, s[0:1]
.LBB19_26:
	s_or_b64 exec, exec, s[6:7]
.LBB19_27:
	v_mov_b32_dpp v10, v24 row_shr:1 row_mask:0xf bank_mask:0xf
	v_mov_b32_dpp v11, v25 row_shr:1 row_mask:0xf bank_mask:0xf
	v_add_f64 v[10:11], v[24:25], v[10:11]
	v_mov_b32_dpp v24, v8 row_shr:1 row_mask:0xf bank_mask:0xf
	v_mov_b32_dpp v25, v9 row_shr:1 row_mask:0xf bank_mask:0xf
	;; [unrolled: 1-line block ×10, first 2 shown]
	v_add_f64 v[8:9], v[8:9], v[24:25]
	v_add_f64 v[22:23], v[22:23], v[26:27]
	v_add_f64 v[4:5], v[4:5], v[28:29]
	v_add_f64 v[6:7], v[6:7], v[30:31]
	v_add_f64 v[2:3], v[2:3], v[32:33]
	v_mov_b32_dpp v20, v10 row_shr:2 row_mask:0xf bank_mask:0xf
	v_mov_b32_dpp v21, v11 row_shr:2 row_mask:0xf bank_mask:0xf
	v_mov_b32_dpp v24, v8 row_shr:2 row_mask:0xf bank_mask:0xf
	v_mov_b32_dpp v25, v9 row_shr:2 row_mask:0xf bank_mask:0xf
	v_mov_b32_dpp v26, v22 row_shr:2 row_mask:0xf bank_mask:0xf
	v_mov_b32_dpp v27, v23 row_shr:2 row_mask:0xf bank_mask:0xf
	v_mov_b32_dpp v28, v4 row_shr:2 row_mask:0xf bank_mask:0xf
	v_mov_b32_dpp v29, v5 row_shr:2 row_mask:0xf bank_mask:0xf
	v_mov_b32_dpp v30, v6 row_shr:2 row_mask:0xf bank_mask:0xf
	v_mov_b32_dpp v31, v7 row_shr:2 row_mask:0xf bank_mask:0xf
	v_mov_b32_dpp v32, v2 row_shr:2 row_mask:0xf bank_mask:0xf
	v_mov_b32_dpp v33, v3 row_shr:2 row_mask:0xf bank_mask:0xf
	v_add_f64 v[10:11], v[10:11], v[20:21]
	v_add_f64 v[8:9], v[8:9], v[24:25]
	v_add_f64 v[22:23], v[22:23], v[26:27]
	v_add_f64 v[4:5], v[4:5], v[28:29]
	v_add_f64 v[6:7], v[6:7], v[30:31]
	v_add_f64 v[2:3], v[2:3], v[32:33]
	v_mov_b32_dpp v20, v10 row_shr:4 row_mask:0xf bank_mask:0xe
	v_mov_b32_dpp v21, v11 row_shr:4 row_mask:0xf bank_mask:0xe
	v_mov_b32_dpp v24, v8 row_shr:4 row_mask:0xf bank_mask:0xe
	v_mov_b32_dpp v25, v9 row_shr:4 row_mask:0xf bank_mask:0xe
	v_mov_b32_dpp v26, v22 row_shr:4 row_mask:0xf bank_mask:0xe
	v_mov_b32_dpp v27, v23 row_shr:4 row_mask:0xf bank_mask:0xe
	v_mov_b32_dpp v28, v4 row_shr:4 row_mask:0xf bank_mask:0xe
	v_mov_b32_dpp v29, v5 row_shr:4 row_mask:0xf bank_mask:0xe
	v_mov_b32_dpp v30, v6 row_shr:4 row_mask:0xf bank_mask:0xe
	v_mov_b32_dpp v31, v7 row_shr:4 row_mask:0xf bank_mask:0xe
	v_mov_b32_dpp v32, v2 row_shr:4 row_mask:0xf bank_mask:0xe
	v_mov_b32_dpp v33, v3 row_shr:4 row_mask:0xf bank_mask:0xe
	v_add_f64 v[10:11], v[10:11], v[20:21]
	;; [unrolled: 18-line block ×3, first 2 shown]
	v_add_f64 v[8:9], v[8:9], v[24:25]
	v_add_f64 v[22:23], v[22:23], v[26:27]
	;; [unrolled: 1-line block ×5, first 2 shown]
	v_mov_b32_dpp v20, v10 row_bcast:15 row_mask:0xa bank_mask:0xf
	v_mov_b32_dpp v21, v11 row_bcast:15 row_mask:0xa bank_mask:0xf
	;; [unrolled: 1-line block ×12, first 2 shown]
	v_add_f64 v[10:11], v[10:11], v[20:21]
	v_add_f64 v[8:9], v[8:9], v[24:25]
	v_add_f64 v[22:23], v[22:23], v[26:27]
	v_add_f64 v[4:5], v[4:5], v[28:29]
	v_add_f64 v[6:7], v[6:7], v[30:31]
	v_add_f64 v[2:3], v[2:3], v[32:33]
	v_mov_b32_dpp v20, v10 row_bcast:31 row_mask:0xc bank_mask:0xf
	v_mov_b32_dpp v21, v11 row_bcast:31 row_mask:0xc bank_mask:0xf
	;; [unrolled: 1-line block ×12, first 2 shown]
	v_cmp_eq_u32_e32 vcc, 63, v1
	s_and_b64 exec, exec, vcc
	s_cbranch_execz .LBB19_12
; %bb.28:
	s_load_dwordx2 s[2:3], s[2:3], 0x60
	v_add_f64 v[34:35], v[10:11], v[20:21]
	v_add_f64 v[10:11], v[8:9], v[24:25]
	;; [unrolled: 1-line block ×6, first 2 shown]
	v_cmp_eq_f64_e32 vcc, 0, v[12:13]
	v_cmp_eq_f64_e64 s[0:1], 0, v[14:15]
	v_mul_f64 v[8:9], v[10:11], -v[18:19]
	v_mul_f64 v[10:11], v[16:17], v[10:11]
	v_lshl_add_u32 v20, v0, 1, v0
	v_mul_f64 v[4:5], v[24:25], -v[18:19]
	v_mul_f64 v[6:7], v[16:17], v[24:25]
	v_mul_f64 v[0:1], v[2:3], -v[18:19]
	v_mul_f64 v[2:3], v[16:17], v[2:3]
	s_and_b64 s[0:1], vcc, s[0:1]
	v_fmac_f64_e32 v[8:9], v[16:17], v[34:35]
	v_fmac_f64_e32 v[10:11], v[18:19], v[34:35]
	v_ashrrev_i32_e32 v21, 31, v20
	v_fmac_f64_e32 v[4:5], v[16:17], v[22:23]
	v_fmac_f64_e32 v[6:7], v[18:19], v[22:23]
	;; [unrolled: 1-line block ×4, first 2 shown]
	s_waitcnt lgkmcnt(0)
	s_and_saveexec_b64 s[4:5], s[0:1]
	s_xor_b64 s[0:1], exec, s[4:5]
	s_cbranch_execz .LBB19_30
; %bb.29:
	v_lshl_add_u64 v[12:13], v[20:21], 4, s[2:3]
	global_store_dwordx4 v[12:13], v[8:11], off
	global_store_dwordx4 v[12:13], v[4:7], off offset:16
	global_store_dwordx4 v[12:13], v[0:3], off offset:32
                                        ; implicit-def: $vgpr12_vgpr13
                                        ; implicit-def: $vgpr14_vgpr15
                                        ; implicit-def: $vgpr20
                                        ; implicit-def: $vgpr8_vgpr9
                                        ; implicit-def: $vgpr4_vgpr5
                                        ; implicit-def: $vgpr0_vgpr1
.LBB19_30:
	s_andn2_saveexec_b64 s[0:1], s[0:1]
	s_cbranch_execz .LBB19_12
; %bb.31:
	v_lshl_add_u64 v[28:29], v[20:21], 4, s[2:3]
	global_load_dwordx4 v[16:19], v[28:29], off
	global_load_dwordx4 v[20:23], v[28:29], off offset:16
	global_load_dwordx4 v[24:27], v[28:29], off offset:32
	s_waitcnt vmcnt(2)
	v_fmac_f64_e32 v[8:9], v[12:13], v[16:17]
	v_fmac_f64_e32 v[10:11], v[14:15], v[16:17]
	s_waitcnt vmcnt(1)
	v_fmac_f64_e32 v[4:5], v[12:13], v[20:21]
	v_fmac_f64_e32 v[6:7], v[14:15], v[20:21]
	;; [unrolled: 3-line block ×3, first 2 shown]
	v_fma_f64 v[8:9], -v[14:15], v[18:19], v[8:9]
	v_fmac_f64_e32 v[10:11], v[12:13], v[18:19]
	v_fma_f64 v[4:5], -v[14:15], v[22:23], v[4:5]
	v_fmac_f64_e32 v[6:7], v[12:13], v[22:23]
	v_fma_f64 v[0:1], -v[14:15], v[26:27], v[0:1]
	v_fmac_f64_e32 v[2:3], v[12:13], v[26:27]
	global_store_dwordx4 v[28:29], v[8:11], off
	global_store_dwordx4 v[28:29], v[4:7], off offset:16
	global_store_dwordx4 v[28:29], v[0:3], off offset:32
	s_endpgm
	.section	.rodata,"a",@progbits
	.p2align	6, 0x0
	.amdhsa_kernel _ZN9rocsparseL18bsrxmvn_3x3_kernelILj256ELj64E21rocsparse_complex_numIdEiiS2_S2_S2_EEvT3_20rocsparse_direction_NS_24const_host_device_scalarIT1_EES3_PKS3_PKT2_SC_S9_PKT4_PKT5_S7_PT6_21rocsparse_index_base_b
		.amdhsa_group_segment_fixed_size 4096
		.amdhsa_private_segment_fixed_size 0
		.amdhsa_kernarg_size 112
		.amdhsa_user_sgpr_count 4
		.amdhsa_user_sgpr_dispatch_ptr 1
		.amdhsa_user_sgpr_queue_ptr 0
		.amdhsa_user_sgpr_kernarg_segment_ptr 1
		.amdhsa_user_sgpr_dispatch_id 0
		.amdhsa_user_sgpr_kernarg_preload_length 0
		.amdhsa_user_sgpr_kernarg_preload_offset 0
		.amdhsa_user_sgpr_private_segment_size 0
		.amdhsa_uses_dynamic_stack 0
		.amdhsa_enable_private_segment 0
		.amdhsa_system_sgpr_workgroup_id_x 1
		.amdhsa_system_sgpr_workgroup_id_y 0
		.amdhsa_system_sgpr_workgroup_id_z 0
		.amdhsa_system_sgpr_workgroup_info 0
		.amdhsa_system_vgpr_workitem_id 2
		.amdhsa_next_free_vgpr 82
		.amdhsa_next_free_sgpr 20
		.amdhsa_accum_offset 84
		.amdhsa_reserve_vcc 1
		.amdhsa_float_round_mode_32 0
		.amdhsa_float_round_mode_16_64 0
		.amdhsa_float_denorm_mode_32 3
		.amdhsa_float_denorm_mode_16_64 3
		.amdhsa_dx10_clamp 1
		.amdhsa_ieee_mode 1
		.amdhsa_fp16_overflow 0
		.amdhsa_tg_split 0
		.amdhsa_exception_fp_ieee_invalid_op 0
		.amdhsa_exception_fp_denorm_src 0
		.amdhsa_exception_fp_ieee_div_zero 0
		.amdhsa_exception_fp_ieee_overflow 0
		.amdhsa_exception_fp_ieee_underflow 0
		.amdhsa_exception_fp_ieee_inexact 0
		.amdhsa_exception_int_div_zero 0
	.end_amdhsa_kernel
	.section	.text._ZN9rocsparseL18bsrxmvn_3x3_kernelILj256ELj64E21rocsparse_complex_numIdEiiS2_S2_S2_EEvT3_20rocsparse_direction_NS_24const_host_device_scalarIT1_EES3_PKS3_PKT2_SC_S9_PKT4_PKT5_S7_PT6_21rocsparse_index_base_b,"axG",@progbits,_ZN9rocsparseL18bsrxmvn_3x3_kernelILj256ELj64E21rocsparse_complex_numIdEiiS2_S2_S2_EEvT3_20rocsparse_direction_NS_24const_host_device_scalarIT1_EES3_PKS3_PKT2_SC_S9_PKT4_PKT5_S7_PT6_21rocsparse_index_base_b,comdat
.Lfunc_end19:
	.size	_ZN9rocsparseL18bsrxmvn_3x3_kernelILj256ELj64E21rocsparse_complex_numIdEiiS2_S2_S2_EEvT3_20rocsparse_direction_NS_24const_host_device_scalarIT1_EES3_PKS3_PKT2_SC_S9_PKT4_PKT5_S7_PT6_21rocsparse_index_base_b, .Lfunc_end19-_ZN9rocsparseL18bsrxmvn_3x3_kernelILj256ELj64E21rocsparse_complex_numIdEiiS2_S2_S2_EEvT3_20rocsparse_direction_NS_24const_host_device_scalarIT1_EES3_PKS3_PKT2_SC_S9_PKT4_PKT5_S7_PT6_21rocsparse_index_base_b
                                        ; -- End function
	.section	.AMDGPU.csdata,"",@progbits
; Kernel info:
; codeLenInByte = 2684
; NumSgprs: 26
; NumVgprs: 82
; NumAgprs: 0
; TotalNumVgprs: 82
; ScratchSize: 0
; MemoryBound: 0
; FloatMode: 240
; IeeeMode: 1
; LDSByteSize: 4096 bytes/workgroup (compile time only)
; SGPRBlocks: 3
; VGPRBlocks: 10
; NumSGPRsForWavesPerEU: 26
; NumVGPRsForWavesPerEU: 82
; AccumOffset: 84
; Occupancy: 5
; WaveLimiterHint : 1
; COMPUTE_PGM_RSRC2:SCRATCH_EN: 0
; COMPUTE_PGM_RSRC2:USER_SGPR: 4
; COMPUTE_PGM_RSRC2:TRAP_HANDLER: 0
; COMPUTE_PGM_RSRC2:TGID_X_EN: 1
; COMPUTE_PGM_RSRC2:TGID_Y_EN: 0
; COMPUTE_PGM_RSRC2:TGID_Z_EN: 0
; COMPUTE_PGM_RSRC2:TIDIG_COMP_CNT: 2
; COMPUTE_PGM_RSRC3_GFX90A:ACCUM_OFFSET: 20
; COMPUTE_PGM_RSRC3_GFX90A:TG_SPLIT: 0
	.section	.text._ZN9rocsparseL18bsrxmvn_3x3_kernelILj256ELj4EflifffEEvT3_20rocsparse_direction_NS_24const_host_device_scalarIT1_EES1_PKS1_PKT2_SA_S7_PKT4_PKT5_S5_PT6_21rocsparse_index_base_b,"axG",@progbits,_ZN9rocsparseL18bsrxmvn_3x3_kernelILj256ELj4EflifffEEvT3_20rocsparse_direction_NS_24const_host_device_scalarIT1_EES1_PKS1_PKT2_SA_S7_PKT4_PKT5_S5_PT6_21rocsparse_index_base_b,comdat
	.globl	_ZN9rocsparseL18bsrxmvn_3x3_kernelILj256ELj4EflifffEEvT3_20rocsparse_direction_NS_24const_host_device_scalarIT1_EES1_PKS1_PKT2_SA_S7_PKT4_PKT5_S5_PT6_21rocsparse_index_base_b ; -- Begin function _ZN9rocsparseL18bsrxmvn_3x3_kernelILj256ELj4EflifffEEvT3_20rocsparse_direction_NS_24const_host_device_scalarIT1_EES1_PKS1_PKT2_SA_S7_PKT4_PKT5_S5_PT6_21rocsparse_index_base_b
	.p2align	8
	.type	_ZN9rocsparseL18bsrxmvn_3x3_kernelILj256ELj4EflifffEEvT3_20rocsparse_direction_NS_24const_host_device_scalarIT1_EES1_PKS1_PKT2_SA_S7_PKT4_PKT5_S5_PT6_21rocsparse_index_base_b,@function
_ZN9rocsparseL18bsrxmvn_3x3_kernelILj256ELj4EflifffEEvT3_20rocsparse_direction_NS_24const_host_device_scalarIT1_EES1_PKS1_PKT2_SA_S7_PKT4_PKT5_S5_PT6_21rocsparse_index_base_b: ; @_ZN9rocsparseL18bsrxmvn_3x3_kernelILj256ELj4EflifffEEvT3_20rocsparse_direction_NS_24const_host_device_scalarIT1_EES1_PKS1_PKT2_SA_S7_PKT4_PKT5_S5_PT6_21rocsparse_index_base_b
; %bb.0:
	s_load_dwordx2 s[16:17], s[0:1], 0x58
	s_load_dwordx2 s[12:13], s[0:1], 0x8
	;; [unrolled: 1-line block ×3, first 2 shown]
	s_waitcnt lgkmcnt(0)
	s_bitcmp1_b32 s17, 0
	s_cselect_b64 s[6:7], -1, 0
	s_xor_b64 s[4:5], s[6:7], -1
	s_and_b64 vcc, exec, s[6:7]
	s_cbranch_vccnz .LBB20_2
; %bb.1:
	s_load_dword s12, s[12:13], 0x0
.LBB20_2:
	s_andn2_b64 vcc, exec, s[4:5]
	s_cbranch_vccnz .LBB20_4
; %bb.3:
	s_load_dword s14, s[14:15], 0x0
.LBB20_4:
	s_waitcnt lgkmcnt(0)
	v_cmp_neq_f32_e64 s[4:5], s12, 0
	v_cmp_neq_f32_e64 s[6:7], s14, 1.0
	s_or_b64 s[4:5], s[4:5], s[6:7]
	s_andn2_b64 vcc, exec, s[4:5]
	s_cbranch_vccnz .LBB20_10
; %bb.5:
	s_load_dwordx2 s[4:5], s[0:1], 0x18
	s_load_dwordx2 s[18:19], s[0:1], 0x0
	v_lshrrev_b32_e32 v1, 2, v0
	v_lshl_or_b32 v2, s2, 6, v1
	s_mov_b64 s[2:3], 0
	s_waitcnt lgkmcnt(0)
	s_cmp_lg_u64 s[4:5], 0
	s_cbranch_scc0 .LBB20_11
; %bb.6:
	s_load_dword s6, s[0:1], 0x10
                                        ; implicit-def: $vgpr1
	s_waitcnt lgkmcnt(0)
	v_cmp_gt_i32_e32 vcc, s6, v2
	s_and_saveexec_b64 s[6:7], vcc
	s_xor_b64 s[6:7], exec, s[6:7]
	s_cbranch_execz .LBB20_8
; %bb.7:
	v_ashrrev_i32_e32 v3, 31, v2
	v_lshl_add_u64 v[4:5], v[2:3], 2, s[4:5]
	global_load_dword v1, v[4:5], off
	s_mov_b64 s[2:3], exec
	s_waitcnt vmcnt(0)
	v_subrev_u32_e32 v1, s16, v1
.LBB20_8:
	s_or_b64 exec, exec, s[6:7]
	s_branch .LBB20_12
.LBB20_9:
	v_cmp_gt_i32_e32 vcc, s18, v2
	s_andn2_b64 s[2:3], s[2:3], exec
	s_and_b64 s[4:5], vcc, exec
	s_or_b64 s[2:3], s[2:3], s[4:5]
	s_and_saveexec_b64 s[4:5], s[2:3]
	s_cbranch_execnz .LBB20_13
.LBB20_10:
	s_endpgm
.LBB20_11:
                                        ; implicit-def: $vgpr1
	s_cbranch_execnz .LBB20_9
.LBB20_12:
	v_mov_b32_e32 v2, v1
	s_and_saveexec_b64 s[4:5], s[2:3]
	s_cbranch_execz .LBB20_10
.LBB20_13:
	s_load_dwordx8 s[4:11], s[0:1], 0x20
	v_ashrrev_i32_e32 v3, 31, v2
	v_lshlrev_b64 v[4:5], 3, v[2:3]
	v_and_b32_e32 v0, 3, v0
	s_waitcnt lgkmcnt(0)
	v_lshl_add_u64 v[6:7], s[4:5], 0, v[4:5]
	s_cmp_eq_u64 s[6:7], 0
	v_lshl_add_u64 v[4:5], s[6:7], 0, v[4:5]
	global_load_dwordx2 v[8:9], v[6:7], off
	v_lshl_add_u64 v[6:7], v[6:7], 0, 8
	s_cselect_b64 vcc, -1, 0
	v_cndmask_b32_e32 v5, v5, v7, vcc
	v_cndmask_b32_e32 v4, v4, v6, vcc
	global_load_dwordx2 v[10:11], v[4:5], off
	v_mov_b32_e32 v5, 0
	v_mov_b32_e32 v1, v5
	s_load_dwordx2 s[4:5], s[0:1], 0x40
	s_cmp_eq_u32 s19, 1
	s_waitcnt vmcnt(1)
	v_subrev_co_u32_e32 v6, vcc, s16, v8
	s_nop 1
	v_subbrev_co_u32_e32 v7, vcc, 0, v9, vcc
	v_lshl_add_u64 v[6:7], v[6:7], 0, v[0:1]
	s_waitcnt vmcnt(0)
	v_subrev_co_u32_e32 v8, vcc, s16, v10
	s_nop 1
	v_subbrev_co_u32_e32 v9, vcc, 0, v11, vcc
	v_mad_u64_u32 v[10:11], s[2:3], v6, 36, 0
	v_mov_b32_e32 v4, v11
	v_mad_u64_u32 v[12:13], s[2:3], v7, 36, v[4:5]
	v_mov_b32_e32 v11, v12
	v_cmp_lt_i64_e64 s[2:3], v[6:7], v[8:9]
	s_cbranch_scc1 .LBB20_19
; %bb.14:
	v_mov_b32_e32 v4, 0
	v_mov_b32_e32 v1, 0
	s_and_saveexec_b64 s[6:7], s[2:3]
	s_cbranch_execz .LBB20_18
; %bb.15:
	v_mov_b32_e32 v1, 0
	v_lshl_add_u64 v[12:13], s[10:11], 0, v[10:11]
	v_lshl_add_u64 v[14:15], v[6:7], 2, s[8:9]
	s_mov_b64 s[18:19], 0
	s_mov_b64 s[20:21], 0x90
	v_mov_b64_e32 v[16:17], v[6:7]
	v_mov_b32_e32 v4, 0
	v_mov_b32_e32 v5, v1
.LBB20_16:                              ; =>This Inner Loop Header: Depth=1
	global_load_dword v3, v[14:15], off
	global_load_dwordx4 v[18:21], v[12:13], off offset:16
	global_load_dwordx4 v[22:25], v[12:13], off
	v_lshl_add_u64 v[16:17], v[16:17], 0, 4
	v_cmp_ge_i64_e32 vcc, v[16:17], v[8:9]
	v_lshl_add_u64 v[14:15], v[14:15], 0, 16
	s_or_b64 s[18:19], vcc, s[18:19]
	s_waitcnt vmcnt(2)
	v_subrev_u32_e32 v3, s16, v3
	v_lshl_add_u32 v26, v3, 1, v3
	v_ashrrev_i32_e32 v27, 31, v26
	s_waitcnt lgkmcnt(0)
	v_lshl_add_u64 v[30:31], v[26:27], 2, s[4:5]
	global_load_dwordx3 v[26:28], v[30:31], off
	global_load_dword v3, v[12:13], off offset:32
	s_waitcnt vmcnt(2)
	v_mov_b32_e32 v30, v22
	v_mov_b32_e32 v31, v25
	;; [unrolled: 1-line block ×5, first 2 shown]
	v_lshl_add_u64 v[12:13], v[12:13], 0, s[20:21]
	s_waitcnt vmcnt(1)
	v_pk_fma_f32 v[4:5], v[30:31], v[26:27], v[4:5] op_sel_hi:[1,0,1]
	v_fmac_f32_e32 v1, v20, v26
	v_mov_b32_e32 v18, v28
	v_pk_fma_f32 v[4:5], v[22:23], v[26:27], v[4:5] op_sel:[0,1,0]
	v_fmac_f32_e32 v1, v21, v27
	v_pk_fma_f32 v[4:5], v[24:25], v[18:19], v[4:5] op_sel_hi:[1,0,1]
	s_waitcnt vmcnt(0)
	v_fmac_f32_e32 v1, v3, v28
	s_andn2_b64 exec, exec, s[18:19]
	s_cbranch_execnz .LBB20_16
; %bb.17:
	s_or_b64 exec, exec, s[18:19]
.LBB20_18:
	s_or_b64 exec, exec, s[6:7]
	s_cbranch_execz .LBB20_20
	s_branch .LBB20_25
.LBB20_19:
                                        ; implicit-def: $vgpr5
                                        ; implicit-def: $vgpr1
.LBB20_20:
	v_mov_b32_e32 v5, 0
	v_mov_b32_e32 v4, v5
	;; [unrolled: 1-line block ×3, first 2 shown]
	s_and_saveexec_b64 s[6:7], s[2:3]
	s_cbranch_execz .LBB20_24
; %bb.21:
	v_lshl_add_u64 v[4:5], v[10:11], 0, s[10:11]
	v_mov_b32_e32 v1, 0
	v_lshl_add_u64 v[10:11], v[4:5], 0, 20
	v_lshl_add_u64 v[12:13], v[6:7], 2, s[8:9]
	s_mov_b64 s[2:3], 0
	s_mov_b64 s[8:9], 0x90
	v_mov_b32_e32 v4, 0
	v_mov_b32_e32 v5, v1
.LBB20_22:                              ; =>This Inner Loop Header: Depth=1
	global_load_dword v3, v[12:13], off
	global_load_dwordx4 v[14:17], v[10:11], off offset:-4
	global_load_dwordx4 v[18:21], v[10:11], off offset:-20
	v_lshl_add_u64 v[6:7], v[6:7], 0, 4
	v_cmp_ge_i64_e32 vcc, v[6:7], v[8:9]
	v_lshl_add_u64 v[12:13], v[12:13], 0, 16
	s_or_b64 s[2:3], vcc, s[2:3]
	s_waitcnt vmcnt(2)
	v_subrev_u32_e32 v3, s16, v3
	v_lshl_add_u32 v22, v3, 1, v3
	v_ashrrev_i32_e32 v23, 31, v22
	s_waitcnt lgkmcnt(0)
	v_lshl_add_u64 v[26:27], v[22:23], 2, s[4:5]
	global_load_dwordx3 v[22:24], v[26:27], off
	global_load_dword v3, v[10:11], off offset:12
	s_waitcnt vmcnt(2)
	v_mov_b32_e32 v26, v21
	v_mov_b32_e32 v27, v14
	v_lshl_add_u64 v[10:11], v[10:11], 0, s[8:9]
	s_waitcnt vmcnt(1)
	v_fmac_f32_e32 v1, v20, v22
	v_pk_fma_f32 v[4:5], v[18:19], v[22:23], v[4:5] op_sel_hi:[1,0,1]
	v_mov_b32_e32 v14, v24
	v_fmac_f32_e32 v1, v15, v23
	v_pk_fma_f32 v[4:5], v[26:27], v[22:23], v[4:5] op_sel:[0,1,0]
	s_waitcnt vmcnt(0)
	v_fmac_f32_e32 v1, v3, v24
	v_pk_fma_f32 v[4:5], v[16:17], v[14:15], v[4:5] op_sel_hi:[1,0,1]
	s_andn2_b64 exec, exec, s[2:3]
	s_cbranch_execnz .LBB20_22
; %bb.23:
	s_or_b64 exec, exec, s[2:3]
.LBB20_24:
	s_or_b64 exec, exec, s[6:7]
.LBB20_25:
	v_mov_b32_dpp v6, v4 row_shr:1 row_mask:0xf bank_mask:0xf
	v_mov_b32_dpp v7, v5 row_shr:1 row_mask:0xf bank_mask:0xf
	v_mov_b32_dpp v3, v1 row_shr:1 row_mask:0xf bank_mask:0xf
	v_pk_add_f32 v[4:5], v[4:5], v[6:7]
	v_add_f32_e32 v1, v1, v3
	v_cmp_eq_u32_e32 vcc, 3, v0
	v_mov_b32_dpp v6, v4 row_shr:2 row_mask:0xf bank_mask:0xf
	v_mov_b32_dpp v7, v5 row_shr:2 row_mask:0xf bank_mask:0xf
	;; [unrolled: 1-line block ×3, first 2 shown]
	s_and_b64 exec, exec, vcc
	s_cbranch_execz .LBB20_10
; %bb.26:
	s_load_dwordx2 s[0:1], s[0:1], 0x50
	v_pk_add_f32 v[4:5], v[4:5], v[6:7]
	v_add_f32_e32 v0, v1, v3
	v_cmp_eq_f32_e64 s[2:3], s14, 0
	v_lshl_add_u32 v6, v2, 1, v2
	s_and_b64 vcc, exec, s[2:3]
	v_mul_f32_e32 v2, s12, v0
	v_ashrrev_i32_e32 v7, 31, v6
	s_cbranch_vccz .LBB20_28
; %bb.27:
	s_waitcnt lgkmcnt(0)
	v_lshl_add_u64 v[8:9], v[6:7], 2, s[0:1]
	v_pk_mul_f32 v[0:1], s[12:13], v[4:5] op_sel_hi:[0,1]
	global_store_dwordx3 v[8:9], v[0:2], off
	s_cbranch_execnz .LBB20_10
	s_branch .LBB20_29
.LBB20_28:
.LBB20_29:
	s_waitcnt lgkmcnt(0)
	v_lshl_add_u64 v[10:11], v[6:7], 2, s[0:1]
	global_load_dwordx3 v[6:8], v[10:11], off
	v_pk_mul_f32 v[0:1], s[12:13], v[4:5] op_sel_hi:[0,1]
	s_waitcnt vmcnt(0)
	v_pk_fma_f32 v[0:1], s[14:15], v[6:7], v[0:1] op_sel_hi:[0,1,1]
	v_fmac_f32_e32 v2, s14, v8
	global_store_dwordx3 v[10:11], v[0:2], off
	s_endpgm
	.section	.rodata,"a",@progbits
	.p2align	6, 0x0
	.amdhsa_kernel _ZN9rocsparseL18bsrxmvn_3x3_kernelILj256ELj4EflifffEEvT3_20rocsparse_direction_NS_24const_host_device_scalarIT1_EES1_PKS1_PKT2_SA_S7_PKT4_PKT5_S5_PT6_21rocsparse_index_base_b
		.amdhsa_group_segment_fixed_size 0
		.amdhsa_private_segment_fixed_size 0
		.amdhsa_kernarg_size 96
		.amdhsa_user_sgpr_count 2
		.amdhsa_user_sgpr_dispatch_ptr 0
		.amdhsa_user_sgpr_queue_ptr 0
		.amdhsa_user_sgpr_kernarg_segment_ptr 1
		.amdhsa_user_sgpr_dispatch_id 0
		.amdhsa_user_sgpr_kernarg_preload_length 0
		.amdhsa_user_sgpr_kernarg_preload_offset 0
		.amdhsa_user_sgpr_private_segment_size 0
		.amdhsa_uses_dynamic_stack 0
		.amdhsa_enable_private_segment 0
		.amdhsa_system_sgpr_workgroup_id_x 1
		.amdhsa_system_sgpr_workgroup_id_y 0
		.amdhsa_system_sgpr_workgroup_id_z 0
		.amdhsa_system_sgpr_workgroup_info 0
		.amdhsa_system_vgpr_workitem_id 0
		.amdhsa_next_free_vgpr 32
		.amdhsa_next_free_sgpr 22
		.amdhsa_accum_offset 32
		.amdhsa_reserve_vcc 1
		.amdhsa_float_round_mode_32 0
		.amdhsa_float_round_mode_16_64 0
		.amdhsa_float_denorm_mode_32 3
		.amdhsa_float_denorm_mode_16_64 3
		.amdhsa_dx10_clamp 1
		.amdhsa_ieee_mode 1
		.amdhsa_fp16_overflow 0
		.amdhsa_tg_split 0
		.amdhsa_exception_fp_ieee_invalid_op 0
		.amdhsa_exception_fp_denorm_src 0
		.amdhsa_exception_fp_ieee_div_zero 0
		.amdhsa_exception_fp_ieee_overflow 0
		.amdhsa_exception_fp_ieee_underflow 0
		.amdhsa_exception_fp_ieee_inexact 0
		.amdhsa_exception_int_div_zero 0
	.end_amdhsa_kernel
	.section	.text._ZN9rocsparseL18bsrxmvn_3x3_kernelILj256ELj4EflifffEEvT3_20rocsparse_direction_NS_24const_host_device_scalarIT1_EES1_PKS1_PKT2_SA_S7_PKT4_PKT5_S5_PT6_21rocsparse_index_base_b,"axG",@progbits,_ZN9rocsparseL18bsrxmvn_3x3_kernelILj256ELj4EflifffEEvT3_20rocsparse_direction_NS_24const_host_device_scalarIT1_EES1_PKS1_PKT2_SA_S7_PKT4_PKT5_S5_PT6_21rocsparse_index_base_b,comdat
.Lfunc_end20:
	.size	_ZN9rocsparseL18bsrxmvn_3x3_kernelILj256ELj4EflifffEEvT3_20rocsparse_direction_NS_24const_host_device_scalarIT1_EES1_PKS1_PKT2_SA_S7_PKT4_PKT5_S5_PT6_21rocsparse_index_base_b, .Lfunc_end20-_ZN9rocsparseL18bsrxmvn_3x3_kernelILj256ELj4EflifffEEvT3_20rocsparse_direction_NS_24const_host_device_scalarIT1_EES1_PKS1_PKT2_SA_S7_PKT4_PKT5_S5_PT6_21rocsparse_index_base_b
                                        ; -- End function
	.section	.AMDGPU.csdata,"",@progbits
; Kernel info:
; codeLenInByte = 1164
; NumSgprs: 28
; NumVgprs: 32
; NumAgprs: 0
; TotalNumVgprs: 32
; ScratchSize: 0
; MemoryBound: 0
; FloatMode: 240
; IeeeMode: 1
; LDSByteSize: 0 bytes/workgroup (compile time only)
; SGPRBlocks: 3
; VGPRBlocks: 3
; NumSGPRsForWavesPerEU: 28
; NumVGPRsForWavesPerEU: 32
; AccumOffset: 32
; Occupancy: 8
; WaveLimiterHint : 1
; COMPUTE_PGM_RSRC2:SCRATCH_EN: 0
; COMPUTE_PGM_RSRC2:USER_SGPR: 2
; COMPUTE_PGM_RSRC2:TRAP_HANDLER: 0
; COMPUTE_PGM_RSRC2:TGID_X_EN: 1
; COMPUTE_PGM_RSRC2:TGID_Y_EN: 0
; COMPUTE_PGM_RSRC2:TGID_Z_EN: 0
; COMPUTE_PGM_RSRC2:TIDIG_COMP_CNT: 0
; COMPUTE_PGM_RSRC3_GFX90A:ACCUM_OFFSET: 7
; COMPUTE_PGM_RSRC3_GFX90A:TG_SPLIT: 0
	.section	.text._ZN9rocsparseL18bsrxmvn_3x3_kernelILj256ELj8EflifffEEvT3_20rocsparse_direction_NS_24const_host_device_scalarIT1_EES1_PKS1_PKT2_SA_S7_PKT4_PKT5_S5_PT6_21rocsparse_index_base_b,"axG",@progbits,_ZN9rocsparseL18bsrxmvn_3x3_kernelILj256ELj8EflifffEEvT3_20rocsparse_direction_NS_24const_host_device_scalarIT1_EES1_PKS1_PKT2_SA_S7_PKT4_PKT5_S5_PT6_21rocsparse_index_base_b,comdat
	.globl	_ZN9rocsparseL18bsrxmvn_3x3_kernelILj256ELj8EflifffEEvT3_20rocsparse_direction_NS_24const_host_device_scalarIT1_EES1_PKS1_PKT2_SA_S7_PKT4_PKT5_S5_PT6_21rocsparse_index_base_b ; -- Begin function _ZN9rocsparseL18bsrxmvn_3x3_kernelILj256ELj8EflifffEEvT3_20rocsparse_direction_NS_24const_host_device_scalarIT1_EES1_PKS1_PKT2_SA_S7_PKT4_PKT5_S5_PT6_21rocsparse_index_base_b
	.p2align	8
	.type	_ZN9rocsparseL18bsrxmvn_3x3_kernelILj256ELj8EflifffEEvT3_20rocsparse_direction_NS_24const_host_device_scalarIT1_EES1_PKS1_PKT2_SA_S7_PKT4_PKT5_S5_PT6_21rocsparse_index_base_b,@function
_ZN9rocsparseL18bsrxmvn_3x3_kernelILj256ELj8EflifffEEvT3_20rocsparse_direction_NS_24const_host_device_scalarIT1_EES1_PKS1_PKT2_SA_S7_PKT4_PKT5_S5_PT6_21rocsparse_index_base_b: ; @_ZN9rocsparseL18bsrxmvn_3x3_kernelILj256ELj8EflifffEEvT3_20rocsparse_direction_NS_24const_host_device_scalarIT1_EES1_PKS1_PKT2_SA_S7_PKT4_PKT5_S5_PT6_21rocsparse_index_base_b
; %bb.0:
	s_load_dwordx2 s[16:17], s[0:1], 0x58
	s_load_dwordx2 s[12:13], s[0:1], 0x8
	s_load_dwordx2 s[14:15], s[0:1], 0x48
	s_waitcnt lgkmcnt(0)
	s_bitcmp1_b32 s17, 0
	s_cselect_b64 s[6:7], -1, 0
	s_xor_b64 s[4:5], s[6:7], -1
	s_and_b64 vcc, exec, s[6:7]
	s_cbranch_vccnz .LBB21_2
; %bb.1:
	s_load_dword s12, s[12:13], 0x0
.LBB21_2:
	s_andn2_b64 vcc, exec, s[4:5]
	s_cbranch_vccnz .LBB21_4
; %bb.3:
	s_load_dword s14, s[14:15], 0x0
.LBB21_4:
	s_waitcnt lgkmcnt(0)
	v_cmp_neq_f32_e64 s[4:5], s12, 0
	v_cmp_neq_f32_e64 s[6:7], s14, 1.0
	s_or_b64 s[4:5], s[4:5], s[6:7]
	s_andn2_b64 vcc, exec, s[4:5]
	s_cbranch_vccnz .LBB21_10
; %bb.5:
	s_load_dwordx2 s[4:5], s[0:1], 0x18
	s_load_dwordx2 s[18:19], s[0:1], 0x0
	v_lshrrev_b32_e32 v1, 3, v0
	v_lshl_or_b32 v2, s2, 5, v1
	s_mov_b64 s[2:3], 0
	s_waitcnt lgkmcnt(0)
	s_cmp_lg_u64 s[4:5], 0
	s_cbranch_scc0 .LBB21_11
; %bb.6:
	s_load_dword s6, s[0:1], 0x10
                                        ; implicit-def: $vgpr1
	s_waitcnt lgkmcnt(0)
	v_cmp_gt_i32_e32 vcc, s6, v2
	s_and_saveexec_b64 s[6:7], vcc
	s_xor_b64 s[6:7], exec, s[6:7]
	s_cbranch_execz .LBB21_8
; %bb.7:
	v_ashrrev_i32_e32 v3, 31, v2
	v_lshl_add_u64 v[4:5], v[2:3], 2, s[4:5]
	global_load_dword v1, v[4:5], off
	s_mov_b64 s[2:3], exec
	s_waitcnt vmcnt(0)
	v_subrev_u32_e32 v1, s16, v1
.LBB21_8:
	s_or_b64 exec, exec, s[6:7]
	s_branch .LBB21_12
.LBB21_9:
	v_cmp_gt_i32_e32 vcc, s18, v2
	s_andn2_b64 s[2:3], s[2:3], exec
	s_and_b64 s[4:5], vcc, exec
	s_or_b64 s[2:3], s[2:3], s[4:5]
	s_and_saveexec_b64 s[4:5], s[2:3]
	s_cbranch_execnz .LBB21_13
.LBB21_10:
	s_endpgm
.LBB21_11:
                                        ; implicit-def: $vgpr1
	s_cbranch_execnz .LBB21_9
.LBB21_12:
	v_mov_b32_e32 v2, v1
	s_and_saveexec_b64 s[4:5], s[2:3]
	s_cbranch_execz .LBB21_10
.LBB21_13:
	s_load_dwordx8 s[4:11], s[0:1], 0x20
	v_ashrrev_i32_e32 v3, 31, v2
	v_lshlrev_b64 v[4:5], 3, v[2:3]
	v_and_b32_e32 v0, 7, v0
	s_waitcnt lgkmcnt(0)
	v_lshl_add_u64 v[6:7], s[4:5], 0, v[4:5]
	s_cmp_eq_u64 s[6:7], 0
	v_lshl_add_u64 v[4:5], s[6:7], 0, v[4:5]
	global_load_dwordx2 v[8:9], v[6:7], off
	v_lshl_add_u64 v[6:7], v[6:7], 0, 8
	s_cselect_b64 vcc, -1, 0
	v_cndmask_b32_e32 v5, v5, v7, vcc
	v_cndmask_b32_e32 v4, v4, v6, vcc
	global_load_dwordx2 v[10:11], v[4:5], off
	v_mov_b32_e32 v5, 0
	v_mov_b32_e32 v1, v5
	s_load_dwordx2 s[4:5], s[0:1], 0x40
	s_cmp_eq_u32 s19, 1
	s_waitcnt vmcnt(1)
	v_subrev_co_u32_e32 v6, vcc, s16, v8
	s_nop 1
	v_subbrev_co_u32_e32 v7, vcc, 0, v9, vcc
	v_lshl_add_u64 v[6:7], v[6:7], 0, v[0:1]
	s_waitcnt vmcnt(0)
	v_subrev_co_u32_e32 v8, vcc, s16, v10
	s_nop 1
	v_subbrev_co_u32_e32 v9, vcc, 0, v11, vcc
	v_mad_u64_u32 v[10:11], s[2:3], v6, 36, 0
	v_mov_b32_e32 v4, v11
	v_mad_u64_u32 v[12:13], s[2:3], v7, 36, v[4:5]
	v_mov_b32_e32 v11, v12
	v_cmp_lt_i64_e64 s[2:3], v[6:7], v[8:9]
	s_cbranch_scc1 .LBB21_19
; %bb.14:
	v_mov_b32_e32 v4, 0
	v_mov_b32_e32 v1, 0
	s_and_saveexec_b64 s[6:7], s[2:3]
	s_cbranch_execz .LBB21_18
; %bb.15:
	v_mov_b32_e32 v1, 0
	v_lshl_add_u64 v[12:13], s[10:11], 0, v[10:11]
	v_lshl_add_u64 v[14:15], v[6:7], 2, s[8:9]
	s_mov_b64 s[18:19], 0
	s_mov_b64 s[20:21], 0x120
	v_mov_b64_e32 v[16:17], v[6:7]
	v_mov_b32_e32 v4, 0
	v_mov_b32_e32 v5, v1
.LBB21_16:                              ; =>This Inner Loop Header: Depth=1
	global_load_dword v3, v[14:15], off
	global_load_dwordx4 v[18:21], v[12:13], off offset:16
	global_load_dwordx4 v[22:25], v[12:13], off
	v_lshl_add_u64 v[16:17], v[16:17], 0, 8
	v_cmp_ge_i64_e32 vcc, v[16:17], v[8:9]
	v_lshl_add_u64 v[14:15], v[14:15], 0, 32
	s_or_b64 s[18:19], vcc, s[18:19]
	s_waitcnt vmcnt(2)
	v_subrev_u32_e32 v3, s16, v3
	v_lshl_add_u32 v26, v3, 1, v3
	v_ashrrev_i32_e32 v27, 31, v26
	s_waitcnt lgkmcnt(0)
	v_lshl_add_u64 v[30:31], v[26:27], 2, s[4:5]
	global_load_dwordx3 v[26:28], v[30:31], off
	global_load_dword v3, v[12:13], off offset:32
	s_waitcnt vmcnt(2)
	v_mov_b32_e32 v30, v22
	v_mov_b32_e32 v31, v25
	;; [unrolled: 1-line block ×5, first 2 shown]
	v_lshl_add_u64 v[12:13], v[12:13], 0, s[20:21]
	s_waitcnt vmcnt(1)
	v_pk_fma_f32 v[4:5], v[30:31], v[26:27], v[4:5] op_sel_hi:[1,0,1]
	v_fmac_f32_e32 v1, v20, v26
	v_mov_b32_e32 v18, v28
	v_pk_fma_f32 v[4:5], v[22:23], v[26:27], v[4:5] op_sel:[0,1,0]
	v_fmac_f32_e32 v1, v21, v27
	v_pk_fma_f32 v[4:5], v[24:25], v[18:19], v[4:5] op_sel_hi:[1,0,1]
	s_waitcnt vmcnt(0)
	v_fmac_f32_e32 v1, v3, v28
	s_andn2_b64 exec, exec, s[18:19]
	s_cbranch_execnz .LBB21_16
; %bb.17:
	s_or_b64 exec, exec, s[18:19]
.LBB21_18:
	s_or_b64 exec, exec, s[6:7]
	s_cbranch_execz .LBB21_20
	s_branch .LBB21_25
.LBB21_19:
                                        ; implicit-def: $vgpr5
                                        ; implicit-def: $vgpr1
.LBB21_20:
	v_mov_b32_e32 v5, 0
	v_mov_b32_e32 v4, v5
	;; [unrolled: 1-line block ×3, first 2 shown]
	s_and_saveexec_b64 s[6:7], s[2:3]
	s_cbranch_execz .LBB21_24
; %bb.21:
	v_lshl_add_u64 v[4:5], v[10:11], 0, s[10:11]
	v_mov_b32_e32 v1, 0
	v_lshl_add_u64 v[10:11], v[4:5], 0, 20
	v_lshl_add_u64 v[12:13], v[6:7], 2, s[8:9]
	s_mov_b64 s[2:3], 0
	s_mov_b64 s[8:9], 0x120
	v_mov_b32_e32 v4, 0
	v_mov_b32_e32 v5, v1
.LBB21_22:                              ; =>This Inner Loop Header: Depth=1
	global_load_dword v3, v[12:13], off
	global_load_dwordx4 v[14:17], v[10:11], off offset:-4
	global_load_dwordx4 v[18:21], v[10:11], off offset:-20
	v_lshl_add_u64 v[6:7], v[6:7], 0, 8
	v_cmp_ge_i64_e32 vcc, v[6:7], v[8:9]
	v_lshl_add_u64 v[12:13], v[12:13], 0, 32
	s_or_b64 s[2:3], vcc, s[2:3]
	s_waitcnt vmcnt(2)
	v_subrev_u32_e32 v3, s16, v3
	v_lshl_add_u32 v22, v3, 1, v3
	v_ashrrev_i32_e32 v23, 31, v22
	s_waitcnt lgkmcnt(0)
	v_lshl_add_u64 v[26:27], v[22:23], 2, s[4:5]
	global_load_dwordx3 v[22:24], v[26:27], off
	global_load_dword v3, v[10:11], off offset:12
	s_waitcnt vmcnt(2)
	v_mov_b32_e32 v26, v21
	v_mov_b32_e32 v27, v14
	v_lshl_add_u64 v[10:11], v[10:11], 0, s[8:9]
	s_waitcnt vmcnt(1)
	v_fmac_f32_e32 v1, v20, v22
	v_pk_fma_f32 v[4:5], v[18:19], v[22:23], v[4:5] op_sel_hi:[1,0,1]
	v_mov_b32_e32 v14, v24
	v_fmac_f32_e32 v1, v15, v23
	v_pk_fma_f32 v[4:5], v[26:27], v[22:23], v[4:5] op_sel:[0,1,0]
	s_waitcnt vmcnt(0)
	v_fmac_f32_e32 v1, v3, v24
	v_pk_fma_f32 v[4:5], v[16:17], v[14:15], v[4:5] op_sel_hi:[1,0,1]
	s_andn2_b64 exec, exec, s[2:3]
	s_cbranch_execnz .LBB21_22
; %bb.23:
	s_or_b64 exec, exec, s[2:3]
.LBB21_24:
	s_or_b64 exec, exec, s[6:7]
.LBB21_25:
	v_mov_b32_dpp v6, v4 row_shr:1 row_mask:0xf bank_mask:0xf
	v_mov_b32_dpp v7, v5 row_shr:1 row_mask:0xf bank_mask:0xf
	;; [unrolled: 1-line block ×3, first 2 shown]
	v_pk_add_f32 v[4:5], v[4:5], v[6:7]
	v_add_f32_e32 v1, v1, v3
	v_cmp_eq_u32_e32 vcc, 7, v0
	v_mov_b32_dpp v6, v4 row_shr:2 row_mask:0xf bank_mask:0xf
	v_mov_b32_dpp v7, v5 row_shr:2 row_mask:0xf bank_mask:0xf
	;; [unrolled: 1-line block ×3, first 2 shown]
	v_pk_add_f32 v[4:5], v[4:5], v[6:7]
	v_add_f32_e32 v1, v1, v3
	s_nop 0
	v_mov_b32_dpp v6, v4 row_shr:4 row_mask:0xf bank_mask:0xe
	v_mov_b32_dpp v7, v5 row_shr:4 row_mask:0xf bank_mask:0xe
	;; [unrolled: 1-line block ×3, first 2 shown]
	s_and_b64 exec, exec, vcc
	s_cbranch_execz .LBB21_10
; %bb.26:
	s_load_dwordx2 s[0:1], s[0:1], 0x50
	v_pk_add_f32 v[4:5], v[4:5], v[6:7]
	v_add_f32_e32 v0, v1, v3
	v_cmp_eq_f32_e64 s[2:3], s14, 0
	v_lshl_add_u32 v6, v2, 1, v2
	s_and_b64 vcc, exec, s[2:3]
	v_mul_f32_e32 v2, s12, v0
	v_ashrrev_i32_e32 v7, 31, v6
	s_cbranch_vccz .LBB21_28
; %bb.27:
	s_waitcnt lgkmcnt(0)
	v_lshl_add_u64 v[8:9], v[6:7], 2, s[0:1]
	v_pk_mul_f32 v[0:1], s[12:13], v[4:5] op_sel_hi:[0,1]
	global_store_dwordx3 v[8:9], v[0:2], off
	s_cbranch_execnz .LBB21_10
	s_branch .LBB21_29
.LBB21_28:
.LBB21_29:
	s_waitcnt lgkmcnt(0)
	v_lshl_add_u64 v[10:11], v[6:7], 2, s[0:1]
	global_load_dwordx3 v[6:8], v[10:11], off
	v_pk_mul_f32 v[0:1], s[12:13], v[4:5] op_sel_hi:[0,1]
	s_waitcnt vmcnt(0)
	v_pk_fma_f32 v[0:1], s[14:15], v[6:7], v[0:1] op_sel_hi:[0,1,1]
	v_fmac_f32_e32 v2, s14, v8
	global_store_dwordx3 v[10:11], v[0:2], off
	s_endpgm
	.section	.rodata,"a",@progbits
	.p2align	6, 0x0
	.amdhsa_kernel _ZN9rocsparseL18bsrxmvn_3x3_kernelILj256ELj8EflifffEEvT3_20rocsparse_direction_NS_24const_host_device_scalarIT1_EES1_PKS1_PKT2_SA_S7_PKT4_PKT5_S5_PT6_21rocsparse_index_base_b
		.amdhsa_group_segment_fixed_size 0
		.amdhsa_private_segment_fixed_size 0
		.amdhsa_kernarg_size 96
		.amdhsa_user_sgpr_count 2
		.amdhsa_user_sgpr_dispatch_ptr 0
		.amdhsa_user_sgpr_queue_ptr 0
		.amdhsa_user_sgpr_kernarg_segment_ptr 1
		.amdhsa_user_sgpr_dispatch_id 0
		.amdhsa_user_sgpr_kernarg_preload_length 0
		.amdhsa_user_sgpr_kernarg_preload_offset 0
		.amdhsa_user_sgpr_private_segment_size 0
		.amdhsa_uses_dynamic_stack 0
		.amdhsa_enable_private_segment 0
		.amdhsa_system_sgpr_workgroup_id_x 1
		.amdhsa_system_sgpr_workgroup_id_y 0
		.amdhsa_system_sgpr_workgroup_id_z 0
		.amdhsa_system_sgpr_workgroup_info 0
		.amdhsa_system_vgpr_workitem_id 0
		.amdhsa_next_free_vgpr 32
		.amdhsa_next_free_sgpr 22
		.amdhsa_accum_offset 32
		.amdhsa_reserve_vcc 1
		.amdhsa_float_round_mode_32 0
		.amdhsa_float_round_mode_16_64 0
		.amdhsa_float_denorm_mode_32 3
		.amdhsa_float_denorm_mode_16_64 3
		.amdhsa_dx10_clamp 1
		.amdhsa_ieee_mode 1
		.amdhsa_fp16_overflow 0
		.amdhsa_tg_split 0
		.amdhsa_exception_fp_ieee_invalid_op 0
		.amdhsa_exception_fp_denorm_src 0
		.amdhsa_exception_fp_ieee_div_zero 0
		.amdhsa_exception_fp_ieee_overflow 0
		.amdhsa_exception_fp_ieee_underflow 0
		.amdhsa_exception_fp_ieee_inexact 0
		.amdhsa_exception_int_div_zero 0
	.end_amdhsa_kernel
	.section	.text._ZN9rocsparseL18bsrxmvn_3x3_kernelILj256ELj8EflifffEEvT3_20rocsparse_direction_NS_24const_host_device_scalarIT1_EES1_PKS1_PKT2_SA_S7_PKT4_PKT5_S5_PT6_21rocsparse_index_base_b,"axG",@progbits,_ZN9rocsparseL18bsrxmvn_3x3_kernelILj256ELj8EflifffEEvT3_20rocsparse_direction_NS_24const_host_device_scalarIT1_EES1_PKS1_PKT2_SA_S7_PKT4_PKT5_S5_PT6_21rocsparse_index_base_b,comdat
.Lfunc_end21:
	.size	_ZN9rocsparseL18bsrxmvn_3x3_kernelILj256ELj8EflifffEEvT3_20rocsparse_direction_NS_24const_host_device_scalarIT1_EES1_PKS1_PKT2_SA_S7_PKT4_PKT5_S5_PT6_21rocsparse_index_base_b, .Lfunc_end21-_ZN9rocsparseL18bsrxmvn_3x3_kernelILj256ELj8EflifffEEvT3_20rocsparse_direction_NS_24const_host_device_scalarIT1_EES1_PKS1_PKT2_SA_S7_PKT4_PKT5_S5_PT6_21rocsparse_index_base_b
                                        ; -- End function
	.section	.AMDGPU.csdata,"",@progbits
; Kernel info:
; codeLenInByte = 1204
; NumSgprs: 28
; NumVgprs: 32
; NumAgprs: 0
; TotalNumVgprs: 32
; ScratchSize: 0
; MemoryBound: 0
; FloatMode: 240
; IeeeMode: 1
; LDSByteSize: 0 bytes/workgroup (compile time only)
; SGPRBlocks: 3
; VGPRBlocks: 3
; NumSGPRsForWavesPerEU: 28
; NumVGPRsForWavesPerEU: 32
; AccumOffset: 32
; Occupancy: 8
; WaveLimiterHint : 1
; COMPUTE_PGM_RSRC2:SCRATCH_EN: 0
; COMPUTE_PGM_RSRC2:USER_SGPR: 2
; COMPUTE_PGM_RSRC2:TRAP_HANDLER: 0
; COMPUTE_PGM_RSRC2:TGID_X_EN: 1
; COMPUTE_PGM_RSRC2:TGID_Y_EN: 0
; COMPUTE_PGM_RSRC2:TGID_Z_EN: 0
; COMPUTE_PGM_RSRC2:TIDIG_COMP_CNT: 0
; COMPUTE_PGM_RSRC3_GFX90A:ACCUM_OFFSET: 7
; COMPUTE_PGM_RSRC3_GFX90A:TG_SPLIT: 0
	.section	.text._ZN9rocsparseL18bsrxmvn_3x3_kernelILj256ELj16EflifffEEvT3_20rocsparse_direction_NS_24const_host_device_scalarIT1_EES1_PKS1_PKT2_SA_S7_PKT4_PKT5_S5_PT6_21rocsparse_index_base_b,"axG",@progbits,_ZN9rocsparseL18bsrxmvn_3x3_kernelILj256ELj16EflifffEEvT3_20rocsparse_direction_NS_24const_host_device_scalarIT1_EES1_PKS1_PKT2_SA_S7_PKT4_PKT5_S5_PT6_21rocsparse_index_base_b,comdat
	.globl	_ZN9rocsparseL18bsrxmvn_3x3_kernelILj256ELj16EflifffEEvT3_20rocsparse_direction_NS_24const_host_device_scalarIT1_EES1_PKS1_PKT2_SA_S7_PKT4_PKT5_S5_PT6_21rocsparse_index_base_b ; -- Begin function _ZN9rocsparseL18bsrxmvn_3x3_kernelILj256ELj16EflifffEEvT3_20rocsparse_direction_NS_24const_host_device_scalarIT1_EES1_PKS1_PKT2_SA_S7_PKT4_PKT5_S5_PT6_21rocsparse_index_base_b
	.p2align	8
	.type	_ZN9rocsparseL18bsrxmvn_3x3_kernelILj256ELj16EflifffEEvT3_20rocsparse_direction_NS_24const_host_device_scalarIT1_EES1_PKS1_PKT2_SA_S7_PKT4_PKT5_S5_PT6_21rocsparse_index_base_b,@function
_ZN9rocsparseL18bsrxmvn_3x3_kernelILj256ELj16EflifffEEvT3_20rocsparse_direction_NS_24const_host_device_scalarIT1_EES1_PKS1_PKT2_SA_S7_PKT4_PKT5_S5_PT6_21rocsparse_index_base_b: ; @_ZN9rocsparseL18bsrxmvn_3x3_kernelILj256ELj16EflifffEEvT3_20rocsparse_direction_NS_24const_host_device_scalarIT1_EES1_PKS1_PKT2_SA_S7_PKT4_PKT5_S5_PT6_21rocsparse_index_base_b
; %bb.0:
	s_load_dwordx2 s[16:17], s[0:1], 0x58
	s_load_dwordx2 s[12:13], s[0:1], 0x8
	s_load_dwordx2 s[14:15], s[0:1], 0x48
	s_waitcnt lgkmcnt(0)
	s_bitcmp1_b32 s17, 0
	s_cselect_b64 s[6:7], -1, 0
	s_xor_b64 s[4:5], s[6:7], -1
	s_and_b64 vcc, exec, s[6:7]
	s_cbranch_vccnz .LBB22_2
; %bb.1:
	s_load_dword s12, s[12:13], 0x0
.LBB22_2:
	s_andn2_b64 vcc, exec, s[4:5]
	s_cbranch_vccnz .LBB22_4
; %bb.3:
	s_load_dword s14, s[14:15], 0x0
.LBB22_4:
	s_waitcnt lgkmcnt(0)
	v_cmp_neq_f32_e64 s[4:5], s12, 0
	v_cmp_neq_f32_e64 s[6:7], s14, 1.0
	s_or_b64 s[4:5], s[4:5], s[6:7]
	s_andn2_b64 vcc, exec, s[4:5]
	s_cbranch_vccnz .LBB22_10
; %bb.5:
	s_load_dwordx2 s[4:5], s[0:1], 0x18
	s_load_dwordx2 s[18:19], s[0:1], 0x0
	v_lshrrev_b32_e32 v1, 4, v0
	v_lshl_or_b32 v2, s2, 4, v1
	s_mov_b64 s[2:3], 0
	s_waitcnt lgkmcnt(0)
	s_cmp_lg_u64 s[4:5], 0
	s_cbranch_scc0 .LBB22_11
; %bb.6:
	s_load_dword s6, s[0:1], 0x10
                                        ; implicit-def: $vgpr1
	s_waitcnt lgkmcnt(0)
	v_cmp_gt_i32_e32 vcc, s6, v2
	s_and_saveexec_b64 s[6:7], vcc
	s_xor_b64 s[6:7], exec, s[6:7]
	s_cbranch_execz .LBB22_8
; %bb.7:
	v_ashrrev_i32_e32 v3, 31, v2
	v_lshl_add_u64 v[4:5], v[2:3], 2, s[4:5]
	global_load_dword v1, v[4:5], off
	s_mov_b64 s[2:3], exec
	s_waitcnt vmcnt(0)
	v_subrev_u32_e32 v1, s16, v1
.LBB22_8:
	s_or_b64 exec, exec, s[6:7]
	s_branch .LBB22_12
.LBB22_9:
	v_cmp_gt_i32_e32 vcc, s18, v2
	s_andn2_b64 s[2:3], s[2:3], exec
	s_and_b64 s[4:5], vcc, exec
	s_or_b64 s[2:3], s[2:3], s[4:5]
	s_and_saveexec_b64 s[4:5], s[2:3]
	s_cbranch_execnz .LBB22_13
.LBB22_10:
	s_endpgm
.LBB22_11:
                                        ; implicit-def: $vgpr1
	s_cbranch_execnz .LBB22_9
.LBB22_12:
	v_mov_b32_e32 v2, v1
	s_and_saveexec_b64 s[4:5], s[2:3]
	s_cbranch_execz .LBB22_10
.LBB22_13:
	s_load_dwordx8 s[4:11], s[0:1], 0x20
	v_ashrrev_i32_e32 v3, 31, v2
	v_lshlrev_b64 v[4:5], 3, v[2:3]
	v_and_b32_e32 v0, 15, v0
	s_waitcnt lgkmcnt(0)
	v_lshl_add_u64 v[6:7], s[4:5], 0, v[4:5]
	s_cmp_eq_u64 s[6:7], 0
	v_lshl_add_u64 v[4:5], s[6:7], 0, v[4:5]
	global_load_dwordx2 v[8:9], v[6:7], off
	v_lshl_add_u64 v[6:7], v[6:7], 0, 8
	s_cselect_b64 vcc, -1, 0
	v_cndmask_b32_e32 v5, v5, v7, vcc
	v_cndmask_b32_e32 v4, v4, v6, vcc
	global_load_dwordx2 v[10:11], v[4:5], off
	v_mov_b32_e32 v5, 0
	v_mov_b32_e32 v1, v5
	s_load_dwordx2 s[4:5], s[0:1], 0x40
	s_cmp_eq_u32 s19, 1
	s_waitcnt vmcnt(1)
	v_subrev_co_u32_e32 v6, vcc, s16, v8
	s_nop 1
	v_subbrev_co_u32_e32 v7, vcc, 0, v9, vcc
	v_lshl_add_u64 v[6:7], v[6:7], 0, v[0:1]
	s_waitcnt vmcnt(0)
	v_subrev_co_u32_e32 v8, vcc, s16, v10
	s_nop 1
	v_subbrev_co_u32_e32 v9, vcc, 0, v11, vcc
	v_mad_u64_u32 v[10:11], s[2:3], v6, 36, 0
	v_mov_b32_e32 v4, v11
	v_mad_u64_u32 v[12:13], s[2:3], v7, 36, v[4:5]
	v_mov_b32_e32 v11, v12
	v_cmp_lt_i64_e64 s[2:3], v[6:7], v[8:9]
	s_cbranch_scc1 .LBB22_19
; %bb.14:
	v_mov_b32_e32 v4, 0
	v_mov_b32_e32 v1, 0
	s_and_saveexec_b64 s[6:7], s[2:3]
	s_cbranch_execz .LBB22_18
; %bb.15:
	v_mov_b32_e32 v1, 0
	v_lshl_add_u64 v[12:13], s[10:11], 0, v[10:11]
	v_lshl_add_u64 v[14:15], v[6:7], 2, s[8:9]
	s_mov_b64 s[18:19], 0
	s_mov_b64 s[20:21], 0x240
	v_mov_b64_e32 v[16:17], v[6:7]
	v_mov_b32_e32 v4, 0
	v_mov_b32_e32 v5, v1
.LBB22_16:                              ; =>This Inner Loop Header: Depth=1
	global_load_dword v3, v[14:15], off
	global_load_dwordx4 v[18:21], v[12:13], off offset:16
	global_load_dwordx4 v[22:25], v[12:13], off
	v_lshl_add_u64 v[16:17], v[16:17], 0, 16
	v_cmp_ge_i64_e32 vcc, v[16:17], v[8:9]
	v_lshl_add_u64 v[14:15], v[14:15], 0, 64
	s_or_b64 s[18:19], vcc, s[18:19]
	s_waitcnt vmcnt(2)
	v_subrev_u32_e32 v3, s16, v3
	v_lshl_add_u32 v26, v3, 1, v3
	v_ashrrev_i32_e32 v27, 31, v26
	s_waitcnt lgkmcnt(0)
	v_lshl_add_u64 v[30:31], v[26:27], 2, s[4:5]
	global_load_dwordx3 v[26:28], v[30:31], off
	global_load_dword v3, v[12:13], off offset:32
	s_waitcnt vmcnt(2)
	v_mov_b32_e32 v30, v22
	v_mov_b32_e32 v31, v25
	;; [unrolled: 1-line block ×5, first 2 shown]
	v_lshl_add_u64 v[12:13], v[12:13], 0, s[20:21]
	s_waitcnt vmcnt(1)
	v_pk_fma_f32 v[4:5], v[30:31], v[26:27], v[4:5] op_sel_hi:[1,0,1]
	v_fmac_f32_e32 v1, v20, v26
	v_mov_b32_e32 v18, v28
	v_pk_fma_f32 v[4:5], v[22:23], v[26:27], v[4:5] op_sel:[0,1,0]
	v_fmac_f32_e32 v1, v21, v27
	v_pk_fma_f32 v[4:5], v[24:25], v[18:19], v[4:5] op_sel_hi:[1,0,1]
	s_waitcnt vmcnt(0)
	v_fmac_f32_e32 v1, v3, v28
	s_andn2_b64 exec, exec, s[18:19]
	s_cbranch_execnz .LBB22_16
; %bb.17:
	s_or_b64 exec, exec, s[18:19]
.LBB22_18:
	s_or_b64 exec, exec, s[6:7]
	s_cbranch_execz .LBB22_20
	s_branch .LBB22_25
.LBB22_19:
                                        ; implicit-def: $vgpr5
                                        ; implicit-def: $vgpr1
.LBB22_20:
	v_mov_b32_e32 v5, 0
	v_mov_b32_e32 v4, v5
	;; [unrolled: 1-line block ×3, first 2 shown]
	s_and_saveexec_b64 s[6:7], s[2:3]
	s_cbranch_execz .LBB22_24
; %bb.21:
	v_lshl_add_u64 v[4:5], v[10:11], 0, s[10:11]
	v_mov_b32_e32 v1, 0
	v_lshl_add_u64 v[10:11], v[4:5], 0, 20
	v_lshl_add_u64 v[12:13], v[6:7], 2, s[8:9]
	s_mov_b64 s[2:3], 0
	s_mov_b64 s[8:9], 0x240
	v_mov_b32_e32 v4, 0
	v_mov_b32_e32 v5, v1
.LBB22_22:                              ; =>This Inner Loop Header: Depth=1
	global_load_dword v3, v[12:13], off
	global_load_dwordx4 v[14:17], v[10:11], off offset:-4
	global_load_dwordx4 v[18:21], v[10:11], off offset:-20
	v_lshl_add_u64 v[6:7], v[6:7], 0, 16
	v_cmp_ge_i64_e32 vcc, v[6:7], v[8:9]
	v_lshl_add_u64 v[12:13], v[12:13], 0, 64
	s_or_b64 s[2:3], vcc, s[2:3]
	s_waitcnt vmcnt(2)
	v_subrev_u32_e32 v3, s16, v3
	v_lshl_add_u32 v22, v3, 1, v3
	v_ashrrev_i32_e32 v23, 31, v22
	s_waitcnt lgkmcnt(0)
	v_lshl_add_u64 v[26:27], v[22:23], 2, s[4:5]
	global_load_dwordx3 v[22:24], v[26:27], off
	global_load_dword v3, v[10:11], off offset:12
	s_waitcnt vmcnt(2)
	v_mov_b32_e32 v26, v21
	v_mov_b32_e32 v27, v14
	v_lshl_add_u64 v[10:11], v[10:11], 0, s[8:9]
	s_waitcnt vmcnt(1)
	v_fmac_f32_e32 v1, v20, v22
	v_pk_fma_f32 v[4:5], v[18:19], v[22:23], v[4:5] op_sel_hi:[1,0,1]
	v_mov_b32_e32 v14, v24
	v_fmac_f32_e32 v1, v15, v23
	v_pk_fma_f32 v[4:5], v[26:27], v[22:23], v[4:5] op_sel:[0,1,0]
	s_waitcnt vmcnt(0)
	v_fmac_f32_e32 v1, v3, v24
	v_pk_fma_f32 v[4:5], v[16:17], v[14:15], v[4:5] op_sel_hi:[1,0,1]
	s_andn2_b64 exec, exec, s[2:3]
	s_cbranch_execnz .LBB22_22
; %bb.23:
	s_or_b64 exec, exec, s[2:3]
.LBB22_24:
	s_or_b64 exec, exec, s[6:7]
.LBB22_25:
	v_mov_b32_dpp v6, v4 row_shr:1 row_mask:0xf bank_mask:0xf
	v_mov_b32_dpp v7, v5 row_shr:1 row_mask:0xf bank_mask:0xf
	;; [unrolled: 1-line block ×3, first 2 shown]
	v_pk_add_f32 v[4:5], v[4:5], v[6:7]
	v_add_f32_e32 v1, v1, v3
	v_cmp_eq_u32_e32 vcc, 15, v0
	v_mov_b32_dpp v6, v4 row_shr:2 row_mask:0xf bank_mask:0xf
	v_mov_b32_dpp v7, v5 row_shr:2 row_mask:0xf bank_mask:0xf
	v_mov_b32_dpp v3, v1 row_shr:2 row_mask:0xf bank_mask:0xf
	v_pk_add_f32 v[4:5], v[4:5], v[6:7]
	v_add_f32_e32 v1, v1, v3
	s_nop 0
	v_mov_b32_dpp v6, v4 row_shr:4 row_mask:0xf bank_mask:0xe
	v_mov_b32_dpp v7, v5 row_shr:4 row_mask:0xf bank_mask:0xe
	;; [unrolled: 1-line block ×3, first 2 shown]
	v_pk_add_f32 v[4:5], v[4:5], v[6:7]
	v_add_f32_e32 v1, v1, v3
	s_nop 0
	v_mov_b32_dpp v6, v4 row_shr:8 row_mask:0xf bank_mask:0xc
	v_mov_b32_dpp v7, v5 row_shr:8 row_mask:0xf bank_mask:0xc
	;; [unrolled: 1-line block ×3, first 2 shown]
	s_and_b64 exec, exec, vcc
	s_cbranch_execz .LBB22_10
; %bb.26:
	s_load_dwordx2 s[0:1], s[0:1], 0x50
	v_pk_add_f32 v[4:5], v[4:5], v[6:7]
	v_add_f32_e32 v0, v1, v3
	v_cmp_eq_f32_e64 s[2:3], s14, 0
	v_lshl_add_u32 v6, v2, 1, v2
	s_and_b64 vcc, exec, s[2:3]
	v_mul_f32_e32 v2, s12, v0
	v_ashrrev_i32_e32 v7, 31, v6
	s_cbranch_vccz .LBB22_28
; %bb.27:
	s_waitcnt lgkmcnt(0)
	v_lshl_add_u64 v[8:9], v[6:7], 2, s[0:1]
	v_pk_mul_f32 v[0:1], s[12:13], v[4:5] op_sel_hi:[0,1]
	global_store_dwordx3 v[8:9], v[0:2], off
	s_cbranch_execnz .LBB22_10
	s_branch .LBB22_29
.LBB22_28:
.LBB22_29:
	s_waitcnt lgkmcnt(0)
	v_lshl_add_u64 v[10:11], v[6:7], 2, s[0:1]
	global_load_dwordx3 v[6:8], v[10:11], off
	v_pk_mul_f32 v[0:1], s[12:13], v[4:5] op_sel_hi:[0,1]
	s_waitcnt vmcnt(0)
	v_pk_fma_f32 v[0:1], s[14:15], v[6:7], v[0:1] op_sel_hi:[0,1,1]
	v_fmac_f32_e32 v2, s14, v8
	global_store_dwordx3 v[10:11], v[0:2], off
	s_endpgm
	.section	.rodata,"a",@progbits
	.p2align	6, 0x0
	.amdhsa_kernel _ZN9rocsparseL18bsrxmvn_3x3_kernelILj256ELj16EflifffEEvT3_20rocsparse_direction_NS_24const_host_device_scalarIT1_EES1_PKS1_PKT2_SA_S7_PKT4_PKT5_S5_PT6_21rocsparse_index_base_b
		.amdhsa_group_segment_fixed_size 0
		.amdhsa_private_segment_fixed_size 0
		.amdhsa_kernarg_size 96
		.amdhsa_user_sgpr_count 2
		.amdhsa_user_sgpr_dispatch_ptr 0
		.amdhsa_user_sgpr_queue_ptr 0
		.amdhsa_user_sgpr_kernarg_segment_ptr 1
		.amdhsa_user_sgpr_dispatch_id 0
		.amdhsa_user_sgpr_kernarg_preload_length 0
		.amdhsa_user_sgpr_kernarg_preload_offset 0
		.amdhsa_user_sgpr_private_segment_size 0
		.amdhsa_uses_dynamic_stack 0
		.amdhsa_enable_private_segment 0
		.amdhsa_system_sgpr_workgroup_id_x 1
		.amdhsa_system_sgpr_workgroup_id_y 0
		.amdhsa_system_sgpr_workgroup_id_z 0
		.amdhsa_system_sgpr_workgroup_info 0
		.amdhsa_system_vgpr_workitem_id 0
		.amdhsa_next_free_vgpr 32
		.amdhsa_next_free_sgpr 22
		.amdhsa_accum_offset 32
		.amdhsa_reserve_vcc 1
		.amdhsa_float_round_mode_32 0
		.amdhsa_float_round_mode_16_64 0
		.amdhsa_float_denorm_mode_32 3
		.amdhsa_float_denorm_mode_16_64 3
		.amdhsa_dx10_clamp 1
		.amdhsa_ieee_mode 1
		.amdhsa_fp16_overflow 0
		.amdhsa_tg_split 0
		.amdhsa_exception_fp_ieee_invalid_op 0
		.amdhsa_exception_fp_denorm_src 0
		.amdhsa_exception_fp_ieee_div_zero 0
		.amdhsa_exception_fp_ieee_overflow 0
		.amdhsa_exception_fp_ieee_underflow 0
		.amdhsa_exception_fp_ieee_inexact 0
		.amdhsa_exception_int_div_zero 0
	.end_amdhsa_kernel
	.section	.text._ZN9rocsparseL18bsrxmvn_3x3_kernelILj256ELj16EflifffEEvT3_20rocsparse_direction_NS_24const_host_device_scalarIT1_EES1_PKS1_PKT2_SA_S7_PKT4_PKT5_S5_PT6_21rocsparse_index_base_b,"axG",@progbits,_ZN9rocsparseL18bsrxmvn_3x3_kernelILj256ELj16EflifffEEvT3_20rocsparse_direction_NS_24const_host_device_scalarIT1_EES1_PKS1_PKT2_SA_S7_PKT4_PKT5_S5_PT6_21rocsparse_index_base_b,comdat
.Lfunc_end22:
	.size	_ZN9rocsparseL18bsrxmvn_3x3_kernelILj256ELj16EflifffEEvT3_20rocsparse_direction_NS_24const_host_device_scalarIT1_EES1_PKS1_PKT2_SA_S7_PKT4_PKT5_S5_PT6_21rocsparse_index_base_b, .Lfunc_end22-_ZN9rocsparseL18bsrxmvn_3x3_kernelILj256ELj16EflifffEEvT3_20rocsparse_direction_NS_24const_host_device_scalarIT1_EES1_PKS1_PKT2_SA_S7_PKT4_PKT5_S5_PT6_21rocsparse_index_base_b
                                        ; -- End function
	.section	.AMDGPU.csdata,"",@progbits
; Kernel info:
; codeLenInByte = 1244
; NumSgprs: 28
; NumVgprs: 32
; NumAgprs: 0
; TotalNumVgprs: 32
; ScratchSize: 0
; MemoryBound: 0
; FloatMode: 240
; IeeeMode: 1
; LDSByteSize: 0 bytes/workgroup (compile time only)
; SGPRBlocks: 3
; VGPRBlocks: 3
; NumSGPRsForWavesPerEU: 28
; NumVGPRsForWavesPerEU: 32
; AccumOffset: 32
; Occupancy: 8
; WaveLimiterHint : 1
; COMPUTE_PGM_RSRC2:SCRATCH_EN: 0
; COMPUTE_PGM_RSRC2:USER_SGPR: 2
; COMPUTE_PGM_RSRC2:TRAP_HANDLER: 0
; COMPUTE_PGM_RSRC2:TGID_X_EN: 1
; COMPUTE_PGM_RSRC2:TGID_Y_EN: 0
; COMPUTE_PGM_RSRC2:TGID_Z_EN: 0
; COMPUTE_PGM_RSRC2:TIDIG_COMP_CNT: 0
; COMPUTE_PGM_RSRC3_GFX90A:ACCUM_OFFSET: 7
; COMPUTE_PGM_RSRC3_GFX90A:TG_SPLIT: 0
	.section	.text._ZN9rocsparseL18bsrxmvn_3x3_kernelILj256ELj32EflifffEEvT3_20rocsparse_direction_NS_24const_host_device_scalarIT1_EES1_PKS1_PKT2_SA_S7_PKT4_PKT5_S5_PT6_21rocsparse_index_base_b,"axG",@progbits,_ZN9rocsparseL18bsrxmvn_3x3_kernelILj256ELj32EflifffEEvT3_20rocsparse_direction_NS_24const_host_device_scalarIT1_EES1_PKS1_PKT2_SA_S7_PKT4_PKT5_S5_PT6_21rocsparse_index_base_b,comdat
	.globl	_ZN9rocsparseL18bsrxmvn_3x3_kernelILj256ELj32EflifffEEvT3_20rocsparse_direction_NS_24const_host_device_scalarIT1_EES1_PKS1_PKT2_SA_S7_PKT4_PKT5_S5_PT6_21rocsparse_index_base_b ; -- Begin function _ZN9rocsparseL18bsrxmvn_3x3_kernelILj256ELj32EflifffEEvT3_20rocsparse_direction_NS_24const_host_device_scalarIT1_EES1_PKS1_PKT2_SA_S7_PKT4_PKT5_S5_PT6_21rocsparse_index_base_b
	.p2align	8
	.type	_ZN9rocsparseL18bsrxmvn_3x3_kernelILj256ELj32EflifffEEvT3_20rocsparse_direction_NS_24const_host_device_scalarIT1_EES1_PKS1_PKT2_SA_S7_PKT4_PKT5_S5_PT6_21rocsparse_index_base_b,@function
_ZN9rocsparseL18bsrxmvn_3x3_kernelILj256ELj32EflifffEEvT3_20rocsparse_direction_NS_24const_host_device_scalarIT1_EES1_PKS1_PKT2_SA_S7_PKT4_PKT5_S5_PT6_21rocsparse_index_base_b: ; @_ZN9rocsparseL18bsrxmvn_3x3_kernelILj256ELj32EflifffEEvT3_20rocsparse_direction_NS_24const_host_device_scalarIT1_EES1_PKS1_PKT2_SA_S7_PKT4_PKT5_S5_PT6_21rocsparse_index_base_b
; %bb.0:
	s_load_dwordx2 s[16:17], s[0:1], 0x58
	s_load_dwordx2 s[12:13], s[0:1], 0x8
	;; [unrolled: 1-line block ×3, first 2 shown]
	s_waitcnt lgkmcnt(0)
	s_bitcmp1_b32 s17, 0
	s_cselect_b64 s[6:7], -1, 0
	s_xor_b64 s[4:5], s[6:7], -1
	s_and_b64 vcc, exec, s[6:7]
	s_cbranch_vccnz .LBB23_2
; %bb.1:
	s_load_dword s12, s[12:13], 0x0
.LBB23_2:
	s_andn2_b64 vcc, exec, s[4:5]
	s_cbranch_vccnz .LBB23_4
; %bb.3:
	s_load_dword s14, s[14:15], 0x0
.LBB23_4:
	s_waitcnt lgkmcnt(0)
	v_cmp_neq_f32_e64 s[4:5], s12, 0
	v_cmp_neq_f32_e64 s[6:7], s14, 1.0
	s_or_b64 s[4:5], s[4:5], s[6:7]
	s_andn2_b64 vcc, exec, s[4:5]
	s_cbranch_vccnz .LBB23_10
; %bb.5:
	s_load_dwordx2 s[4:5], s[0:1], 0x18
	s_load_dwordx2 s[18:19], s[0:1], 0x0
	v_lshrrev_b32_e32 v1, 5, v0
	v_lshl_or_b32 v2, s2, 3, v1
	s_mov_b64 s[2:3], 0
	s_waitcnt lgkmcnt(0)
	s_cmp_lg_u64 s[4:5], 0
	s_cbranch_scc0 .LBB23_11
; %bb.6:
	s_load_dword s6, s[0:1], 0x10
                                        ; implicit-def: $vgpr1
	s_waitcnt lgkmcnt(0)
	v_cmp_gt_i32_e32 vcc, s6, v2
	s_and_saveexec_b64 s[6:7], vcc
	s_xor_b64 s[6:7], exec, s[6:7]
	s_cbranch_execz .LBB23_8
; %bb.7:
	v_ashrrev_i32_e32 v3, 31, v2
	v_lshl_add_u64 v[4:5], v[2:3], 2, s[4:5]
	global_load_dword v1, v[4:5], off
	s_mov_b64 s[2:3], exec
	s_waitcnt vmcnt(0)
	v_subrev_u32_e32 v1, s16, v1
.LBB23_8:
	s_or_b64 exec, exec, s[6:7]
	s_branch .LBB23_12
.LBB23_9:
	v_cmp_gt_i32_e32 vcc, s18, v2
	s_andn2_b64 s[2:3], s[2:3], exec
	s_and_b64 s[4:5], vcc, exec
	s_or_b64 s[2:3], s[2:3], s[4:5]
	s_and_saveexec_b64 s[4:5], s[2:3]
	s_cbranch_execnz .LBB23_13
.LBB23_10:
	s_endpgm
.LBB23_11:
                                        ; implicit-def: $vgpr1
	s_cbranch_execnz .LBB23_9
.LBB23_12:
	v_mov_b32_e32 v2, v1
	s_and_saveexec_b64 s[4:5], s[2:3]
	s_cbranch_execz .LBB23_10
.LBB23_13:
	s_load_dwordx8 s[4:11], s[0:1], 0x20
	v_ashrrev_i32_e32 v3, 31, v2
	v_lshlrev_b64 v[4:5], 3, v[2:3]
	v_and_b32_e32 v0, 31, v0
	s_waitcnt lgkmcnt(0)
	v_lshl_add_u64 v[6:7], s[4:5], 0, v[4:5]
	s_cmp_eq_u64 s[6:7], 0
	v_lshl_add_u64 v[4:5], s[6:7], 0, v[4:5]
	global_load_dwordx2 v[8:9], v[6:7], off
	v_lshl_add_u64 v[6:7], v[6:7], 0, 8
	s_cselect_b64 vcc, -1, 0
	v_cndmask_b32_e32 v5, v5, v7, vcc
	v_cndmask_b32_e32 v4, v4, v6, vcc
	global_load_dwordx2 v[10:11], v[4:5], off
	v_mov_b32_e32 v5, 0
	v_mov_b32_e32 v1, v5
	s_load_dwordx2 s[4:5], s[0:1], 0x40
	s_cmp_eq_u32 s19, 1
	s_waitcnt vmcnt(1)
	v_subrev_co_u32_e32 v6, vcc, s16, v8
	s_nop 1
	v_subbrev_co_u32_e32 v7, vcc, 0, v9, vcc
	v_lshl_add_u64 v[6:7], v[6:7], 0, v[0:1]
	s_waitcnt vmcnt(0)
	v_subrev_co_u32_e32 v8, vcc, s16, v10
	s_nop 1
	v_subbrev_co_u32_e32 v9, vcc, 0, v11, vcc
	v_mad_u64_u32 v[10:11], s[2:3], v6, 36, s[10:11]
	v_mov_b32_e32 v4, v11
	v_mad_u64_u32 v[12:13], s[2:3], v7, 36, v[4:5]
	v_mov_b32_e32 v11, v12
	v_cmp_lt_i64_e64 s[2:3], v[6:7], v[8:9]
	s_cbranch_scc1 .LBB23_19
; %bb.14:
	v_mov_b32_e32 v4, 0
	v_mov_b32_e32 v1, 0
	s_and_saveexec_b64 s[6:7], s[2:3]
	s_cbranch_execz .LBB23_18
; %bb.15:
	v_mov_b32_e32 v1, 0
	v_lshl_add_u64 v[12:13], v[6:7], 2, s[8:9]
	s_mov_b64 s[10:11], 0
	s_mov_b64 s[18:19], 0x480
	;; [unrolled: 1-line block ×3, first 2 shown]
	v_mov_b64_e32 v[14:15], v[10:11]
	v_mov_b64_e32 v[16:17], v[6:7]
	v_mov_b32_e32 v5, 0
	v_mov_b32_e32 v4, v1
.LBB23_16:                              ; =>This Inner Loop Header: Depth=1
	global_load_dword v3, v[12:13], off
	global_load_dwordx4 v[18:21], v[14:15], off offset:16
	global_load_dwordx4 v[22:25], v[14:15], off
	v_lshl_add_u64 v[16:17], v[16:17], 0, 32
	v_cmp_ge_i64_e32 vcc, v[16:17], v[8:9]
	v_lshl_add_u64 v[12:13], v[12:13], 0, s[20:21]
	s_or_b64 s[10:11], vcc, s[10:11]
	s_waitcnt vmcnt(2)
	v_subrev_u32_e32 v3, s16, v3
	v_lshl_add_u32 v26, v3, 1, v3
	v_ashrrev_i32_e32 v27, 31, v26
	s_waitcnt lgkmcnt(0)
	v_lshl_add_u64 v[30:31], v[26:27], 2, s[4:5]
	global_load_dwordx3 v[26:28], v[30:31], off
	global_load_dword v3, v[14:15], off offset:32
	s_waitcnt vmcnt(2)
	v_mov_b32_e32 v30, v22
	v_mov_b32_e32 v31, v25
	;; [unrolled: 1-line block ×5, first 2 shown]
	v_lshl_add_u64 v[14:15], v[14:15], 0, s[18:19]
	s_waitcnt vmcnt(1)
	v_pk_fma_f32 v[4:5], v[30:31], v[26:27], v[4:5] op_sel_hi:[1,0,1]
	v_fmac_f32_e32 v1, v20, v26
	v_mov_b32_e32 v18, v28
	v_pk_fma_f32 v[4:5], v[22:23], v[26:27], v[4:5] op_sel:[0,1,0]
	v_fmac_f32_e32 v1, v21, v27
	v_pk_fma_f32 v[4:5], v[24:25], v[18:19], v[4:5] op_sel_hi:[1,0,1]
	s_waitcnt vmcnt(0)
	v_fmac_f32_e32 v1, v3, v28
	s_andn2_b64 exec, exec, s[10:11]
	s_cbranch_execnz .LBB23_16
; %bb.17:
	s_or_b64 exec, exec, s[10:11]
.LBB23_18:
	s_or_b64 exec, exec, s[6:7]
	s_cbranch_execz .LBB23_20
	s_branch .LBB23_25
.LBB23_19:
                                        ; implicit-def: $vgpr5
                                        ; implicit-def: $vgpr1
.LBB23_20:
	v_mov_b32_e32 v5, 0
	v_mov_b32_e32 v4, v5
	;; [unrolled: 1-line block ×3, first 2 shown]
	s_and_saveexec_b64 s[6:7], s[2:3]
	s_cbranch_execz .LBB23_24
; %bb.21:
	v_mov_b32_e32 v1, 0
	v_lshl_add_u64 v[12:13], v[6:7], 2, s[8:9]
	s_mov_b64 s[2:3], 0
	s_mov_b64 s[8:9], 0x480
	;; [unrolled: 1-line block ×3, first 2 shown]
	v_mov_b32_e32 v5, 0
	v_mov_b32_e32 v4, v1
.LBB23_22:                              ; =>This Inner Loop Header: Depth=1
	global_load_dword v3, v[12:13], off
	global_load_dwordx4 v[14:17], v[10:11], off offset:16
	global_load_dwordx4 v[18:21], v[10:11], off
	v_lshl_add_u64 v[6:7], v[6:7], 0, 32
	v_cmp_ge_i64_e32 vcc, v[6:7], v[8:9]
	v_lshl_add_u64 v[12:13], v[12:13], 0, s[10:11]
	s_or_b64 s[2:3], vcc, s[2:3]
	s_waitcnt vmcnt(2)
	v_subrev_u32_e32 v3, s16, v3
	v_lshl_add_u32 v22, v3, 1, v3
	v_ashrrev_i32_e32 v23, 31, v22
	s_waitcnt lgkmcnt(0)
	v_lshl_add_u64 v[26:27], v[22:23], 2, s[4:5]
	global_load_dwordx3 v[22:24], v[26:27], off
	global_load_dword v3, v[10:11], off offset:32
	s_waitcnt vmcnt(2)
	v_mov_b32_e32 v26, v21
	v_mov_b32_e32 v27, v14
	v_lshl_add_u64 v[10:11], v[10:11], 0, s[8:9]
	s_waitcnt vmcnt(1)
	v_fmac_f32_e32 v1, v20, v22
	v_pk_fma_f32 v[4:5], v[18:19], v[22:23], v[4:5] op_sel_hi:[1,0,1]
	v_mov_b32_e32 v14, v24
	v_fmac_f32_e32 v1, v15, v23
	v_pk_fma_f32 v[4:5], v[26:27], v[22:23], v[4:5] op_sel:[0,1,0]
	s_waitcnt vmcnt(0)
	v_fmac_f32_e32 v1, v3, v24
	v_pk_fma_f32 v[4:5], v[16:17], v[14:15], v[4:5] op_sel_hi:[1,0,1]
	s_andn2_b64 exec, exec, s[2:3]
	s_cbranch_execnz .LBB23_22
; %bb.23:
	s_or_b64 exec, exec, s[2:3]
.LBB23_24:
	s_or_b64 exec, exec, s[6:7]
.LBB23_25:
	v_mov_b32_dpp v6, v4 row_shr:1 row_mask:0xf bank_mask:0xf
	v_mov_b32_dpp v7, v5 row_shr:1 row_mask:0xf bank_mask:0xf
	;; [unrolled: 1-line block ×3, first 2 shown]
	v_pk_add_f32 v[4:5], v[4:5], v[6:7]
	v_add_f32_e32 v1, v1, v3
	v_cmp_eq_u32_e32 vcc, 31, v0
	v_mov_b32_dpp v6, v4 row_shr:2 row_mask:0xf bank_mask:0xf
	v_mov_b32_dpp v7, v5 row_shr:2 row_mask:0xf bank_mask:0xf
	v_mov_b32_dpp v3, v1 row_shr:2 row_mask:0xf bank_mask:0xf
	v_pk_add_f32 v[4:5], v[4:5], v[6:7]
	v_add_f32_e32 v1, v1, v3
	s_nop 0
	v_mov_b32_dpp v6, v4 row_shr:4 row_mask:0xf bank_mask:0xe
	v_mov_b32_dpp v7, v5 row_shr:4 row_mask:0xf bank_mask:0xe
	v_mov_b32_dpp v3, v1 row_shr:4 row_mask:0xf bank_mask:0xe
	v_pk_add_f32 v[4:5], v[4:5], v[6:7]
	v_add_f32_e32 v1, v1, v3
	s_nop 0
	;; [unrolled: 6-line block ×3, first 2 shown]
	v_mov_b32_dpp v6, v4 row_bcast:15 row_mask:0xa bank_mask:0xf
	v_mov_b32_dpp v7, v5 row_bcast:15 row_mask:0xa bank_mask:0xf
	;; [unrolled: 1-line block ×3, first 2 shown]
	s_and_b64 exec, exec, vcc
	s_cbranch_execz .LBB23_10
; %bb.26:
	s_load_dwordx2 s[0:1], s[0:1], 0x50
	v_pk_add_f32 v[4:5], v[4:5], v[6:7]
	v_add_f32_e32 v0, v1, v3
	v_cmp_eq_f32_e64 s[2:3], s14, 0
	v_lshl_add_u32 v6, v2, 1, v2
	s_and_b64 vcc, exec, s[2:3]
	v_mul_f32_e32 v2, s12, v0
	v_ashrrev_i32_e32 v7, 31, v6
	s_cbranch_vccz .LBB23_28
; %bb.27:
	s_waitcnt lgkmcnt(0)
	v_lshl_add_u64 v[8:9], v[6:7], 2, s[0:1]
	v_pk_mul_f32 v[0:1], s[12:13], v[4:5] op_sel_hi:[0,1]
	global_store_dwordx3 v[8:9], v[0:2], off
	s_cbranch_execnz .LBB23_10
	s_branch .LBB23_29
.LBB23_28:
.LBB23_29:
	s_waitcnt lgkmcnt(0)
	v_lshl_add_u64 v[10:11], v[6:7], 2, s[0:1]
	global_load_dwordx3 v[6:8], v[10:11], off
	v_pk_mul_f32 v[0:1], s[12:13], v[4:5] op_sel_hi:[0,1]
	s_waitcnt vmcnt(0)
	v_pk_fma_f32 v[0:1], s[14:15], v[6:7], v[0:1] op_sel_hi:[0,1,1]
	v_fmac_f32_e32 v2, s14, v8
	global_store_dwordx3 v[10:11], v[0:2], off
	s_endpgm
	.section	.rodata,"a",@progbits
	.p2align	6, 0x0
	.amdhsa_kernel _ZN9rocsparseL18bsrxmvn_3x3_kernelILj256ELj32EflifffEEvT3_20rocsparse_direction_NS_24const_host_device_scalarIT1_EES1_PKS1_PKT2_SA_S7_PKT4_PKT5_S5_PT6_21rocsparse_index_base_b
		.amdhsa_group_segment_fixed_size 0
		.amdhsa_private_segment_fixed_size 0
		.amdhsa_kernarg_size 96
		.amdhsa_user_sgpr_count 2
		.amdhsa_user_sgpr_dispatch_ptr 0
		.amdhsa_user_sgpr_queue_ptr 0
		.amdhsa_user_sgpr_kernarg_segment_ptr 1
		.amdhsa_user_sgpr_dispatch_id 0
		.amdhsa_user_sgpr_kernarg_preload_length 0
		.amdhsa_user_sgpr_kernarg_preload_offset 0
		.amdhsa_user_sgpr_private_segment_size 0
		.amdhsa_uses_dynamic_stack 0
		.amdhsa_enable_private_segment 0
		.amdhsa_system_sgpr_workgroup_id_x 1
		.amdhsa_system_sgpr_workgroup_id_y 0
		.amdhsa_system_sgpr_workgroup_id_z 0
		.amdhsa_system_sgpr_workgroup_info 0
		.amdhsa_system_vgpr_workitem_id 0
		.amdhsa_next_free_vgpr 32
		.amdhsa_next_free_sgpr 22
		.amdhsa_accum_offset 32
		.amdhsa_reserve_vcc 1
		.amdhsa_float_round_mode_32 0
		.amdhsa_float_round_mode_16_64 0
		.amdhsa_float_denorm_mode_32 3
		.amdhsa_float_denorm_mode_16_64 3
		.amdhsa_dx10_clamp 1
		.amdhsa_ieee_mode 1
		.amdhsa_fp16_overflow 0
		.amdhsa_tg_split 0
		.amdhsa_exception_fp_ieee_invalid_op 0
		.amdhsa_exception_fp_denorm_src 0
		.amdhsa_exception_fp_ieee_div_zero 0
		.amdhsa_exception_fp_ieee_overflow 0
		.amdhsa_exception_fp_ieee_underflow 0
		.amdhsa_exception_fp_ieee_inexact 0
		.amdhsa_exception_int_div_zero 0
	.end_amdhsa_kernel
	.section	.text._ZN9rocsparseL18bsrxmvn_3x3_kernelILj256ELj32EflifffEEvT3_20rocsparse_direction_NS_24const_host_device_scalarIT1_EES1_PKS1_PKT2_SA_S7_PKT4_PKT5_S5_PT6_21rocsparse_index_base_b,"axG",@progbits,_ZN9rocsparseL18bsrxmvn_3x3_kernelILj256ELj32EflifffEEvT3_20rocsparse_direction_NS_24const_host_device_scalarIT1_EES1_PKS1_PKT2_SA_S7_PKT4_PKT5_S5_PT6_21rocsparse_index_base_b,comdat
.Lfunc_end23:
	.size	_ZN9rocsparseL18bsrxmvn_3x3_kernelILj256ELj32EflifffEEvT3_20rocsparse_direction_NS_24const_host_device_scalarIT1_EES1_PKS1_PKT2_SA_S7_PKT4_PKT5_S5_PT6_21rocsparse_index_base_b, .Lfunc_end23-_ZN9rocsparseL18bsrxmvn_3x3_kernelILj256ELj32EflifffEEvT3_20rocsparse_direction_NS_24const_host_device_scalarIT1_EES1_PKS1_PKT2_SA_S7_PKT4_PKT5_S5_PT6_21rocsparse_index_base_b
                                        ; -- End function
	.section	.AMDGPU.csdata,"",@progbits
; Kernel info:
; codeLenInByte = 1280
; NumSgprs: 28
; NumVgprs: 32
; NumAgprs: 0
; TotalNumVgprs: 32
; ScratchSize: 0
; MemoryBound: 0
; FloatMode: 240
; IeeeMode: 1
; LDSByteSize: 0 bytes/workgroup (compile time only)
; SGPRBlocks: 3
; VGPRBlocks: 3
; NumSGPRsForWavesPerEU: 28
; NumVGPRsForWavesPerEU: 32
; AccumOffset: 32
; Occupancy: 8
; WaveLimiterHint : 1
; COMPUTE_PGM_RSRC2:SCRATCH_EN: 0
; COMPUTE_PGM_RSRC2:USER_SGPR: 2
; COMPUTE_PGM_RSRC2:TRAP_HANDLER: 0
; COMPUTE_PGM_RSRC2:TGID_X_EN: 1
; COMPUTE_PGM_RSRC2:TGID_Y_EN: 0
; COMPUTE_PGM_RSRC2:TGID_Z_EN: 0
; COMPUTE_PGM_RSRC2:TIDIG_COMP_CNT: 0
; COMPUTE_PGM_RSRC3_GFX90A:ACCUM_OFFSET: 7
; COMPUTE_PGM_RSRC3_GFX90A:TG_SPLIT: 0
	.section	.text._ZN9rocsparseL18bsrxmvn_3x3_kernelILj256ELj64EflifffEEvT3_20rocsparse_direction_NS_24const_host_device_scalarIT1_EES1_PKS1_PKT2_SA_S7_PKT4_PKT5_S5_PT6_21rocsparse_index_base_b,"axG",@progbits,_ZN9rocsparseL18bsrxmvn_3x3_kernelILj256ELj64EflifffEEvT3_20rocsparse_direction_NS_24const_host_device_scalarIT1_EES1_PKS1_PKT2_SA_S7_PKT4_PKT5_S5_PT6_21rocsparse_index_base_b,comdat
	.globl	_ZN9rocsparseL18bsrxmvn_3x3_kernelILj256ELj64EflifffEEvT3_20rocsparse_direction_NS_24const_host_device_scalarIT1_EES1_PKS1_PKT2_SA_S7_PKT4_PKT5_S5_PT6_21rocsparse_index_base_b ; -- Begin function _ZN9rocsparseL18bsrxmvn_3x3_kernelILj256ELj64EflifffEEvT3_20rocsparse_direction_NS_24const_host_device_scalarIT1_EES1_PKS1_PKT2_SA_S7_PKT4_PKT5_S5_PT6_21rocsparse_index_base_b
	.p2align	8
	.type	_ZN9rocsparseL18bsrxmvn_3x3_kernelILj256ELj64EflifffEEvT3_20rocsparse_direction_NS_24const_host_device_scalarIT1_EES1_PKS1_PKT2_SA_S7_PKT4_PKT5_S5_PT6_21rocsparse_index_base_b,@function
_ZN9rocsparseL18bsrxmvn_3x3_kernelILj256ELj64EflifffEEvT3_20rocsparse_direction_NS_24const_host_device_scalarIT1_EES1_PKS1_PKT2_SA_S7_PKT4_PKT5_S5_PT6_21rocsparse_index_base_b: ; @_ZN9rocsparseL18bsrxmvn_3x3_kernelILj256ELj64EflifffEEvT3_20rocsparse_direction_NS_24const_host_device_scalarIT1_EES1_PKS1_PKT2_SA_S7_PKT4_PKT5_S5_PT6_21rocsparse_index_base_b
; %bb.0:
	s_load_dwordx2 s[16:17], s[0:1], 0x58
	s_load_dwordx2 s[12:13], s[0:1], 0x8
	;; [unrolled: 1-line block ×3, first 2 shown]
	s_waitcnt lgkmcnt(0)
	s_bitcmp1_b32 s17, 0
	s_cselect_b64 s[6:7], -1, 0
	s_xor_b64 s[4:5], s[6:7], -1
	s_and_b64 vcc, exec, s[6:7]
	s_cbranch_vccnz .LBB24_2
; %bb.1:
	s_load_dword s12, s[12:13], 0x0
.LBB24_2:
	s_andn2_b64 vcc, exec, s[4:5]
	s_cbranch_vccnz .LBB24_4
; %bb.3:
	s_load_dword s14, s[14:15], 0x0
.LBB24_4:
	s_waitcnt lgkmcnt(0)
	v_cmp_neq_f32_e64 s[4:5], s12, 0
	v_cmp_neq_f32_e64 s[6:7], s14, 1.0
	s_or_b64 s[4:5], s[4:5], s[6:7]
	s_andn2_b64 vcc, exec, s[4:5]
	s_cbranch_vccnz .LBB24_10
; %bb.5:
	s_load_dwordx2 s[4:5], s[0:1], 0x18
	s_load_dwordx2 s[18:19], s[0:1], 0x0
	v_lshrrev_b32_e32 v1, 6, v0
	v_lshl_or_b32 v2, s2, 2, v1
	s_mov_b64 s[2:3], 0
	s_waitcnt lgkmcnt(0)
	s_cmp_lg_u64 s[4:5], 0
	s_cbranch_scc0 .LBB24_11
; %bb.6:
	s_load_dword s6, s[0:1], 0x10
                                        ; implicit-def: $vgpr1
	s_waitcnt lgkmcnt(0)
	v_cmp_gt_i32_e32 vcc, s6, v2
	s_and_saveexec_b64 s[6:7], vcc
	s_xor_b64 s[6:7], exec, s[6:7]
	s_cbranch_execz .LBB24_8
; %bb.7:
	v_ashrrev_i32_e32 v3, 31, v2
	v_lshl_add_u64 v[4:5], v[2:3], 2, s[4:5]
	global_load_dword v1, v[4:5], off
	s_mov_b64 s[2:3], exec
	s_waitcnt vmcnt(0)
	v_subrev_u32_e32 v1, s16, v1
.LBB24_8:
	s_or_b64 exec, exec, s[6:7]
	s_branch .LBB24_12
.LBB24_9:
	v_cmp_gt_i32_e32 vcc, s18, v2
	s_andn2_b64 s[2:3], s[2:3], exec
	s_and_b64 s[4:5], vcc, exec
	s_or_b64 s[2:3], s[2:3], s[4:5]
	s_and_saveexec_b64 s[4:5], s[2:3]
	s_cbranch_execnz .LBB24_13
.LBB24_10:
	s_endpgm
.LBB24_11:
                                        ; implicit-def: $vgpr1
	s_cbranch_execnz .LBB24_9
.LBB24_12:
	v_mov_b32_e32 v2, v1
	s_and_saveexec_b64 s[4:5], s[2:3]
	s_cbranch_execz .LBB24_10
.LBB24_13:
	s_load_dwordx8 s[4:11], s[0:1], 0x20
	v_ashrrev_i32_e32 v3, 31, v2
	v_lshlrev_b64 v[4:5], 3, v[2:3]
	v_and_b32_e32 v0, 63, v0
	s_waitcnt lgkmcnt(0)
	v_lshl_add_u64 v[6:7], s[4:5], 0, v[4:5]
	s_cmp_eq_u64 s[6:7], 0
	v_lshl_add_u64 v[4:5], s[6:7], 0, v[4:5]
	global_load_dwordx2 v[8:9], v[6:7], off
	v_lshl_add_u64 v[6:7], v[6:7], 0, 8
	s_cselect_b64 vcc, -1, 0
	v_cndmask_b32_e32 v5, v5, v7, vcc
	v_cndmask_b32_e32 v4, v4, v6, vcc
	global_load_dwordx2 v[10:11], v[4:5], off
	v_mov_b32_e32 v5, 0
	v_mov_b32_e32 v1, v5
	s_load_dwordx2 s[4:5], s[0:1], 0x40
	s_cmp_eq_u32 s19, 1
	s_waitcnt vmcnt(1)
	v_subrev_co_u32_e32 v6, vcc, s16, v8
	s_nop 1
	v_subbrev_co_u32_e32 v7, vcc, 0, v9, vcc
	v_lshl_add_u64 v[6:7], v[6:7], 0, v[0:1]
	s_waitcnt vmcnt(0)
	v_subrev_co_u32_e32 v8, vcc, s16, v10
	s_nop 1
	v_subbrev_co_u32_e32 v9, vcc, 0, v11, vcc
	v_mad_u64_u32 v[10:11], s[2:3], v6, 36, s[10:11]
	v_mov_b32_e32 v4, v11
	v_mad_u64_u32 v[12:13], s[2:3], v7, 36, v[4:5]
	v_mov_b32_e32 v11, v12
	v_cmp_lt_i64_e64 s[2:3], v[6:7], v[8:9]
	s_cbranch_scc1 .LBB24_19
; %bb.14:
	v_mov_b32_e32 v4, 0
	v_mov_b32_e32 v1, 0
	s_and_saveexec_b64 s[6:7], s[2:3]
	s_cbranch_execz .LBB24_18
; %bb.15:
	v_mov_b32_e32 v1, 0
	v_lshl_add_u64 v[12:13], v[6:7], 2, s[8:9]
	s_mov_b64 s[10:11], 0
	s_mov_b64 s[18:19], 0x900
	;; [unrolled: 1-line block ×3, first 2 shown]
	v_mov_b64_e32 v[14:15], v[10:11]
	v_mov_b64_e32 v[16:17], v[6:7]
	v_mov_b32_e32 v4, 0
	v_mov_b32_e32 v5, v1
.LBB24_16:                              ; =>This Inner Loop Header: Depth=1
	global_load_dword v3, v[12:13], off
	global_load_dwordx4 v[18:21], v[14:15], off offset:16
	global_load_dwordx4 v[22:25], v[14:15], off
	v_lshl_add_u64 v[16:17], v[16:17], 0, 64
	v_cmp_ge_i64_e32 vcc, v[16:17], v[8:9]
	v_lshl_add_u64 v[12:13], v[12:13], 0, s[20:21]
	s_or_b64 s[10:11], vcc, s[10:11]
	s_waitcnt vmcnt(2)
	v_subrev_u32_e32 v3, s16, v3
	v_lshl_add_u32 v26, v3, 1, v3
	v_ashrrev_i32_e32 v27, 31, v26
	s_waitcnt lgkmcnt(0)
	v_lshl_add_u64 v[30:31], v[26:27], 2, s[4:5]
	global_load_dwordx3 v[26:28], v[30:31], off
	global_load_dword v3, v[14:15], off offset:32
	s_waitcnt vmcnt(2)
	v_mov_b32_e32 v30, v22
	v_mov_b32_e32 v31, v25
	v_mov_b32_e32 v22, v23
	v_mov_b32_e32 v23, v18
	v_mov_b32_e32 v25, v19
	v_lshl_add_u64 v[14:15], v[14:15], 0, s[18:19]
	s_waitcnt vmcnt(1)
	v_pk_fma_f32 v[4:5], v[30:31], v[26:27], v[4:5] op_sel_hi:[1,0,1]
	v_fmac_f32_e32 v1, v20, v26
	v_mov_b32_e32 v18, v28
	v_pk_fma_f32 v[4:5], v[22:23], v[26:27], v[4:5] op_sel:[0,1,0]
	v_fmac_f32_e32 v1, v21, v27
	v_pk_fma_f32 v[4:5], v[24:25], v[18:19], v[4:5] op_sel_hi:[1,0,1]
	s_waitcnt vmcnt(0)
	v_fmac_f32_e32 v1, v3, v28
	s_andn2_b64 exec, exec, s[10:11]
	s_cbranch_execnz .LBB24_16
; %bb.17:
	s_or_b64 exec, exec, s[10:11]
.LBB24_18:
	s_or_b64 exec, exec, s[6:7]
	s_cbranch_execz .LBB24_20
	s_branch .LBB24_25
.LBB24_19:
                                        ; implicit-def: $vgpr5
                                        ; implicit-def: $vgpr1
.LBB24_20:
	v_mov_b32_e32 v5, 0
	v_mov_b32_e32 v4, v5
	;; [unrolled: 1-line block ×3, first 2 shown]
	s_and_saveexec_b64 s[6:7], s[2:3]
	s_cbranch_execz .LBB24_24
; %bb.21:
	v_mov_b32_e32 v1, 0
	v_lshl_add_u64 v[12:13], v[6:7], 2, s[8:9]
	s_mov_b64 s[2:3], 0
	s_mov_b64 s[8:9], 0x900
	;; [unrolled: 1-line block ×3, first 2 shown]
	v_mov_b32_e32 v4, 0
	v_mov_b32_e32 v5, v1
.LBB24_22:                              ; =>This Inner Loop Header: Depth=1
	global_load_dword v3, v[12:13], off
	global_load_dwordx4 v[14:17], v[10:11], off offset:16
	global_load_dwordx4 v[18:21], v[10:11], off
	v_lshl_add_u64 v[6:7], v[6:7], 0, 64
	v_cmp_ge_i64_e32 vcc, v[6:7], v[8:9]
	v_lshl_add_u64 v[12:13], v[12:13], 0, s[10:11]
	s_or_b64 s[2:3], vcc, s[2:3]
	s_waitcnt vmcnt(2)
	v_subrev_u32_e32 v3, s16, v3
	v_lshl_add_u32 v22, v3, 1, v3
	v_ashrrev_i32_e32 v23, 31, v22
	s_waitcnt lgkmcnt(0)
	v_lshl_add_u64 v[26:27], v[22:23], 2, s[4:5]
	global_load_dwordx3 v[22:24], v[26:27], off
	global_load_dword v3, v[10:11], off offset:32
	s_waitcnt vmcnt(2)
	v_mov_b32_e32 v26, v21
	v_mov_b32_e32 v27, v14
	v_lshl_add_u64 v[10:11], v[10:11], 0, s[8:9]
	s_waitcnt vmcnt(1)
	v_pk_fma_f32 v[4:5], v[18:19], v[22:23], v[4:5] op_sel_hi:[1,0,1]
	v_fmac_f32_e32 v1, v20, v22
	v_mov_b32_e32 v14, v24
	v_fmac_f32_e32 v1, v15, v23
	v_pk_fma_f32 v[4:5], v[26:27], v[22:23], v[4:5] op_sel:[0,1,0]
	s_waitcnt vmcnt(0)
	v_fmac_f32_e32 v1, v3, v24
	v_pk_fma_f32 v[4:5], v[16:17], v[14:15], v[4:5] op_sel_hi:[1,0,1]
	s_andn2_b64 exec, exec, s[2:3]
	s_cbranch_execnz .LBB24_22
; %bb.23:
	s_or_b64 exec, exec, s[2:3]
.LBB24_24:
	s_or_b64 exec, exec, s[6:7]
.LBB24_25:
	v_mov_b32_dpp v6, v4 row_shr:1 row_mask:0xf bank_mask:0xf
	v_mov_b32_dpp v7, v5 row_shr:1 row_mask:0xf bank_mask:0xf
	;; [unrolled: 1-line block ×3, first 2 shown]
	v_pk_add_f32 v[4:5], v[4:5], v[6:7]
	v_add_f32_e32 v1, v1, v3
	v_cmp_eq_u32_e32 vcc, 63, v0
	v_mov_b32_dpp v6, v4 row_shr:2 row_mask:0xf bank_mask:0xf
	v_mov_b32_dpp v7, v5 row_shr:2 row_mask:0xf bank_mask:0xf
	v_mov_b32_dpp v3, v1 row_shr:2 row_mask:0xf bank_mask:0xf
	v_pk_add_f32 v[4:5], v[4:5], v[6:7]
	v_add_f32_e32 v1, v1, v3
	s_nop 0
	v_mov_b32_dpp v6, v4 row_shr:4 row_mask:0xf bank_mask:0xe
	v_mov_b32_dpp v7, v5 row_shr:4 row_mask:0xf bank_mask:0xe
	v_mov_b32_dpp v3, v1 row_shr:4 row_mask:0xf bank_mask:0xe
	v_pk_add_f32 v[4:5], v[4:5], v[6:7]
	v_add_f32_e32 v1, v1, v3
	s_nop 0
	;; [unrolled: 6-line block ×3, first 2 shown]
	v_mov_b32_dpp v6, v4 row_bcast:15 row_mask:0xa bank_mask:0xf
	v_mov_b32_dpp v7, v5 row_bcast:15 row_mask:0xa bank_mask:0xf
	;; [unrolled: 1-line block ×3, first 2 shown]
	v_pk_add_f32 v[4:5], v[4:5], v[6:7]
	v_add_f32_e32 v1, v1, v3
	s_nop 0
	v_mov_b32_dpp v6, v4 row_bcast:31 row_mask:0xc bank_mask:0xf
	v_mov_b32_dpp v7, v5 row_bcast:31 row_mask:0xc bank_mask:0xf
	;; [unrolled: 1-line block ×3, first 2 shown]
	s_and_b64 exec, exec, vcc
	s_cbranch_execz .LBB24_10
; %bb.26:
	s_load_dwordx2 s[0:1], s[0:1], 0x50
	v_pk_add_f32 v[4:5], v[4:5], v[6:7]
	v_add_f32_e32 v0, v1, v3
	v_cmp_eq_f32_e64 s[2:3], s14, 0
	v_lshl_add_u32 v6, v2, 1, v2
	s_and_b64 vcc, exec, s[2:3]
	v_mul_f32_e32 v2, s12, v0
	v_ashrrev_i32_e32 v7, 31, v6
	s_cbranch_vccz .LBB24_28
; %bb.27:
	s_waitcnt lgkmcnt(0)
	v_lshl_add_u64 v[8:9], v[6:7], 2, s[0:1]
	v_pk_mul_f32 v[0:1], s[12:13], v[4:5] op_sel_hi:[0,1]
	global_store_dwordx3 v[8:9], v[0:2], off
	s_cbranch_execnz .LBB24_10
	s_branch .LBB24_29
.LBB24_28:
.LBB24_29:
	s_waitcnt lgkmcnt(0)
	v_lshl_add_u64 v[10:11], v[6:7], 2, s[0:1]
	global_load_dwordx3 v[6:8], v[10:11], off
	v_pk_mul_f32 v[0:1], s[12:13], v[4:5] op_sel_hi:[0,1]
	s_waitcnt vmcnt(0)
	v_pk_fma_f32 v[0:1], s[14:15], v[6:7], v[0:1] op_sel_hi:[0,1,1]
	v_fmac_f32_e32 v2, s14, v8
	global_store_dwordx3 v[10:11], v[0:2], off
	s_endpgm
	.section	.rodata,"a",@progbits
	.p2align	6, 0x0
	.amdhsa_kernel _ZN9rocsparseL18bsrxmvn_3x3_kernelILj256ELj64EflifffEEvT3_20rocsparse_direction_NS_24const_host_device_scalarIT1_EES1_PKS1_PKT2_SA_S7_PKT4_PKT5_S5_PT6_21rocsparse_index_base_b
		.amdhsa_group_segment_fixed_size 0
		.amdhsa_private_segment_fixed_size 0
		.amdhsa_kernarg_size 96
		.amdhsa_user_sgpr_count 2
		.amdhsa_user_sgpr_dispatch_ptr 0
		.amdhsa_user_sgpr_queue_ptr 0
		.amdhsa_user_sgpr_kernarg_segment_ptr 1
		.amdhsa_user_sgpr_dispatch_id 0
		.amdhsa_user_sgpr_kernarg_preload_length 0
		.amdhsa_user_sgpr_kernarg_preload_offset 0
		.amdhsa_user_sgpr_private_segment_size 0
		.amdhsa_uses_dynamic_stack 0
		.amdhsa_enable_private_segment 0
		.amdhsa_system_sgpr_workgroup_id_x 1
		.amdhsa_system_sgpr_workgroup_id_y 0
		.amdhsa_system_sgpr_workgroup_id_z 0
		.amdhsa_system_sgpr_workgroup_info 0
		.amdhsa_system_vgpr_workitem_id 0
		.amdhsa_next_free_vgpr 32
		.amdhsa_next_free_sgpr 22
		.amdhsa_accum_offset 32
		.amdhsa_reserve_vcc 1
		.amdhsa_float_round_mode_32 0
		.amdhsa_float_round_mode_16_64 0
		.amdhsa_float_denorm_mode_32 3
		.amdhsa_float_denorm_mode_16_64 3
		.amdhsa_dx10_clamp 1
		.amdhsa_ieee_mode 1
		.amdhsa_fp16_overflow 0
		.amdhsa_tg_split 0
		.amdhsa_exception_fp_ieee_invalid_op 0
		.amdhsa_exception_fp_denorm_src 0
		.amdhsa_exception_fp_ieee_div_zero 0
		.amdhsa_exception_fp_ieee_overflow 0
		.amdhsa_exception_fp_ieee_underflow 0
		.amdhsa_exception_fp_ieee_inexact 0
		.amdhsa_exception_int_div_zero 0
	.end_amdhsa_kernel
	.section	.text._ZN9rocsparseL18bsrxmvn_3x3_kernelILj256ELj64EflifffEEvT3_20rocsparse_direction_NS_24const_host_device_scalarIT1_EES1_PKS1_PKT2_SA_S7_PKT4_PKT5_S5_PT6_21rocsparse_index_base_b,"axG",@progbits,_ZN9rocsparseL18bsrxmvn_3x3_kernelILj256ELj64EflifffEEvT3_20rocsparse_direction_NS_24const_host_device_scalarIT1_EES1_PKS1_PKT2_SA_S7_PKT4_PKT5_S5_PT6_21rocsparse_index_base_b,comdat
.Lfunc_end24:
	.size	_ZN9rocsparseL18bsrxmvn_3x3_kernelILj256ELj64EflifffEEvT3_20rocsparse_direction_NS_24const_host_device_scalarIT1_EES1_PKS1_PKT2_SA_S7_PKT4_PKT5_S5_PT6_21rocsparse_index_base_b, .Lfunc_end24-_ZN9rocsparseL18bsrxmvn_3x3_kernelILj256ELj64EflifffEEvT3_20rocsparse_direction_NS_24const_host_device_scalarIT1_EES1_PKS1_PKT2_SA_S7_PKT4_PKT5_S5_PT6_21rocsparse_index_base_b
                                        ; -- End function
	.section	.AMDGPU.csdata,"",@progbits
; Kernel info:
; codeLenInByte = 1320
; NumSgprs: 28
; NumVgprs: 32
; NumAgprs: 0
; TotalNumVgprs: 32
; ScratchSize: 0
; MemoryBound: 0
; FloatMode: 240
; IeeeMode: 1
; LDSByteSize: 0 bytes/workgroup (compile time only)
; SGPRBlocks: 3
; VGPRBlocks: 3
; NumSGPRsForWavesPerEU: 28
; NumVGPRsForWavesPerEU: 32
; AccumOffset: 32
; Occupancy: 8
; WaveLimiterHint : 1
; COMPUTE_PGM_RSRC2:SCRATCH_EN: 0
; COMPUTE_PGM_RSRC2:USER_SGPR: 2
; COMPUTE_PGM_RSRC2:TRAP_HANDLER: 0
; COMPUTE_PGM_RSRC2:TGID_X_EN: 1
; COMPUTE_PGM_RSRC2:TGID_Y_EN: 0
; COMPUTE_PGM_RSRC2:TGID_Z_EN: 0
; COMPUTE_PGM_RSRC2:TIDIG_COMP_CNT: 0
; COMPUTE_PGM_RSRC3_GFX90A:ACCUM_OFFSET: 7
; COMPUTE_PGM_RSRC3_GFX90A:TG_SPLIT: 0
	.section	.text._ZN9rocsparseL18bsrxmvn_3x3_kernelILj256ELj4EdlidddEEvT3_20rocsparse_direction_NS_24const_host_device_scalarIT1_EES1_PKS1_PKT2_SA_S7_PKT4_PKT5_S5_PT6_21rocsparse_index_base_b,"axG",@progbits,_ZN9rocsparseL18bsrxmvn_3x3_kernelILj256ELj4EdlidddEEvT3_20rocsparse_direction_NS_24const_host_device_scalarIT1_EES1_PKS1_PKT2_SA_S7_PKT4_PKT5_S5_PT6_21rocsparse_index_base_b,comdat
	.globl	_ZN9rocsparseL18bsrxmvn_3x3_kernelILj256ELj4EdlidddEEvT3_20rocsparse_direction_NS_24const_host_device_scalarIT1_EES1_PKS1_PKT2_SA_S7_PKT4_PKT5_S5_PT6_21rocsparse_index_base_b ; -- Begin function _ZN9rocsparseL18bsrxmvn_3x3_kernelILj256ELj4EdlidddEEvT3_20rocsparse_direction_NS_24const_host_device_scalarIT1_EES1_PKS1_PKT2_SA_S7_PKT4_PKT5_S5_PT6_21rocsparse_index_base_b
	.p2align	8
	.type	_ZN9rocsparseL18bsrxmvn_3x3_kernelILj256ELj4EdlidddEEvT3_20rocsparse_direction_NS_24const_host_device_scalarIT1_EES1_PKS1_PKT2_SA_S7_PKT4_PKT5_S5_PT6_21rocsparse_index_base_b,@function
_ZN9rocsparseL18bsrxmvn_3x3_kernelILj256ELj4EdlidddEEvT3_20rocsparse_direction_NS_24const_host_device_scalarIT1_EES1_PKS1_PKT2_SA_S7_PKT4_PKT5_S5_PT6_21rocsparse_index_base_b: ; @_ZN9rocsparseL18bsrxmvn_3x3_kernelILj256ELj4EdlidddEEvT3_20rocsparse_direction_NS_24const_host_device_scalarIT1_EES1_PKS1_PKT2_SA_S7_PKT4_PKT5_S5_PT6_21rocsparse_index_base_b
; %bb.0:
	s_load_dwordx2 s[12:13], s[0:1], 0x58
	s_load_dwordx2 s[8:9], s[0:1], 0x8
	s_load_dwordx2 s[4:5], s[0:1], 0x48
	s_waitcnt lgkmcnt(0)
	s_bitcmp1_b32 s13, 0
	s_cselect_b64 s[10:11], -1, 0
	s_xor_b64 s[6:7], s[10:11], -1
	s_and_b64 vcc, exec, s[10:11]
	v_mov_b64_e32 v[6:7], s[8:9]
	s_cbranch_vccnz .LBB25_2
; %bb.1:
	v_mov_b64_e32 v[2:3], s[8:9]
	flat_load_dwordx2 v[6:7], v[2:3]
.LBB25_2:
	s_andn2_b64 vcc, exec, s[6:7]
	v_mov_b64_e32 v[4:5], s[4:5]
	s_cbranch_vccnz .LBB25_4
; %bb.3:
	v_mov_b64_e32 v[2:3], s[4:5]
	flat_load_dwordx2 v[4:5], v[2:3]
.LBB25_4:
	s_waitcnt vmcnt(0) lgkmcnt(0)
	v_cmp_neq_f64_e32 vcc, 0, v[6:7]
	v_cmp_neq_f64_e64 s[4:5], 1.0, v[4:5]
	s_mov_b64 s[6:7], 0
	s_or_b64 s[4:5], vcc, s[4:5]
	s_and_saveexec_b64 s[8:9], s[4:5]
	s_cbranch_execz .LBB25_10
; %bb.5:
	s_load_dwordx2 s[4:5], s[0:1], 0x18
	s_load_dwordx2 s[14:15], s[0:1], 0x0
	v_lshrrev_b32_e32 v1, 2, v0
	v_lshl_or_b32 v2, s2, 6, v1
	s_mov_b64 s[2:3], 0
	s_waitcnt lgkmcnt(0)
	s_cmp_lg_u64 s[4:5], 0
	s_cbranch_scc0 .LBB25_11
; %bb.6:
	s_load_dword s6, s[0:1], 0x10
                                        ; implicit-def: $vgpr1
	s_waitcnt lgkmcnt(0)
	v_cmp_gt_i32_e32 vcc, s6, v2
	s_and_saveexec_b64 s[6:7], vcc
	s_xor_b64 s[6:7], exec, s[6:7]
	s_cbranch_execz .LBB25_8
; %bb.7:
	v_ashrrev_i32_e32 v3, 31, v2
	v_lshl_add_u64 v[8:9], v[2:3], 2, s[4:5]
	global_load_dword v1, v[8:9], off
	s_mov_b64 s[2:3], exec
	s_waitcnt vmcnt(0)
	v_subrev_u32_e32 v1, s12, v1
.LBB25_8:
	s_or_b64 exec, exec, s[6:7]
	s_mov_b64 s[6:7], s[2:3]
	s_branch .LBB25_12
.LBB25_9:
	v_cmp_gt_i32_e32 vcc, s14, v2
	s_andn2_b64 s[2:3], s[6:7], exec
	s_and_b64 s[4:5], vcc, exec
	s_or_b64 s[6:7], s[2:3], s[4:5]
	s_and_b64 exec, exec, s[6:7]
	s_cbranch_execnz .LBB25_13
.LBB25_10:
	s_endpgm
.LBB25_11:
                                        ; implicit-def: $vgpr1
	s_cbranch_execnz .LBB25_9
.LBB25_12:
	v_mov_b32_e32 v2, v1
	s_and_b64 exec, exec, s[6:7]
	s_cbranch_execz .LBB25_10
.LBB25_13:
	s_load_dwordx8 s[4:11], s[0:1], 0x20
	v_ashrrev_i32_e32 v3, 31, v2
	v_lshlrev_b64 v[8:9], 3, v[2:3]
	v_and_b32_e32 v0, 3, v0
	v_mov_b32_e32 v1, 0
	s_waitcnt lgkmcnt(0)
	v_lshl_add_u64 v[10:11], s[4:5], 0, v[8:9]
	global_load_dwordx2 v[12:13], v[10:11], off
	s_cmp_eq_u64 s[6:7], 0
	v_lshl_add_u64 v[8:9], s[6:7], 0, v[8:9]
	v_lshl_add_u64 v[10:11], v[10:11], 0, 8
	s_cselect_b64 vcc, -1, 0
	v_cndmask_b32_e32 v9, v9, v11, vcc
	v_cndmask_b32_e32 v8, v8, v10, vcc
	global_load_dwordx2 v[8:9], v[8:9], off
	s_load_dwordx2 s[4:5], s[0:1], 0x40
	s_movk_i32 s6, 0x48
	v_mov_b64_e32 v[14:15], s[10:11]
	s_cmp_eq_u32 s15, 1
	s_waitcnt vmcnt(1)
	v_subrev_co_u32_e32 v10, vcc, s12, v12
	s_nop 1
	v_subbrev_co_u32_e32 v11, vcc, 0, v13, vcc
	v_lshl_add_u64 v[10:11], v[10:11], 0, v[0:1]
	v_mad_u64_u32 v[14:15], s[2:3], v10, s6, v[14:15]
	s_waitcnt vmcnt(0)
	v_subrev_co_u32_e32 v12, vcc, s12, v8
	v_mov_b32_e32 v8, v15
	s_nop 0
	v_subbrev_co_u32_e32 v13, vcc, 0, v9, vcc
	v_mad_u64_u32 v[8:9], s[2:3], v11, s6, v[8:9]
	v_mov_b32_e32 v15, v8
	v_cmp_lt_i64_e64 s[2:3], v[10:11], v[12:13]
	s_cbranch_scc1 .LBB25_19
; %bb.14:
	v_mov_b64_e32 v[8:9], 0
	s_mov_b64 s[6:7], 0
	v_mov_b64_e32 v[16:17], v[8:9]
	v_mov_b64_e32 v[18:19], v[8:9]
	s_and_saveexec_b64 s[10:11], s[2:3]
	s_cbranch_execz .LBB25_18
; %bb.15:
	v_mov_b64_e32 v[8:9], 0
	v_lshl_add_u64 v[20:21], v[10:11], 2, s[8:9]
	s_mov_b64 s[14:15], 0
	s_mov_b64 s[16:17], 0x120
	v_mov_b64_e32 v[22:23], v[14:15]
	v_mov_b64_e32 v[24:25], v[10:11]
	;; [unrolled: 1-line block ×4, first 2 shown]
.LBB25_16:                              ; =>This Inner Loop Header: Depth=1
	global_load_dword v1, v[20:21], off
	global_load_dwordx4 v[26:29], v[22:23], off offset:48
	global_load_dwordx4 v[30:33], v[22:23], off offset:16
	global_load_dwordx4 v[34:37], v[22:23], off
	v_lshl_add_u64 v[24:25], v[24:25], 0, 4
	v_cmp_ge_i64_e32 vcc, v[24:25], v[12:13]
	v_lshl_add_u64 v[20:21], v[20:21], 0, 16
	s_or_b64 s[14:15], vcc, s[14:15]
	s_waitcnt vmcnt(3)
	v_subrev_u32_e32 v1, s12, v1
	v_lshl_add_u32 v38, v1, 1, v1
	v_ashrrev_i32_e32 v39, 31, v38
	s_waitcnt lgkmcnt(0)
	v_lshl_add_u64 v[46:47], v[38:39], 3, s[4:5]
	global_load_dwordx4 v[38:41], v[46:47], off
	global_load_dwordx2 v[48:49], v[46:47], off offset:16
	global_load_dwordx4 v[42:45], v[22:23], off offset:32
	global_load_dwordx2 v[50:51], v[22:23], off offset:64
	v_lshl_add_u64 v[22:23], v[22:23], 0, s[16:17]
	s_waitcnt vmcnt(3)
	v_fmac_f64_e32 v[18:19], v[34:35], v[38:39]
	v_fmac_f64_e32 v[16:17], v[32:33], v[38:39]
	;; [unrolled: 1-line block ×4, first 2 shown]
	s_waitcnt vmcnt(1)
	v_fmac_f64_e32 v[16:17], v[42:43], v[40:41]
	v_fmac_f64_e32 v[8:9], v[28:29], v[40:41]
	;; [unrolled: 1-line block ×4, first 2 shown]
	s_waitcnt vmcnt(0)
	v_fmac_f64_e32 v[8:9], v[50:51], v[48:49]
	s_andn2_b64 exec, exec, s[14:15]
	s_cbranch_execnz .LBB25_16
; %bb.17:
	s_or_b64 exec, exec, s[14:15]
.LBB25_18:
	s_or_b64 exec, exec, s[10:11]
	s_andn2_b64 vcc, exec, s[6:7]
	s_cbranch_vccz .LBB25_20
	s_branch .LBB25_25
.LBB25_19:
                                        ; implicit-def: $vgpr8_vgpr9
                                        ; implicit-def: $vgpr16_vgpr17
                                        ; implicit-def: $vgpr18_vgpr19
.LBB25_20:
	v_mov_b64_e32 v[8:9], 0
	v_mov_b64_e32 v[16:17], v[8:9]
	v_mov_b64_e32 v[18:19], v[8:9]
	s_and_saveexec_b64 s[6:7], s[2:3]
	s_cbranch_execz .LBB25_24
; %bb.21:
	v_mov_b64_e32 v[8:9], 0
	v_lshl_add_u64 v[20:21], v[10:11], 2, s[8:9]
	s_mov_b64 s[2:3], 0
	s_mov_b64 s[8:9], 0x120
	v_mov_b64_e32 v[16:17], v[8:9]
	v_mov_b64_e32 v[18:19], v[8:9]
.LBB25_22:                              ; =>This Inner Loop Header: Depth=1
	global_load_dword v1, v[20:21], off
	global_load_dwordx4 v[22:25], v[14:15], off offset:32
	global_load_dwordx4 v[26:29], v[14:15], off offset:16
	global_load_dwordx4 v[30:33], v[14:15], off
	v_lshl_add_u64 v[10:11], v[10:11], 0, 4
	v_cmp_ge_i64_e32 vcc, v[10:11], v[12:13]
	v_lshl_add_u64 v[20:21], v[20:21], 0, 16
	s_or_b64 s[2:3], vcc, s[2:3]
	s_waitcnt vmcnt(3)
	v_subrev_u32_e32 v1, s12, v1
	v_lshl_add_u32 v34, v1, 1, v1
	v_ashrrev_i32_e32 v35, 31, v34
	s_waitcnt lgkmcnt(0)
	v_lshl_add_u64 v[42:43], v[34:35], 3, s[4:5]
	global_load_dwordx4 v[34:37], v[42:43], off
	global_load_dwordx2 v[44:45], v[42:43], off offset:16
	global_load_dwordx4 v[38:41], v[14:15], off offset:48
	global_load_dwordx2 v[46:47], v[14:15], off offset:64
	v_lshl_add_u64 v[14:15], v[14:15], 0, s[8:9]
	s_waitcnt vmcnt(3)
	v_fmac_f64_e32 v[18:19], v[30:31], v[34:35]
	v_fmac_f64_e32 v[16:17], v[32:33], v[34:35]
	;; [unrolled: 1-line block ×6, first 2 shown]
	s_waitcnt vmcnt(1)
	v_fmac_f64_e32 v[18:19], v[38:39], v[44:45]
	v_fmac_f64_e32 v[16:17], v[40:41], v[44:45]
	s_waitcnt vmcnt(0)
	v_fmac_f64_e32 v[8:9], v[46:47], v[44:45]
	s_andn2_b64 exec, exec, s[2:3]
	s_cbranch_execnz .LBB25_22
; %bb.23:
	s_or_b64 exec, exec, s[2:3]
.LBB25_24:
	s_or_b64 exec, exec, s[6:7]
.LBB25_25:
	v_mov_b32_dpp v10, v18 row_shr:1 row_mask:0xf bank_mask:0xf
	v_mov_b32_dpp v11, v19 row_shr:1 row_mask:0xf bank_mask:0xf
	v_add_f64 v[10:11], v[18:19], v[10:11]
	v_mov_b32_dpp v14, v16 row_shr:1 row_mask:0xf bank_mask:0xf
	v_mov_b32_dpp v15, v17 row_shr:1 row_mask:0xf bank_mask:0xf
	;; [unrolled: 1-line block ×4, first 2 shown]
	v_add_f64 v[14:15], v[16:17], v[14:15]
	v_add_f64 v[8:9], v[8:9], v[18:19]
	v_mov_b32_dpp v12, v10 row_shr:2 row_mask:0xf bank_mask:0xf
	v_mov_b32_dpp v13, v11 row_shr:2 row_mask:0xf bank_mask:0xf
	;; [unrolled: 1-line block ×6, first 2 shown]
	v_cmp_eq_u32_e32 vcc, 3, v0
	s_and_b64 exec, exec, vcc
	s_cbranch_execz .LBB25_10
; %bb.26:
	s_load_dwordx2 s[0:1], s[0:1], 0x50
	v_add_f64 v[0:1], v[10:11], v[12:13]
	v_add_f64 v[10:11], v[14:15], v[16:17]
	;; [unrolled: 1-line block ×3, first 2 shown]
	v_lshl_add_u32 v8, v2, 1, v2
	v_cmp_eq_f64_e32 vcc, 0, v[4:5]
	v_mul_f64 v[0:1], v[6:7], v[0:1]
	v_mul_f64 v[2:3], v[6:7], v[10:11]
	;; [unrolled: 1-line block ×3, first 2 shown]
	v_ashrrev_i32_e32 v9, 31, v8
	s_and_saveexec_b64 s[2:3], vcc
	s_xor_b64 s[2:3], exec, s[2:3]
	s_cbranch_execz .LBB25_28
; %bb.27:
	s_waitcnt lgkmcnt(0)
	v_lshl_add_u64 v[4:5], v[8:9], 3, s[0:1]
	global_store_dwordx4 v[4:5], v[0:3], off
	global_store_dwordx2 v[4:5], v[6:7], off offset:16
                                        ; implicit-def: $vgpr8
                                        ; implicit-def: $vgpr4_vgpr5
                                        ; implicit-def: $vgpr0_vgpr1
                                        ; implicit-def: $vgpr6_vgpr7
.LBB25_28:
	s_andn2_saveexec_b64 s[2:3], s[2:3]
	s_cbranch_execz .LBB25_10
; %bb.29:
	s_waitcnt lgkmcnt(0)
	v_lshl_add_u64 v[12:13], v[8:9], 3, s[0:1]
	global_load_dwordx4 v[8:11], v[12:13], off
	global_load_dwordx2 v[14:15], v[12:13], off offset:16
	s_waitcnt vmcnt(1)
	v_fmac_f64_e32 v[0:1], v[4:5], v[8:9]
	v_fmac_f64_e32 v[2:3], v[4:5], v[10:11]
	s_waitcnt vmcnt(0)
	v_fmac_f64_e32 v[6:7], v[4:5], v[14:15]
	global_store_dwordx4 v[12:13], v[0:3], off
	global_store_dwordx2 v[12:13], v[6:7], off offset:16
	s_endpgm
	.section	.rodata,"a",@progbits
	.p2align	6, 0x0
	.amdhsa_kernel _ZN9rocsparseL18bsrxmvn_3x3_kernelILj256ELj4EdlidddEEvT3_20rocsparse_direction_NS_24const_host_device_scalarIT1_EES1_PKS1_PKT2_SA_S7_PKT4_PKT5_S5_PT6_21rocsparse_index_base_b
		.amdhsa_group_segment_fixed_size 0
		.amdhsa_private_segment_fixed_size 0
		.amdhsa_kernarg_size 96
		.amdhsa_user_sgpr_count 2
		.amdhsa_user_sgpr_dispatch_ptr 0
		.amdhsa_user_sgpr_queue_ptr 0
		.amdhsa_user_sgpr_kernarg_segment_ptr 1
		.amdhsa_user_sgpr_dispatch_id 0
		.amdhsa_user_sgpr_kernarg_preload_length 0
		.amdhsa_user_sgpr_kernarg_preload_offset 0
		.amdhsa_user_sgpr_private_segment_size 0
		.amdhsa_uses_dynamic_stack 0
		.amdhsa_enable_private_segment 0
		.amdhsa_system_sgpr_workgroup_id_x 1
		.amdhsa_system_sgpr_workgroup_id_y 0
		.amdhsa_system_sgpr_workgroup_id_z 0
		.amdhsa_system_sgpr_workgroup_info 0
		.amdhsa_system_vgpr_workitem_id 0
		.amdhsa_next_free_vgpr 52
		.amdhsa_next_free_sgpr 18
		.amdhsa_accum_offset 52
		.amdhsa_reserve_vcc 1
		.amdhsa_float_round_mode_32 0
		.amdhsa_float_round_mode_16_64 0
		.amdhsa_float_denorm_mode_32 3
		.amdhsa_float_denorm_mode_16_64 3
		.amdhsa_dx10_clamp 1
		.amdhsa_ieee_mode 1
		.amdhsa_fp16_overflow 0
		.amdhsa_tg_split 0
		.amdhsa_exception_fp_ieee_invalid_op 0
		.amdhsa_exception_fp_denorm_src 0
		.amdhsa_exception_fp_ieee_div_zero 0
		.amdhsa_exception_fp_ieee_overflow 0
		.amdhsa_exception_fp_ieee_underflow 0
		.amdhsa_exception_fp_ieee_inexact 0
		.amdhsa_exception_int_div_zero 0
	.end_amdhsa_kernel
	.section	.text._ZN9rocsparseL18bsrxmvn_3x3_kernelILj256ELj4EdlidddEEvT3_20rocsparse_direction_NS_24const_host_device_scalarIT1_EES1_PKS1_PKT2_SA_S7_PKT4_PKT5_S5_PT6_21rocsparse_index_base_b,"axG",@progbits,_ZN9rocsparseL18bsrxmvn_3x3_kernelILj256ELj4EdlidddEEvT3_20rocsparse_direction_NS_24const_host_device_scalarIT1_EES1_PKS1_PKT2_SA_S7_PKT4_PKT5_S5_PT6_21rocsparse_index_base_b,comdat
.Lfunc_end25:
	.size	_ZN9rocsparseL18bsrxmvn_3x3_kernelILj256ELj4EdlidddEEvT3_20rocsparse_direction_NS_24const_host_device_scalarIT1_EES1_PKS1_PKT2_SA_S7_PKT4_PKT5_S5_PT6_21rocsparse_index_base_b, .Lfunc_end25-_ZN9rocsparseL18bsrxmvn_3x3_kernelILj256ELj4EdlidddEEvT3_20rocsparse_direction_NS_24const_host_device_scalarIT1_EES1_PKS1_PKT2_SA_S7_PKT4_PKT5_S5_PT6_21rocsparse_index_base_b
                                        ; -- End function
	.section	.AMDGPU.csdata,"",@progbits
; Kernel info:
; codeLenInByte = 1296
; NumSgprs: 24
; NumVgprs: 52
; NumAgprs: 0
; TotalNumVgprs: 52
; ScratchSize: 0
; MemoryBound: 1
; FloatMode: 240
; IeeeMode: 1
; LDSByteSize: 0 bytes/workgroup (compile time only)
; SGPRBlocks: 2
; VGPRBlocks: 6
; NumSGPRsForWavesPerEU: 24
; NumVGPRsForWavesPerEU: 52
; AccumOffset: 52
; Occupancy: 8
; WaveLimiterHint : 1
; COMPUTE_PGM_RSRC2:SCRATCH_EN: 0
; COMPUTE_PGM_RSRC2:USER_SGPR: 2
; COMPUTE_PGM_RSRC2:TRAP_HANDLER: 0
; COMPUTE_PGM_RSRC2:TGID_X_EN: 1
; COMPUTE_PGM_RSRC2:TGID_Y_EN: 0
; COMPUTE_PGM_RSRC2:TGID_Z_EN: 0
; COMPUTE_PGM_RSRC2:TIDIG_COMP_CNT: 0
; COMPUTE_PGM_RSRC3_GFX90A:ACCUM_OFFSET: 12
; COMPUTE_PGM_RSRC3_GFX90A:TG_SPLIT: 0
	.section	.text._ZN9rocsparseL18bsrxmvn_3x3_kernelILj256ELj8EdlidddEEvT3_20rocsparse_direction_NS_24const_host_device_scalarIT1_EES1_PKS1_PKT2_SA_S7_PKT4_PKT5_S5_PT6_21rocsparse_index_base_b,"axG",@progbits,_ZN9rocsparseL18bsrxmvn_3x3_kernelILj256ELj8EdlidddEEvT3_20rocsparse_direction_NS_24const_host_device_scalarIT1_EES1_PKS1_PKT2_SA_S7_PKT4_PKT5_S5_PT6_21rocsparse_index_base_b,comdat
	.globl	_ZN9rocsparseL18bsrxmvn_3x3_kernelILj256ELj8EdlidddEEvT3_20rocsparse_direction_NS_24const_host_device_scalarIT1_EES1_PKS1_PKT2_SA_S7_PKT4_PKT5_S5_PT6_21rocsparse_index_base_b ; -- Begin function _ZN9rocsparseL18bsrxmvn_3x3_kernelILj256ELj8EdlidddEEvT3_20rocsparse_direction_NS_24const_host_device_scalarIT1_EES1_PKS1_PKT2_SA_S7_PKT4_PKT5_S5_PT6_21rocsparse_index_base_b
	.p2align	8
	.type	_ZN9rocsparseL18bsrxmvn_3x3_kernelILj256ELj8EdlidddEEvT3_20rocsparse_direction_NS_24const_host_device_scalarIT1_EES1_PKS1_PKT2_SA_S7_PKT4_PKT5_S5_PT6_21rocsparse_index_base_b,@function
_ZN9rocsparseL18bsrxmvn_3x3_kernelILj256ELj8EdlidddEEvT3_20rocsparse_direction_NS_24const_host_device_scalarIT1_EES1_PKS1_PKT2_SA_S7_PKT4_PKT5_S5_PT6_21rocsparse_index_base_b: ; @_ZN9rocsparseL18bsrxmvn_3x3_kernelILj256ELj8EdlidddEEvT3_20rocsparse_direction_NS_24const_host_device_scalarIT1_EES1_PKS1_PKT2_SA_S7_PKT4_PKT5_S5_PT6_21rocsparse_index_base_b
; %bb.0:
	s_load_dwordx2 s[12:13], s[0:1], 0x58
	s_load_dwordx2 s[8:9], s[0:1], 0x8
	;; [unrolled: 1-line block ×3, first 2 shown]
	s_waitcnt lgkmcnt(0)
	s_bitcmp1_b32 s13, 0
	s_cselect_b64 s[10:11], -1, 0
	s_xor_b64 s[6:7], s[10:11], -1
	s_and_b64 vcc, exec, s[10:11]
	v_mov_b64_e32 v[6:7], s[8:9]
	s_cbranch_vccnz .LBB26_2
; %bb.1:
	v_mov_b64_e32 v[2:3], s[8:9]
	flat_load_dwordx2 v[6:7], v[2:3]
.LBB26_2:
	s_andn2_b64 vcc, exec, s[6:7]
	v_mov_b64_e32 v[4:5], s[4:5]
	s_cbranch_vccnz .LBB26_4
; %bb.3:
	v_mov_b64_e32 v[2:3], s[4:5]
	flat_load_dwordx2 v[4:5], v[2:3]
.LBB26_4:
	s_waitcnt vmcnt(0) lgkmcnt(0)
	v_cmp_neq_f64_e32 vcc, 0, v[6:7]
	v_cmp_neq_f64_e64 s[4:5], 1.0, v[4:5]
	s_mov_b64 s[6:7], 0
	s_or_b64 s[4:5], vcc, s[4:5]
	s_and_saveexec_b64 s[8:9], s[4:5]
	s_cbranch_execz .LBB26_10
; %bb.5:
	s_load_dwordx2 s[4:5], s[0:1], 0x18
	s_load_dwordx2 s[14:15], s[0:1], 0x0
	v_lshrrev_b32_e32 v1, 3, v0
	v_lshl_or_b32 v2, s2, 5, v1
	s_mov_b64 s[2:3], 0
	s_waitcnt lgkmcnt(0)
	s_cmp_lg_u64 s[4:5], 0
	s_cbranch_scc0 .LBB26_11
; %bb.6:
	s_load_dword s6, s[0:1], 0x10
                                        ; implicit-def: $vgpr1
	s_waitcnt lgkmcnt(0)
	v_cmp_gt_i32_e32 vcc, s6, v2
	s_and_saveexec_b64 s[6:7], vcc
	s_xor_b64 s[6:7], exec, s[6:7]
	s_cbranch_execz .LBB26_8
; %bb.7:
	v_ashrrev_i32_e32 v3, 31, v2
	v_lshl_add_u64 v[8:9], v[2:3], 2, s[4:5]
	global_load_dword v1, v[8:9], off
	s_mov_b64 s[2:3], exec
	s_waitcnt vmcnt(0)
	v_subrev_u32_e32 v1, s12, v1
.LBB26_8:
	s_or_b64 exec, exec, s[6:7]
	s_mov_b64 s[6:7], s[2:3]
	s_branch .LBB26_12
.LBB26_9:
	v_cmp_gt_i32_e32 vcc, s14, v2
	s_andn2_b64 s[2:3], s[6:7], exec
	s_and_b64 s[4:5], vcc, exec
	s_or_b64 s[6:7], s[2:3], s[4:5]
	s_and_b64 exec, exec, s[6:7]
	s_cbranch_execnz .LBB26_13
.LBB26_10:
	s_endpgm
.LBB26_11:
                                        ; implicit-def: $vgpr1
	s_cbranch_execnz .LBB26_9
.LBB26_12:
	v_mov_b32_e32 v2, v1
	s_and_b64 exec, exec, s[6:7]
	s_cbranch_execz .LBB26_10
.LBB26_13:
	s_load_dwordx8 s[4:11], s[0:1], 0x20
	v_ashrrev_i32_e32 v3, 31, v2
	v_lshlrev_b64 v[8:9], 3, v[2:3]
	v_and_b32_e32 v0, 7, v0
	v_mov_b32_e32 v1, 0
	s_waitcnt lgkmcnt(0)
	v_lshl_add_u64 v[10:11], s[4:5], 0, v[8:9]
	global_load_dwordx2 v[12:13], v[10:11], off
	s_cmp_eq_u64 s[6:7], 0
	v_lshl_add_u64 v[8:9], s[6:7], 0, v[8:9]
	v_lshl_add_u64 v[10:11], v[10:11], 0, 8
	s_cselect_b64 vcc, -1, 0
	v_cndmask_b32_e32 v9, v9, v11, vcc
	v_cndmask_b32_e32 v8, v8, v10, vcc
	global_load_dwordx2 v[8:9], v[8:9], off
	s_load_dwordx2 s[4:5], s[0:1], 0x40
	s_movk_i32 s6, 0x48
	v_mov_b64_e32 v[14:15], s[10:11]
	s_cmp_eq_u32 s15, 1
	s_waitcnt vmcnt(1)
	v_subrev_co_u32_e32 v10, vcc, s12, v12
	s_nop 1
	v_subbrev_co_u32_e32 v11, vcc, 0, v13, vcc
	v_lshl_add_u64 v[10:11], v[10:11], 0, v[0:1]
	v_mad_u64_u32 v[14:15], s[2:3], v10, s6, v[14:15]
	s_waitcnt vmcnt(0)
	v_subrev_co_u32_e32 v12, vcc, s12, v8
	v_mov_b32_e32 v8, v15
	s_nop 0
	v_subbrev_co_u32_e32 v13, vcc, 0, v9, vcc
	v_mad_u64_u32 v[8:9], s[2:3], v11, s6, v[8:9]
	v_mov_b32_e32 v15, v8
	v_cmp_lt_i64_e64 s[2:3], v[10:11], v[12:13]
	s_cbranch_scc1 .LBB26_19
; %bb.14:
	v_mov_b64_e32 v[8:9], 0
	s_mov_b64 s[6:7], 0
	v_mov_b64_e32 v[16:17], v[8:9]
	v_mov_b64_e32 v[18:19], v[8:9]
	s_and_saveexec_b64 s[10:11], s[2:3]
	s_cbranch_execz .LBB26_18
; %bb.15:
	v_mov_b64_e32 v[8:9], 0
	v_lshl_add_u64 v[20:21], v[10:11], 2, s[8:9]
	s_mov_b64 s[14:15], 0
	s_mov_b64 s[16:17], 0x240
	v_mov_b64_e32 v[22:23], v[14:15]
	v_mov_b64_e32 v[24:25], v[10:11]
	;; [unrolled: 1-line block ×4, first 2 shown]
.LBB26_16:                              ; =>This Inner Loop Header: Depth=1
	global_load_dword v1, v[20:21], off
	global_load_dwordx4 v[26:29], v[22:23], off offset:48
	global_load_dwordx4 v[30:33], v[22:23], off offset:16
	global_load_dwordx4 v[34:37], v[22:23], off
	v_lshl_add_u64 v[24:25], v[24:25], 0, 8
	v_cmp_ge_i64_e32 vcc, v[24:25], v[12:13]
	v_lshl_add_u64 v[20:21], v[20:21], 0, 32
	s_or_b64 s[14:15], vcc, s[14:15]
	s_waitcnt vmcnt(3)
	v_subrev_u32_e32 v1, s12, v1
	v_lshl_add_u32 v38, v1, 1, v1
	v_ashrrev_i32_e32 v39, 31, v38
	s_waitcnt lgkmcnt(0)
	v_lshl_add_u64 v[46:47], v[38:39], 3, s[4:5]
	global_load_dwordx4 v[38:41], v[46:47], off
	global_load_dwordx2 v[48:49], v[46:47], off offset:16
	global_load_dwordx4 v[42:45], v[22:23], off offset:32
	global_load_dwordx2 v[50:51], v[22:23], off offset:64
	v_lshl_add_u64 v[22:23], v[22:23], 0, s[16:17]
	s_waitcnt vmcnt(3)
	v_fmac_f64_e32 v[18:19], v[34:35], v[38:39]
	v_fmac_f64_e32 v[16:17], v[32:33], v[38:39]
	;; [unrolled: 1-line block ×4, first 2 shown]
	s_waitcnt vmcnt(1)
	v_fmac_f64_e32 v[16:17], v[42:43], v[40:41]
	v_fmac_f64_e32 v[8:9], v[28:29], v[40:41]
	;; [unrolled: 1-line block ×4, first 2 shown]
	s_waitcnt vmcnt(0)
	v_fmac_f64_e32 v[8:9], v[50:51], v[48:49]
	s_andn2_b64 exec, exec, s[14:15]
	s_cbranch_execnz .LBB26_16
; %bb.17:
	s_or_b64 exec, exec, s[14:15]
.LBB26_18:
	s_or_b64 exec, exec, s[10:11]
	s_andn2_b64 vcc, exec, s[6:7]
	s_cbranch_vccz .LBB26_20
	s_branch .LBB26_25
.LBB26_19:
                                        ; implicit-def: $vgpr8_vgpr9
                                        ; implicit-def: $vgpr16_vgpr17
                                        ; implicit-def: $vgpr18_vgpr19
.LBB26_20:
	v_mov_b64_e32 v[8:9], 0
	v_mov_b64_e32 v[16:17], v[8:9]
	;; [unrolled: 1-line block ×3, first 2 shown]
	s_and_saveexec_b64 s[6:7], s[2:3]
	s_cbranch_execz .LBB26_24
; %bb.21:
	v_mov_b64_e32 v[8:9], 0
	v_lshl_add_u64 v[20:21], v[10:11], 2, s[8:9]
	s_mov_b64 s[2:3], 0
	s_mov_b64 s[8:9], 0x240
	v_mov_b64_e32 v[16:17], v[8:9]
	v_mov_b64_e32 v[18:19], v[8:9]
.LBB26_22:                              ; =>This Inner Loop Header: Depth=1
	global_load_dword v1, v[20:21], off
	global_load_dwordx4 v[22:25], v[14:15], off offset:32
	global_load_dwordx4 v[26:29], v[14:15], off offset:16
	global_load_dwordx4 v[30:33], v[14:15], off
	v_lshl_add_u64 v[10:11], v[10:11], 0, 8
	v_cmp_ge_i64_e32 vcc, v[10:11], v[12:13]
	v_lshl_add_u64 v[20:21], v[20:21], 0, 32
	s_or_b64 s[2:3], vcc, s[2:3]
	s_waitcnt vmcnt(3)
	v_subrev_u32_e32 v1, s12, v1
	v_lshl_add_u32 v34, v1, 1, v1
	v_ashrrev_i32_e32 v35, 31, v34
	s_waitcnt lgkmcnt(0)
	v_lshl_add_u64 v[42:43], v[34:35], 3, s[4:5]
	global_load_dwordx4 v[34:37], v[42:43], off
	global_load_dwordx2 v[44:45], v[42:43], off offset:16
	global_load_dwordx4 v[38:41], v[14:15], off offset:48
	global_load_dwordx2 v[46:47], v[14:15], off offset:64
	v_lshl_add_u64 v[14:15], v[14:15], 0, s[8:9]
	s_waitcnt vmcnt(3)
	v_fmac_f64_e32 v[18:19], v[30:31], v[34:35]
	v_fmac_f64_e32 v[16:17], v[32:33], v[34:35]
	v_fmac_f64_e32 v[8:9], v[26:27], v[34:35]
	v_fmac_f64_e32 v[18:19], v[28:29], v[36:37]
	v_fmac_f64_e32 v[16:17], v[22:23], v[36:37]
	v_fmac_f64_e32 v[8:9], v[24:25], v[36:37]
	s_waitcnt vmcnt(1)
	v_fmac_f64_e32 v[18:19], v[38:39], v[44:45]
	v_fmac_f64_e32 v[16:17], v[40:41], v[44:45]
	s_waitcnt vmcnt(0)
	v_fmac_f64_e32 v[8:9], v[46:47], v[44:45]
	s_andn2_b64 exec, exec, s[2:3]
	s_cbranch_execnz .LBB26_22
; %bb.23:
	s_or_b64 exec, exec, s[2:3]
.LBB26_24:
	s_or_b64 exec, exec, s[6:7]
.LBB26_25:
	v_mov_b32_dpp v10, v18 row_shr:1 row_mask:0xf bank_mask:0xf
	v_mov_b32_dpp v11, v19 row_shr:1 row_mask:0xf bank_mask:0xf
	v_add_f64 v[10:11], v[18:19], v[10:11]
	v_mov_b32_dpp v14, v16 row_shr:1 row_mask:0xf bank_mask:0xf
	v_mov_b32_dpp v15, v17 row_shr:1 row_mask:0xf bank_mask:0xf
	;; [unrolled: 1-line block ×4, first 2 shown]
	v_add_f64 v[14:15], v[16:17], v[14:15]
	v_add_f64 v[8:9], v[8:9], v[18:19]
	v_mov_b32_dpp v12, v10 row_shr:2 row_mask:0xf bank_mask:0xf
	v_mov_b32_dpp v13, v11 row_shr:2 row_mask:0xf bank_mask:0xf
	;; [unrolled: 1-line block ×6, first 2 shown]
	v_add_f64 v[10:11], v[10:11], v[12:13]
	v_add_f64 v[14:15], v[14:15], v[16:17]
	;; [unrolled: 1-line block ×3, first 2 shown]
	v_mov_b32_dpp v12, v10 row_shr:4 row_mask:0xf bank_mask:0xe
	v_mov_b32_dpp v13, v11 row_shr:4 row_mask:0xf bank_mask:0xe
	;; [unrolled: 1-line block ×6, first 2 shown]
	v_cmp_eq_u32_e32 vcc, 7, v0
	s_and_b64 exec, exec, vcc
	s_cbranch_execz .LBB26_10
; %bb.26:
	s_load_dwordx2 s[0:1], s[0:1], 0x50
	v_add_f64 v[0:1], v[10:11], v[12:13]
	v_add_f64 v[10:11], v[14:15], v[16:17]
	v_add_f64 v[12:13], v[8:9], v[18:19]
	v_lshl_add_u32 v8, v2, 1, v2
	v_cmp_eq_f64_e32 vcc, 0, v[4:5]
	v_mul_f64 v[0:1], v[6:7], v[0:1]
	v_mul_f64 v[2:3], v[6:7], v[10:11]
	;; [unrolled: 1-line block ×3, first 2 shown]
	v_ashrrev_i32_e32 v9, 31, v8
	s_and_saveexec_b64 s[2:3], vcc
	s_xor_b64 s[2:3], exec, s[2:3]
	s_cbranch_execz .LBB26_28
; %bb.27:
	s_waitcnt lgkmcnt(0)
	v_lshl_add_u64 v[4:5], v[8:9], 3, s[0:1]
	global_store_dwordx4 v[4:5], v[0:3], off
	global_store_dwordx2 v[4:5], v[6:7], off offset:16
                                        ; implicit-def: $vgpr8
                                        ; implicit-def: $vgpr4_vgpr5
                                        ; implicit-def: $vgpr0_vgpr1
                                        ; implicit-def: $vgpr6_vgpr7
.LBB26_28:
	s_andn2_saveexec_b64 s[2:3], s[2:3]
	s_cbranch_execz .LBB26_10
; %bb.29:
	s_waitcnt lgkmcnt(0)
	v_lshl_add_u64 v[12:13], v[8:9], 3, s[0:1]
	global_load_dwordx4 v[8:11], v[12:13], off
	global_load_dwordx2 v[14:15], v[12:13], off offset:16
	s_waitcnt vmcnt(1)
	v_fmac_f64_e32 v[0:1], v[4:5], v[8:9]
	v_fmac_f64_e32 v[2:3], v[4:5], v[10:11]
	s_waitcnt vmcnt(0)
	v_fmac_f64_e32 v[6:7], v[4:5], v[14:15]
	global_store_dwordx4 v[12:13], v[0:3], off
	global_store_dwordx2 v[12:13], v[6:7], off offset:16
	s_endpgm
	.section	.rodata,"a",@progbits
	.p2align	6, 0x0
	.amdhsa_kernel _ZN9rocsparseL18bsrxmvn_3x3_kernelILj256ELj8EdlidddEEvT3_20rocsparse_direction_NS_24const_host_device_scalarIT1_EES1_PKS1_PKT2_SA_S7_PKT4_PKT5_S5_PT6_21rocsparse_index_base_b
		.amdhsa_group_segment_fixed_size 0
		.amdhsa_private_segment_fixed_size 0
		.amdhsa_kernarg_size 96
		.amdhsa_user_sgpr_count 2
		.amdhsa_user_sgpr_dispatch_ptr 0
		.amdhsa_user_sgpr_queue_ptr 0
		.amdhsa_user_sgpr_kernarg_segment_ptr 1
		.amdhsa_user_sgpr_dispatch_id 0
		.amdhsa_user_sgpr_kernarg_preload_length 0
		.amdhsa_user_sgpr_kernarg_preload_offset 0
		.amdhsa_user_sgpr_private_segment_size 0
		.amdhsa_uses_dynamic_stack 0
		.amdhsa_enable_private_segment 0
		.amdhsa_system_sgpr_workgroup_id_x 1
		.amdhsa_system_sgpr_workgroup_id_y 0
		.amdhsa_system_sgpr_workgroup_id_z 0
		.amdhsa_system_sgpr_workgroup_info 0
		.amdhsa_system_vgpr_workitem_id 0
		.amdhsa_next_free_vgpr 52
		.amdhsa_next_free_sgpr 18
		.amdhsa_accum_offset 52
		.amdhsa_reserve_vcc 1
		.amdhsa_float_round_mode_32 0
		.amdhsa_float_round_mode_16_64 0
		.amdhsa_float_denorm_mode_32 3
		.amdhsa_float_denorm_mode_16_64 3
		.amdhsa_dx10_clamp 1
		.amdhsa_ieee_mode 1
		.amdhsa_fp16_overflow 0
		.amdhsa_tg_split 0
		.amdhsa_exception_fp_ieee_invalid_op 0
		.amdhsa_exception_fp_denorm_src 0
		.amdhsa_exception_fp_ieee_div_zero 0
		.amdhsa_exception_fp_ieee_overflow 0
		.amdhsa_exception_fp_ieee_underflow 0
		.amdhsa_exception_fp_ieee_inexact 0
		.amdhsa_exception_int_div_zero 0
	.end_amdhsa_kernel
	.section	.text._ZN9rocsparseL18bsrxmvn_3x3_kernelILj256ELj8EdlidddEEvT3_20rocsparse_direction_NS_24const_host_device_scalarIT1_EES1_PKS1_PKT2_SA_S7_PKT4_PKT5_S5_PT6_21rocsparse_index_base_b,"axG",@progbits,_ZN9rocsparseL18bsrxmvn_3x3_kernelILj256ELj8EdlidddEEvT3_20rocsparse_direction_NS_24const_host_device_scalarIT1_EES1_PKS1_PKT2_SA_S7_PKT4_PKT5_S5_PT6_21rocsparse_index_base_b,comdat
.Lfunc_end26:
	.size	_ZN9rocsparseL18bsrxmvn_3x3_kernelILj256ELj8EdlidddEEvT3_20rocsparse_direction_NS_24const_host_device_scalarIT1_EES1_PKS1_PKT2_SA_S7_PKT4_PKT5_S5_PT6_21rocsparse_index_base_b, .Lfunc_end26-_ZN9rocsparseL18bsrxmvn_3x3_kernelILj256ELj8EdlidddEEvT3_20rocsparse_direction_NS_24const_host_device_scalarIT1_EES1_PKS1_PKT2_SA_S7_PKT4_PKT5_S5_PT6_21rocsparse_index_base_b
                                        ; -- End function
	.section	.AMDGPU.csdata,"",@progbits
; Kernel info:
; codeLenInByte = 1368
; NumSgprs: 24
; NumVgprs: 52
; NumAgprs: 0
; TotalNumVgprs: 52
; ScratchSize: 0
; MemoryBound: 1
; FloatMode: 240
; IeeeMode: 1
; LDSByteSize: 0 bytes/workgroup (compile time only)
; SGPRBlocks: 2
; VGPRBlocks: 6
; NumSGPRsForWavesPerEU: 24
; NumVGPRsForWavesPerEU: 52
; AccumOffset: 52
; Occupancy: 8
; WaveLimiterHint : 1
; COMPUTE_PGM_RSRC2:SCRATCH_EN: 0
; COMPUTE_PGM_RSRC2:USER_SGPR: 2
; COMPUTE_PGM_RSRC2:TRAP_HANDLER: 0
; COMPUTE_PGM_RSRC2:TGID_X_EN: 1
; COMPUTE_PGM_RSRC2:TGID_Y_EN: 0
; COMPUTE_PGM_RSRC2:TGID_Z_EN: 0
; COMPUTE_PGM_RSRC2:TIDIG_COMP_CNT: 0
; COMPUTE_PGM_RSRC3_GFX90A:ACCUM_OFFSET: 12
; COMPUTE_PGM_RSRC3_GFX90A:TG_SPLIT: 0
	.section	.text._ZN9rocsparseL18bsrxmvn_3x3_kernelILj256ELj16EdlidddEEvT3_20rocsparse_direction_NS_24const_host_device_scalarIT1_EES1_PKS1_PKT2_SA_S7_PKT4_PKT5_S5_PT6_21rocsparse_index_base_b,"axG",@progbits,_ZN9rocsparseL18bsrxmvn_3x3_kernelILj256ELj16EdlidddEEvT3_20rocsparse_direction_NS_24const_host_device_scalarIT1_EES1_PKS1_PKT2_SA_S7_PKT4_PKT5_S5_PT6_21rocsparse_index_base_b,comdat
	.globl	_ZN9rocsparseL18bsrxmvn_3x3_kernelILj256ELj16EdlidddEEvT3_20rocsparse_direction_NS_24const_host_device_scalarIT1_EES1_PKS1_PKT2_SA_S7_PKT4_PKT5_S5_PT6_21rocsparse_index_base_b ; -- Begin function _ZN9rocsparseL18bsrxmvn_3x3_kernelILj256ELj16EdlidddEEvT3_20rocsparse_direction_NS_24const_host_device_scalarIT1_EES1_PKS1_PKT2_SA_S7_PKT4_PKT5_S5_PT6_21rocsparse_index_base_b
	.p2align	8
	.type	_ZN9rocsparseL18bsrxmvn_3x3_kernelILj256ELj16EdlidddEEvT3_20rocsparse_direction_NS_24const_host_device_scalarIT1_EES1_PKS1_PKT2_SA_S7_PKT4_PKT5_S5_PT6_21rocsparse_index_base_b,@function
_ZN9rocsparseL18bsrxmvn_3x3_kernelILj256ELj16EdlidddEEvT3_20rocsparse_direction_NS_24const_host_device_scalarIT1_EES1_PKS1_PKT2_SA_S7_PKT4_PKT5_S5_PT6_21rocsparse_index_base_b: ; @_ZN9rocsparseL18bsrxmvn_3x3_kernelILj256ELj16EdlidddEEvT3_20rocsparse_direction_NS_24const_host_device_scalarIT1_EES1_PKS1_PKT2_SA_S7_PKT4_PKT5_S5_PT6_21rocsparse_index_base_b
; %bb.0:
	s_load_dwordx2 s[12:13], s[0:1], 0x58
	s_load_dwordx2 s[8:9], s[0:1], 0x8
	s_load_dwordx2 s[4:5], s[0:1], 0x48
	s_waitcnt lgkmcnt(0)
	s_bitcmp1_b32 s13, 0
	s_cselect_b64 s[10:11], -1, 0
	s_xor_b64 s[6:7], s[10:11], -1
	s_and_b64 vcc, exec, s[10:11]
	v_mov_b64_e32 v[6:7], s[8:9]
	s_cbranch_vccnz .LBB27_2
; %bb.1:
	v_mov_b64_e32 v[2:3], s[8:9]
	flat_load_dwordx2 v[6:7], v[2:3]
.LBB27_2:
	s_andn2_b64 vcc, exec, s[6:7]
	v_mov_b64_e32 v[4:5], s[4:5]
	s_cbranch_vccnz .LBB27_4
; %bb.3:
	v_mov_b64_e32 v[2:3], s[4:5]
	flat_load_dwordx2 v[4:5], v[2:3]
.LBB27_4:
	s_waitcnt vmcnt(0) lgkmcnt(0)
	v_cmp_neq_f64_e32 vcc, 0, v[6:7]
	v_cmp_neq_f64_e64 s[4:5], 1.0, v[4:5]
	s_mov_b64 s[6:7], 0
	s_or_b64 s[4:5], vcc, s[4:5]
	s_and_saveexec_b64 s[8:9], s[4:5]
	s_cbranch_execz .LBB27_10
; %bb.5:
	s_load_dwordx2 s[4:5], s[0:1], 0x18
	s_load_dwordx2 s[14:15], s[0:1], 0x0
	v_lshrrev_b32_e32 v1, 4, v0
	v_lshl_or_b32 v2, s2, 4, v1
	s_mov_b64 s[2:3], 0
	s_waitcnt lgkmcnt(0)
	s_cmp_lg_u64 s[4:5], 0
	s_cbranch_scc0 .LBB27_11
; %bb.6:
	s_load_dword s6, s[0:1], 0x10
                                        ; implicit-def: $vgpr1
	s_waitcnt lgkmcnt(0)
	v_cmp_gt_i32_e32 vcc, s6, v2
	s_and_saveexec_b64 s[6:7], vcc
	s_xor_b64 s[6:7], exec, s[6:7]
	s_cbranch_execz .LBB27_8
; %bb.7:
	v_ashrrev_i32_e32 v3, 31, v2
	v_lshl_add_u64 v[8:9], v[2:3], 2, s[4:5]
	global_load_dword v1, v[8:9], off
	s_mov_b64 s[2:3], exec
	s_waitcnt vmcnt(0)
	v_subrev_u32_e32 v1, s12, v1
.LBB27_8:
	s_or_b64 exec, exec, s[6:7]
	s_mov_b64 s[6:7], s[2:3]
	s_branch .LBB27_12
.LBB27_9:
	v_cmp_gt_i32_e32 vcc, s14, v2
	s_andn2_b64 s[2:3], s[6:7], exec
	s_and_b64 s[4:5], vcc, exec
	s_or_b64 s[6:7], s[2:3], s[4:5]
	s_and_b64 exec, exec, s[6:7]
	s_cbranch_execnz .LBB27_13
.LBB27_10:
	s_endpgm
.LBB27_11:
                                        ; implicit-def: $vgpr1
	s_cbranch_execnz .LBB27_9
.LBB27_12:
	v_mov_b32_e32 v2, v1
	s_and_b64 exec, exec, s[6:7]
	s_cbranch_execz .LBB27_10
.LBB27_13:
	s_load_dwordx8 s[4:11], s[0:1], 0x20
	v_ashrrev_i32_e32 v3, 31, v2
	v_lshlrev_b64 v[8:9], 3, v[2:3]
	v_and_b32_e32 v0, 15, v0
	v_mov_b32_e32 v1, 0
	s_waitcnt lgkmcnt(0)
	v_lshl_add_u64 v[10:11], s[4:5], 0, v[8:9]
	global_load_dwordx2 v[12:13], v[10:11], off
	s_cmp_eq_u64 s[6:7], 0
	v_lshl_add_u64 v[8:9], s[6:7], 0, v[8:9]
	v_lshl_add_u64 v[10:11], v[10:11], 0, 8
	s_cselect_b64 vcc, -1, 0
	v_cndmask_b32_e32 v9, v9, v11, vcc
	v_cndmask_b32_e32 v8, v8, v10, vcc
	global_load_dwordx2 v[8:9], v[8:9], off
	s_load_dwordx2 s[4:5], s[0:1], 0x40
	s_movk_i32 s6, 0x48
	v_mov_b64_e32 v[16:17], s[10:11]
	s_cmp_eq_u32 s15, 1
	s_waitcnt vmcnt(1)
	v_subrev_co_u32_e32 v10, vcc, s12, v12
	s_nop 1
	v_subbrev_co_u32_e32 v11, vcc, 0, v13, vcc
	v_lshl_add_u64 v[10:11], v[10:11], 0, v[0:1]
	v_mad_u64_u32 v[16:17], s[2:3], v10, s6, v[16:17]
	s_waitcnt vmcnt(0)
	v_subrev_co_u32_e32 v14, vcc, s12, v8
	v_mov_b32_e32 v8, v17
	s_nop 0
	v_subbrev_co_u32_e32 v15, vcc, 0, v9, vcc
	v_mad_u64_u32 v[8:9], s[2:3], v11, s6, v[8:9]
	v_mov_b32_e32 v17, v8
	v_cmp_lt_i64_e64 s[2:3], v[10:11], v[14:15]
	s_cbranch_scc1 .LBB27_19
; %bb.14:
	v_mov_b64_e32 v[8:9], 0
	s_mov_b64 s[6:7], 0
	v_mov_b64_e32 v[12:13], v[8:9]
	v_mov_b64_e32 v[18:19], v[8:9]
	s_and_saveexec_b64 s[10:11], s[2:3]
	s_cbranch_execz .LBB27_18
; %bb.15:
	v_mov_b64_e32 v[8:9], 0
	v_lshl_add_u64 v[20:21], v[10:11], 2, s[8:9]
	s_mov_b64 s[14:15], 0
	s_mov_b64 s[16:17], 0x480
	v_mov_b64_e32 v[22:23], v[16:17]
	v_mov_b64_e32 v[24:25], v[10:11]
	;; [unrolled: 1-line block ×4, first 2 shown]
.LBB27_16:                              ; =>This Inner Loop Header: Depth=1
	global_load_dword v1, v[20:21], off
	global_load_dwordx4 v[26:29], v[22:23], off offset:48
	global_load_dwordx4 v[30:33], v[22:23], off offset:16
	global_load_dwordx4 v[34:37], v[22:23], off
	v_lshl_add_u64 v[24:25], v[24:25], 0, 16
	v_cmp_ge_i64_e32 vcc, v[24:25], v[14:15]
	v_lshl_add_u64 v[20:21], v[20:21], 0, 64
	s_or_b64 s[14:15], vcc, s[14:15]
	s_waitcnt vmcnt(3)
	v_subrev_u32_e32 v1, s12, v1
	v_lshl_add_u32 v38, v1, 1, v1
	v_ashrrev_i32_e32 v39, 31, v38
	s_waitcnt lgkmcnt(0)
	v_lshl_add_u64 v[46:47], v[38:39], 3, s[4:5]
	global_load_dwordx4 v[38:41], v[46:47], off
	global_load_dwordx2 v[48:49], v[46:47], off offset:16
	global_load_dwordx4 v[42:45], v[22:23], off offset:32
	global_load_dwordx2 v[50:51], v[22:23], off offset:64
	v_lshl_add_u64 v[22:23], v[22:23], 0, s[16:17]
	s_waitcnt vmcnt(3)
	v_fmac_f64_e32 v[18:19], v[34:35], v[38:39]
	v_fmac_f64_e32 v[12:13], v[32:33], v[38:39]
	;; [unrolled: 1-line block ×4, first 2 shown]
	s_waitcnt vmcnt(1)
	v_fmac_f64_e32 v[12:13], v[42:43], v[40:41]
	v_fmac_f64_e32 v[8:9], v[28:29], v[40:41]
	v_fmac_f64_e32 v[18:19], v[30:31], v[48:49]
	v_fmac_f64_e32 v[12:13], v[44:45], v[48:49]
	s_waitcnt vmcnt(0)
	v_fmac_f64_e32 v[8:9], v[50:51], v[48:49]
	s_andn2_b64 exec, exec, s[14:15]
	s_cbranch_execnz .LBB27_16
; %bb.17:
	s_or_b64 exec, exec, s[14:15]
.LBB27_18:
	s_or_b64 exec, exec, s[10:11]
	s_andn2_b64 vcc, exec, s[6:7]
	s_cbranch_vccz .LBB27_20
	s_branch .LBB27_25
.LBB27_19:
                                        ; implicit-def: $vgpr8_vgpr9
                                        ; implicit-def: $vgpr12_vgpr13
                                        ; implicit-def: $vgpr18_vgpr19
.LBB27_20:
	v_mov_b64_e32 v[8:9], 0
	v_mov_b64_e32 v[12:13], v[8:9]
	;; [unrolled: 1-line block ×3, first 2 shown]
	s_and_saveexec_b64 s[6:7], s[2:3]
	s_cbranch_execz .LBB27_24
; %bb.21:
	v_mov_b64_e32 v[8:9], 0
	v_lshl_add_u64 v[20:21], v[10:11], 2, s[8:9]
	s_mov_b64 s[2:3], 0
	s_mov_b64 s[8:9], 0x480
	v_mov_b64_e32 v[12:13], v[8:9]
	v_mov_b64_e32 v[18:19], v[8:9]
.LBB27_22:                              ; =>This Inner Loop Header: Depth=1
	global_load_dword v1, v[20:21], off
	global_load_dwordx4 v[22:25], v[16:17], off offset:32
	global_load_dwordx4 v[26:29], v[16:17], off offset:16
	global_load_dwordx4 v[30:33], v[16:17], off
	v_lshl_add_u64 v[10:11], v[10:11], 0, 16
	v_cmp_ge_i64_e32 vcc, v[10:11], v[14:15]
	v_lshl_add_u64 v[20:21], v[20:21], 0, 64
	s_or_b64 s[2:3], vcc, s[2:3]
	s_waitcnt vmcnt(3)
	v_subrev_u32_e32 v1, s12, v1
	v_lshl_add_u32 v34, v1, 1, v1
	v_ashrrev_i32_e32 v35, 31, v34
	s_waitcnt lgkmcnt(0)
	v_lshl_add_u64 v[42:43], v[34:35], 3, s[4:5]
	global_load_dwordx4 v[34:37], v[42:43], off
	global_load_dwordx2 v[44:45], v[42:43], off offset:16
	global_load_dwordx4 v[38:41], v[16:17], off offset:48
	global_load_dwordx2 v[46:47], v[16:17], off offset:64
	v_lshl_add_u64 v[16:17], v[16:17], 0, s[8:9]
	s_waitcnt vmcnt(3)
	v_fmac_f64_e32 v[18:19], v[30:31], v[34:35]
	v_fmac_f64_e32 v[12:13], v[32:33], v[34:35]
	;; [unrolled: 1-line block ×6, first 2 shown]
	s_waitcnt vmcnt(1)
	v_fmac_f64_e32 v[18:19], v[38:39], v[44:45]
	v_fmac_f64_e32 v[12:13], v[40:41], v[44:45]
	s_waitcnt vmcnt(0)
	v_fmac_f64_e32 v[8:9], v[46:47], v[44:45]
	s_andn2_b64 exec, exec, s[2:3]
	s_cbranch_execnz .LBB27_22
; %bb.23:
	s_or_b64 exec, exec, s[2:3]
.LBB27_24:
	s_or_b64 exec, exec, s[6:7]
.LBB27_25:
	v_mov_b32_dpp v10, v18 row_shr:1 row_mask:0xf bank_mask:0xf
	v_mov_b32_dpp v11, v19 row_shr:1 row_mask:0xf bank_mask:0xf
	v_add_f64 v[10:11], v[18:19], v[10:11]
	v_mov_b32_dpp v16, v12 row_shr:1 row_mask:0xf bank_mask:0xf
	v_mov_b32_dpp v17, v13 row_shr:1 row_mask:0xf bank_mask:0xf
	;; [unrolled: 1-line block ×4, first 2 shown]
	v_add_f64 v[12:13], v[12:13], v[16:17]
	v_add_f64 v[8:9], v[8:9], v[18:19]
	v_mov_b32_dpp v14, v10 row_shr:2 row_mask:0xf bank_mask:0xf
	v_mov_b32_dpp v15, v11 row_shr:2 row_mask:0xf bank_mask:0xf
	;; [unrolled: 1-line block ×6, first 2 shown]
	v_add_f64 v[10:11], v[10:11], v[14:15]
	v_add_f64 v[12:13], v[12:13], v[16:17]
	;; [unrolled: 1-line block ×3, first 2 shown]
	v_mov_b32_dpp v14, v10 row_shr:4 row_mask:0xf bank_mask:0xe
	v_mov_b32_dpp v15, v11 row_shr:4 row_mask:0xf bank_mask:0xe
	;; [unrolled: 1-line block ×6, first 2 shown]
	v_add_f64 v[10:11], v[10:11], v[14:15]
	v_add_f64 v[12:13], v[12:13], v[16:17]
	;; [unrolled: 1-line block ×3, first 2 shown]
	v_mov_b32_dpp v14, v10 row_shr:8 row_mask:0xf bank_mask:0xc
	v_mov_b32_dpp v15, v11 row_shr:8 row_mask:0xf bank_mask:0xc
	;; [unrolled: 1-line block ×6, first 2 shown]
	v_cmp_eq_u32_e32 vcc, 15, v0
	s_and_b64 exec, exec, vcc
	s_cbranch_execz .LBB27_10
; %bb.26:
	s_load_dwordx2 s[0:1], s[0:1], 0x50
	v_add_f64 v[0:1], v[10:11], v[14:15]
	v_add_f64 v[10:11], v[12:13], v[16:17]
	;; [unrolled: 1-line block ×3, first 2 shown]
	v_lshl_add_u32 v8, v2, 1, v2
	v_cmp_eq_f64_e32 vcc, 0, v[4:5]
	v_mul_f64 v[0:1], v[6:7], v[0:1]
	v_mul_f64 v[2:3], v[6:7], v[10:11]
	;; [unrolled: 1-line block ×3, first 2 shown]
	v_ashrrev_i32_e32 v9, 31, v8
	s_and_saveexec_b64 s[2:3], vcc
	s_xor_b64 s[2:3], exec, s[2:3]
	s_cbranch_execz .LBB27_28
; %bb.27:
	s_waitcnt lgkmcnt(0)
	v_lshl_add_u64 v[4:5], v[8:9], 3, s[0:1]
	global_store_dwordx4 v[4:5], v[0:3], off
	global_store_dwordx2 v[4:5], v[6:7], off offset:16
                                        ; implicit-def: $vgpr8
                                        ; implicit-def: $vgpr4_vgpr5
                                        ; implicit-def: $vgpr0_vgpr1
                                        ; implicit-def: $vgpr6_vgpr7
.LBB27_28:
	s_andn2_saveexec_b64 s[2:3], s[2:3]
	s_cbranch_execz .LBB27_10
; %bb.29:
	s_waitcnt lgkmcnt(0)
	v_lshl_add_u64 v[12:13], v[8:9], 3, s[0:1]
	global_load_dwordx4 v[8:11], v[12:13], off
	global_load_dwordx2 v[14:15], v[12:13], off offset:16
	s_waitcnt vmcnt(1)
	v_fmac_f64_e32 v[0:1], v[4:5], v[8:9]
	v_fmac_f64_e32 v[2:3], v[4:5], v[10:11]
	s_waitcnt vmcnt(0)
	v_fmac_f64_e32 v[6:7], v[4:5], v[14:15]
	global_store_dwordx4 v[12:13], v[0:3], off
	global_store_dwordx2 v[12:13], v[6:7], off offset:16
	s_endpgm
	.section	.rodata,"a",@progbits
	.p2align	6, 0x0
	.amdhsa_kernel _ZN9rocsparseL18bsrxmvn_3x3_kernelILj256ELj16EdlidddEEvT3_20rocsparse_direction_NS_24const_host_device_scalarIT1_EES1_PKS1_PKT2_SA_S7_PKT4_PKT5_S5_PT6_21rocsparse_index_base_b
		.amdhsa_group_segment_fixed_size 0
		.amdhsa_private_segment_fixed_size 0
		.amdhsa_kernarg_size 96
		.amdhsa_user_sgpr_count 2
		.amdhsa_user_sgpr_dispatch_ptr 0
		.amdhsa_user_sgpr_queue_ptr 0
		.amdhsa_user_sgpr_kernarg_segment_ptr 1
		.amdhsa_user_sgpr_dispatch_id 0
		.amdhsa_user_sgpr_kernarg_preload_length 0
		.amdhsa_user_sgpr_kernarg_preload_offset 0
		.amdhsa_user_sgpr_private_segment_size 0
		.amdhsa_uses_dynamic_stack 0
		.amdhsa_enable_private_segment 0
		.amdhsa_system_sgpr_workgroup_id_x 1
		.amdhsa_system_sgpr_workgroup_id_y 0
		.amdhsa_system_sgpr_workgroup_id_z 0
		.amdhsa_system_sgpr_workgroup_info 0
		.amdhsa_system_vgpr_workitem_id 0
		.amdhsa_next_free_vgpr 52
		.amdhsa_next_free_sgpr 18
		.amdhsa_accum_offset 52
		.amdhsa_reserve_vcc 1
		.amdhsa_float_round_mode_32 0
		.amdhsa_float_round_mode_16_64 0
		.amdhsa_float_denorm_mode_32 3
		.amdhsa_float_denorm_mode_16_64 3
		.amdhsa_dx10_clamp 1
		.amdhsa_ieee_mode 1
		.amdhsa_fp16_overflow 0
		.amdhsa_tg_split 0
		.amdhsa_exception_fp_ieee_invalid_op 0
		.amdhsa_exception_fp_denorm_src 0
		.amdhsa_exception_fp_ieee_div_zero 0
		.amdhsa_exception_fp_ieee_overflow 0
		.amdhsa_exception_fp_ieee_underflow 0
		.amdhsa_exception_fp_ieee_inexact 0
		.amdhsa_exception_int_div_zero 0
	.end_amdhsa_kernel
	.section	.text._ZN9rocsparseL18bsrxmvn_3x3_kernelILj256ELj16EdlidddEEvT3_20rocsparse_direction_NS_24const_host_device_scalarIT1_EES1_PKS1_PKT2_SA_S7_PKT4_PKT5_S5_PT6_21rocsparse_index_base_b,"axG",@progbits,_ZN9rocsparseL18bsrxmvn_3x3_kernelILj256ELj16EdlidddEEvT3_20rocsparse_direction_NS_24const_host_device_scalarIT1_EES1_PKS1_PKT2_SA_S7_PKT4_PKT5_S5_PT6_21rocsparse_index_base_b,comdat
.Lfunc_end27:
	.size	_ZN9rocsparseL18bsrxmvn_3x3_kernelILj256ELj16EdlidddEEvT3_20rocsparse_direction_NS_24const_host_device_scalarIT1_EES1_PKS1_PKT2_SA_S7_PKT4_PKT5_S5_PT6_21rocsparse_index_base_b, .Lfunc_end27-_ZN9rocsparseL18bsrxmvn_3x3_kernelILj256ELj16EdlidddEEvT3_20rocsparse_direction_NS_24const_host_device_scalarIT1_EES1_PKS1_PKT2_SA_S7_PKT4_PKT5_S5_PT6_21rocsparse_index_base_b
                                        ; -- End function
	.section	.AMDGPU.csdata,"",@progbits
; Kernel info:
; codeLenInByte = 1440
; NumSgprs: 24
; NumVgprs: 52
; NumAgprs: 0
; TotalNumVgprs: 52
; ScratchSize: 0
; MemoryBound: 1
; FloatMode: 240
; IeeeMode: 1
; LDSByteSize: 0 bytes/workgroup (compile time only)
; SGPRBlocks: 2
; VGPRBlocks: 6
; NumSGPRsForWavesPerEU: 24
; NumVGPRsForWavesPerEU: 52
; AccumOffset: 52
; Occupancy: 8
; WaveLimiterHint : 1
; COMPUTE_PGM_RSRC2:SCRATCH_EN: 0
; COMPUTE_PGM_RSRC2:USER_SGPR: 2
; COMPUTE_PGM_RSRC2:TRAP_HANDLER: 0
; COMPUTE_PGM_RSRC2:TGID_X_EN: 1
; COMPUTE_PGM_RSRC2:TGID_Y_EN: 0
; COMPUTE_PGM_RSRC2:TGID_Z_EN: 0
; COMPUTE_PGM_RSRC2:TIDIG_COMP_CNT: 0
; COMPUTE_PGM_RSRC3_GFX90A:ACCUM_OFFSET: 12
; COMPUTE_PGM_RSRC3_GFX90A:TG_SPLIT: 0
	.section	.text._ZN9rocsparseL18bsrxmvn_3x3_kernelILj256ELj32EdlidddEEvT3_20rocsparse_direction_NS_24const_host_device_scalarIT1_EES1_PKS1_PKT2_SA_S7_PKT4_PKT5_S5_PT6_21rocsparse_index_base_b,"axG",@progbits,_ZN9rocsparseL18bsrxmvn_3x3_kernelILj256ELj32EdlidddEEvT3_20rocsparse_direction_NS_24const_host_device_scalarIT1_EES1_PKS1_PKT2_SA_S7_PKT4_PKT5_S5_PT6_21rocsparse_index_base_b,comdat
	.globl	_ZN9rocsparseL18bsrxmvn_3x3_kernelILj256ELj32EdlidddEEvT3_20rocsparse_direction_NS_24const_host_device_scalarIT1_EES1_PKS1_PKT2_SA_S7_PKT4_PKT5_S5_PT6_21rocsparse_index_base_b ; -- Begin function _ZN9rocsparseL18bsrxmvn_3x3_kernelILj256ELj32EdlidddEEvT3_20rocsparse_direction_NS_24const_host_device_scalarIT1_EES1_PKS1_PKT2_SA_S7_PKT4_PKT5_S5_PT6_21rocsparse_index_base_b
	.p2align	8
	.type	_ZN9rocsparseL18bsrxmvn_3x3_kernelILj256ELj32EdlidddEEvT3_20rocsparse_direction_NS_24const_host_device_scalarIT1_EES1_PKS1_PKT2_SA_S7_PKT4_PKT5_S5_PT6_21rocsparse_index_base_b,@function
_ZN9rocsparseL18bsrxmvn_3x3_kernelILj256ELj32EdlidddEEvT3_20rocsparse_direction_NS_24const_host_device_scalarIT1_EES1_PKS1_PKT2_SA_S7_PKT4_PKT5_S5_PT6_21rocsparse_index_base_b: ; @_ZN9rocsparseL18bsrxmvn_3x3_kernelILj256ELj32EdlidddEEvT3_20rocsparse_direction_NS_24const_host_device_scalarIT1_EES1_PKS1_PKT2_SA_S7_PKT4_PKT5_S5_PT6_21rocsparse_index_base_b
; %bb.0:
	s_load_dwordx2 s[12:13], s[0:1], 0x58
	s_load_dwordx2 s[8:9], s[0:1], 0x8
	;; [unrolled: 1-line block ×3, first 2 shown]
	s_waitcnt lgkmcnt(0)
	s_bitcmp1_b32 s13, 0
	s_cselect_b64 s[10:11], -1, 0
	s_xor_b64 s[6:7], s[10:11], -1
	s_and_b64 vcc, exec, s[10:11]
	v_mov_b64_e32 v[6:7], s[8:9]
	s_cbranch_vccnz .LBB28_2
; %bb.1:
	v_mov_b64_e32 v[2:3], s[8:9]
	flat_load_dwordx2 v[6:7], v[2:3]
.LBB28_2:
	s_andn2_b64 vcc, exec, s[6:7]
	v_mov_b64_e32 v[4:5], s[4:5]
	s_cbranch_vccnz .LBB28_4
; %bb.3:
	v_mov_b64_e32 v[2:3], s[4:5]
	flat_load_dwordx2 v[4:5], v[2:3]
.LBB28_4:
	s_waitcnt vmcnt(0) lgkmcnt(0)
	v_cmp_neq_f64_e32 vcc, 0, v[6:7]
	v_cmp_neq_f64_e64 s[4:5], 1.0, v[4:5]
	s_mov_b64 s[6:7], 0
	s_or_b64 s[4:5], vcc, s[4:5]
	s_and_saveexec_b64 s[8:9], s[4:5]
	s_cbranch_execz .LBB28_10
; %bb.5:
	s_load_dwordx2 s[4:5], s[0:1], 0x18
	s_load_dwordx2 s[14:15], s[0:1], 0x0
	v_lshrrev_b32_e32 v1, 5, v0
	v_lshl_or_b32 v2, s2, 3, v1
	s_mov_b64 s[2:3], 0
	s_waitcnt lgkmcnt(0)
	s_cmp_lg_u64 s[4:5], 0
	s_cbranch_scc0 .LBB28_11
; %bb.6:
	s_load_dword s6, s[0:1], 0x10
                                        ; implicit-def: $vgpr1
	s_waitcnt lgkmcnt(0)
	v_cmp_gt_i32_e32 vcc, s6, v2
	s_and_saveexec_b64 s[6:7], vcc
	s_xor_b64 s[6:7], exec, s[6:7]
	s_cbranch_execz .LBB28_8
; %bb.7:
	v_ashrrev_i32_e32 v3, 31, v2
	v_lshl_add_u64 v[8:9], v[2:3], 2, s[4:5]
	global_load_dword v1, v[8:9], off
	s_mov_b64 s[2:3], exec
	s_waitcnt vmcnt(0)
	v_subrev_u32_e32 v1, s12, v1
.LBB28_8:
	s_or_b64 exec, exec, s[6:7]
	s_mov_b64 s[6:7], s[2:3]
	s_branch .LBB28_12
.LBB28_9:
	v_cmp_gt_i32_e32 vcc, s14, v2
	s_andn2_b64 s[2:3], s[6:7], exec
	s_and_b64 s[4:5], vcc, exec
	s_or_b64 s[6:7], s[2:3], s[4:5]
	s_and_b64 exec, exec, s[6:7]
	s_cbranch_execnz .LBB28_13
.LBB28_10:
	s_endpgm
.LBB28_11:
                                        ; implicit-def: $vgpr1
	s_cbranch_execnz .LBB28_9
.LBB28_12:
	v_mov_b32_e32 v2, v1
	s_and_b64 exec, exec, s[6:7]
	s_cbranch_execz .LBB28_10
.LBB28_13:
	s_load_dwordx8 s[4:11], s[0:1], 0x20
	v_ashrrev_i32_e32 v3, 31, v2
	v_lshlrev_b64 v[8:9], 3, v[2:3]
	v_and_b32_e32 v0, 31, v0
	v_mov_b32_e32 v1, 0
	s_waitcnt lgkmcnt(0)
	v_lshl_add_u64 v[10:11], s[4:5], 0, v[8:9]
	global_load_dwordx2 v[12:13], v[10:11], off
	s_cmp_eq_u64 s[6:7], 0
	v_lshl_add_u64 v[8:9], s[6:7], 0, v[8:9]
	v_lshl_add_u64 v[10:11], v[10:11], 0, 8
	s_cselect_b64 vcc, -1, 0
	v_cndmask_b32_e32 v9, v9, v11, vcc
	v_cndmask_b32_e32 v8, v8, v10, vcc
	global_load_dwordx2 v[8:9], v[8:9], off
	s_load_dwordx2 s[4:5], s[0:1], 0x40
	s_movk_i32 s6, 0x48
	v_mov_b64_e32 v[10:11], s[10:11]
	s_cmp_eq_u32 s15, 1
	s_waitcnt vmcnt(1)
	v_subrev_co_u32_e32 v12, vcc, s12, v12
	s_nop 1
	v_subbrev_co_u32_e32 v13, vcc, 0, v13, vcc
	v_lshl_add_u64 v[12:13], v[12:13], 0, v[0:1]
	v_mad_u64_u32 v[16:17], s[2:3], v12, s6, v[10:11]
	s_waitcnt vmcnt(0)
	v_subrev_co_u32_e32 v14, vcc, s12, v8
	v_mov_b32_e32 v8, v17
	s_nop 0
	v_subbrev_co_u32_e32 v15, vcc, 0, v9, vcc
	v_mad_u64_u32 v[8:9], s[2:3], v13, s6, v[8:9]
	v_mov_b32_e32 v17, v8
	v_cmp_lt_i64_e64 s[2:3], v[12:13], v[14:15]
	s_cbranch_scc1 .LBB28_19
; %bb.14:
	v_mov_b64_e32 v[8:9], 0
	s_mov_b64 s[6:7], 0
	v_mov_b64_e32 v[10:11], v[8:9]
	v_mov_b64_e32 v[18:19], v[8:9]
	s_and_saveexec_b64 s[10:11], s[2:3]
	s_cbranch_execz .LBB28_18
; %bb.15:
	v_mov_b64_e32 v[8:9], 0
	v_lshl_add_u64 v[20:21], v[12:13], 2, s[8:9]
	s_mov_b64 s[14:15], 0
	s_mov_b64 s[16:17], 0x900
	;; [unrolled: 1-line block ×3, first 2 shown]
	v_mov_b64_e32 v[22:23], v[16:17]
	v_mov_b64_e32 v[24:25], v[12:13]
	;; [unrolled: 1-line block ×4, first 2 shown]
.LBB28_16:                              ; =>This Inner Loop Header: Depth=1
	global_load_dword v1, v[20:21], off
	global_load_dwordx4 v[26:29], v[22:23], off offset:48
	global_load_dwordx4 v[30:33], v[22:23], off offset:16
	global_load_dwordx4 v[34:37], v[22:23], off
	v_lshl_add_u64 v[24:25], v[24:25], 0, 32
	v_cmp_ge_i64_e32 vcc, v[24:25], v[14:15]
	v_lshl_add_u64 v[20:21], v[20:21], 0, s[18:19]
	s_or_b64 s[14:15], vcc, s[14:15]
	s_waitcnt vmcnt(3)
	v_subrev_u32_e32 v1, s12, v1
	v_lshl_add_u32 v38, v1, 1, v1
	v_ashrrev_i32_e32 v39, 31, v38
	s_waitcnt lgkmcnt(0)
	v_lshl_add_u64 v[46:47], v[38:39], 3, s[4:5]
	global_load_dwordx4 v[38:41], v[46:47], off
	global_load_dwordx2 v[48:49], v[46:47], off offset:16
	global_load_dwordx4 v[42:45], v[22:23], off offset:32
	global_load_dwordx2 v[50:51], v[22:23], off offset:64
	v_lshl_add_u64 v[22:23], v[22:23], 0, s[16:17]
	s_waitcnt vmcnt(3)
	v_fmac_f64_e32 v[18:19], v[34:35], v[38:39]
	v_fmac_f64_e32 v[10:11], v[32:33], v[38:39]
	;; [unrolled: 1-line block ×4, first 2 shown]
	s_waitcnt vmcnt(1)
	v_fmac_f64_e32 v[10:11], v[42:43], v[40:41]
	v_fmac_f64_e32 v[8:9], v[28:29], v[40:41]
	;; [unrolled: 1-line block ×4, first 2 shown]
	s_waitcnt vmcnt(0)
	v_fmac_f64_e32 v[8:9], v[50:51], v[48:49]
	s_andn2_b64 exec, exec, s[14:15]
	s_cbranch_execnz .LBB28_16
; %bb.17:
	s_or_b64 exec, exec, s[14:15]
.LBB28_18:
	s_or_b64 exec, exec, s[10:11]
	s_andn2_b64 vcc, exec, s[6:7]
	s_cbranch_vccz .LBB28_20
	s_branch .LBB28_25
.LBB28_19:
                                        ; implicit-def: $vgpr8_vgpr9
                                        ; implicit-def: $vgpr10_vgpr11
                                        ; implicit-def: $vgpr18_vgpr19
.LBB28_20:
	v_mov_b64_e32 v[8:9], 0
	v_mov_b64_e32 v[10:11], v[8:9]
	;; [unrolled: 1-line block ×3, first 2 shown]
	s_and_saveexec_b64 s[6:7], s[2:3]
	s_cbranch_execz .LBB28_24
; %bb.21:
	v_mov_b64_e32 v[8:9], 0
	v_lshl_add_u64 v[20:21], v[12:13], 2, s[8:9]
	s_mov_b64 s[2:3], 0
	s_mov_b64 s[8:9], 0x900
	;; [unrolled: 1-line block ×3, first 2 shown]
	v_mov_b64_e32 v[10:11], v[8:9]
	v_mov_b64_e32 v[18:19], v[8:9]
.LBB28_22:                              ; =>This Inner Loop Header: Depth=1
	global_load_dword v1, v[20:21], off
	global_load_dwordx4 v[22:25], v[16:17], off offset:32
	global_load_dwordx4 v[26:29], v[16:17], off offset:16
	global_load_dwordx4 v[30:33], v[16:17], off
	v_lshl_add_u64 v[12:13], v[12:13], 0, 32
	v_cmp_ge_i64_e32 vcc, v[12:13], v[14:15]
	v_lshl_add_u64 v[20:21], v[20:21], 0, s[10:11]
	s_or_b64 s[2:3], vcc, s[2:3]
	s_waitcnt vmcnt(3)
	v_subrev_u32_e32 v1, s12, v1
	v_lshl_add_u32 v34, v1, 1, v1
	v_ashrrev_i32_e32 v35, 31, v34
	s_waitcnt lgkmcnt(0)
	v_lshl_add_u64 v[42:43], v[34:35], 3, s[4:5]
	global_load_dwordx4 v[34:37], v[42:43], off
	global_load_dwordx2 v[44:45], v[42:43], off offset:16
	global_load_dwordx4 v[38:41], v[16:17], off offset:48
	global_load_dwordx2 v[46:47], v[16:17], off offset:64
	v_lshl_add_u64 v[16:17], v[16:17], 0, s[8:9]
	s_waitcnt vmcnt(3)
	v_fmac_f64_e32 v[18:19], v[30:31], v[34:35]
	v_fmac_f64_e32 v[10:11], v[32:33], v[34:35]
	;; [unrolled: 1-line block ×6, first 2 shown]
	s_waitcnt vmcnt(1)
	v_fmac_f64_e32 v[18:19], v[38:39], v[44:45]
	v_fmac_f64_e32 v[10:11], v[40:41], v[44:45]
	s_waitcnt vmcnt(0)
	v_fmac_f64_e32 v[8:9], v[46:47], v[44:45]
	s_andn2_b64 exec, exec, s[2:3]
	s_cbranch_execnz .LBB28_22
; %bb.23:
	s_or_b64 exec, exec, s[2:3]
.LBB28_24:
	s_or_b64 exec, exec, s[6:7]
.LBB28_25:
	v_mov_b32_dpp v12, v18 row_shr:1 row_mask:0xf bank_mask:0xf
	v_mov_b32_dpp v13, v19 row_shr:1 row_mask:0xf bank_mask:0xf
	v_add_f64 v[12:13], v[18:19], v[12:13]
	v_mov_b32_dpp v16, v10 row_shr:1 row_mask:0xf bank_mask:0xf
	v_mov_b32_dpp v17, v11 row_shr:1 row_mask:0xf bank_mask:0xf
	;; [unrolled: 1-line block ×4, first 2 shown]
	v_add_f64 v[10:11], v[10:11], v[16:17]
	v_add_f64 v[8:9], v[8:9], v[18:19]
	v_mov_b32_dpp v14, v12 row_shr:2 row_mask:0xf bank_mask:0xf
	v_mov_b32_dpp v15, v13 row_shr:2 row_mask:0xf bank_mask:0xf
	v_mov_b32_dpp v16, v10 row_shr:2 row_mask:0xf bank_mask:0xf
	v_mov_b32_dpp v17, v11 row_shr:2 row_mask:0xf bank_mask:0xf
	v_mov_b32_dpp v18, v8 row_shr:2 row_mask:0xf bank_mask:0xf
	v_mov_b32_dpp v19, v9 row_shr:2 row_mask:0xf bank_mask:0xf
	v_add_f64 v[12:13], v[12:13], v[14:15]
	v_add_f64 v[10:11], v[10:11], v[16:17]
	v_add_f64 v[8:9], v[8:9], v[18:19]
	v_mov_b32_dpp v14, v12 row_shr:4 row_mask:0xf bank_mask:0xe
	v_mov_b32_dpp v15, v13 row_shr:4 row_mask:0xf bank_mask:0xe
	v_mov_b32_dpp v16, v10 row_shr:4 row_mask:0xf bank_mask:0xe
	v_mov_b32_dpp v17, v11 row_shr:4 row_mask:0xf bank_mask:0xe
	v_mov_b32_dpp v18, v8 row_shr:4 row_mask:0xf bank_mask:0xe
	v_mov_b32_dpp v19, v9 row_shr:4 row_mask:0xf bank_mask:0xe
	v_add_f64 v[12:13], v[12:13], v[14:15]
	;; [unrolled: 9-line block ×3, first 2 shown]
	v_add_f64 v[10:11], v[10:11], v[16:17]
	v_add_f64 v[8:9], v[8:9], v[18:19]
	v_mov_b32_dpp v14, v12 row_bcast:15 row_mask:0xa bank_mask:0xf
	v_mov_b32_dpp v15, v13 row_bcast:15 row_mask:0xa bank_mask:0xf
	;; [unrolled: 1-line block ×6, first 2 shown]
	v_cmp_eq_u32_e32 vcc, 31, v0
	s_and_b64 exec, exec, vcc
	s_cbranch_execz .LBB28_10
; %bb.26:
	s_load_dwordx2 s[0:1], s[0:1], 0x50
	v_add_f64 v[0:1], v[12:13], v[14:15]
	v_add_f64 v[10:11], v[10:11], v[16:17]
	;; [unrolled: 1-line block ×3, first 2 shown]
	v_lshl_add_u32 v8, v2, 1, v2
	v_cmp_eq_f64_e32 vcc, 0, v[4:5]
	v_mul_f64 v[0:1], v[6:7], v[0:1]
	v_mul_f64 v[2:3], v[6:7], v[10:11]
	;; [unrolled: 1-line block ×3, first 2 shown]
	v_ashrrev_i32_e32 v9, 31, v8
	s_and_saveexec_b64 s[2:3], vcc
	s_xor_b64 s[2:3], exec, s[2:3]
	s_cbranch_execz .LBB28_28
; %bb.27:
	s_waitcnt lgkmcnt(0)
	v_lshl_add_u64 v[4:5], v[8:9], 3, s[0:1]
	global_store_dwordx4 v[4:5], v[0:3], off
	global_store_dwordx2 v[4:5], v[6:7], off offset:16
                                        ; implicit-def: $vgpr8
                                        ; implicit-def: $vgpr4_vgpr5
                                        ; implicit-def: $vgpr0_vgpr1
                                        ; implicit-def: $vgpr6_vgpr7
.LBB28_28:
	s_andn2_saveexec_b64 s[2:3], s[2:3]
	s_cbranch_execz .LBB28_10
; %bb.29:
	s_waitcnt lgkmcnt(0)
	v_lshl_add_u64 v[12:13], v[8:9], 3, s[0:1]
	global_load_dwordx4 v[8:11], v[12:13], off
	global_load_dwordx2 v[14:15], v[12:13], off offset:16
	s_waitcnt vmcnt(1)
	v_fmac_f64_e32 v[0:1], v[4:5], v[8:9]
	v_fmac_f64_e32 v[2:3], v[4:5], v[10:11]
	s_waitcnt vmcnt(0)
	v_fmac_f64_e32 v[6:7], v[4:5], v[14:15]
	global_store_dwordx4 v[12:13], v[0:3], off
	global_store_dwordx2 v[12:13], v[6:7], off offset:16
	s_endpgm
	.section	.rodata,"a",@progbits
	.p2align	6, 0x0
	.amdhsa_kernel _ZN9rocsparseL18bsrxmvn_3x3_kernelILj256ELj32EdlidddEEvT3_20rocsparse_direction_NS_24const_host_device_scalarIT1_EES1_PKS1_PKT2_SA_S7_PKT4_PKT5_S5_PT6_21rocsparse_index_base_b
		.amdhsa_group_segment_fixed_size 0
		.amdhsa_private_segment_fixed_size 0
		.amdhsa_kernarg_size 96
		.amdhsa_user_sgpr_count 2
		.amdhsa_user_sgpr_dispatch_ptr 0
		.amdhsa_user_sgpr_queue_ptr 0
		.amdhsa_user_sgpr_kernarg_segment_ptr 1
		.amdhsa_user_sgpr_dispatch_id 0
		.amdhsa_user_sgpr_kernarg_preload_length 0
		.amdhsa_user_sgpr_kernarg_preload_offset 0
		.amdhsa_user_sgpr_private_segment_size 0
		.amdhsa_uses_dynamic_stack 0
		.amdhsa_enable_private_segment 0
		.amdhsa_system_sgpr_workgroup_id_x 1
		.amdhsa_system_sgpr_workgroup_id_y 0
		.amdhsa_system_sgpr_workgroup_id_z 0
		.amdhsa_system_sgpr_workgroup_info 0
		.amdhsa_system_vgpr_workitem_id 0
		.amdhsa_next_free_vgpr 52
		.amdhsa_next_free_sgpr 20
		.amdhsa_accum_offset 52
		.amdhsa_reserve_vcc 1
		.amdhsa_float_round_mode_32 0
		.amdhsa_float_round_mode_16_64 0
		.amdhsa_float_denorm_mode_32 3
		.amdhsa_float_denorm_mode_16_64 3
		.amdhsa_dx10_clamp 1
		.amdhsa_ieee_mode 1
		.amdhsa_fp16_overflow 0
		.amdhsa_tg_split 0
		.amdhsa_exception_fp_ieee_invalid_op 0
		.amdhsa_exception_fp_denorm_src 0
		.amdhsa_exception_fp_ieee_div_zero 0
		.amdhsa_exception_fp_ieee_overflow 0
		.amdhsa_exception_fp_ieee_underflow 0
		.amdhsa_exception_fp_ieee_inexact 0
		.amdhsa_exception_int_div_zero 0
	.end_amdhsa_kernel
	.section	.text._ZN9rocsparseL18bsrxmvn_3x3_kernelILj256ELj32EdlidddEEvT3_20rocsparse_direction_NS_24const_host_device_scalarIT1_EES1_PKS1_PKT2_SA_S7_PKT4_PKT5_S5_PT6_21rocsparse_index_base_b,"axG",@progbits,_ZN9rocsparseL18bsrxmvn_3x3_kernelILj256ELj32EdlidddEEvT3_20rocsparse_direction_NS_24const_host_device_scalarIT1_EES1_PKS1_PKT2_SA_S7_PKT4_PKT5_S5_PT6_21rocsparse_index_base_b,comdat
.Lfunc_end28:
	.size	_ZN9rocsparseL18bsrxmvn_3x3_kernelILj256ELj32EdlidddEEvT3_20rocsparse_direction_NS_24const_host_device_scalarIT1_EES1_PKS1_PKT2_SA_S7_PKT4_PKT5_S5_PT6_21rocsparse_index_base_b, .Lfunc_end28-_ZN9rocsparseL18bsrxmvn_3x3_kernelILj256ELj32EdlidddEEvT3_20rocsparse_direction_NS_24const_host_device_scalarIT1_EES1_PKS1_PKT2_SA_S7_PKT4_PKT5_S5_PT6_21rocsparse_index_base_b
                                        ; -- End function
	.section	.AMDGPU.csdata,"",@progbits
; Kernel info:
; codeLenInByte = 1528
; NumSgprs: 26
; NumVgprs: 52
; NumAgprs: 0
; TotalNumVgprs: 52
; ScratchSize: 0
; MemoryBound: 1
; FloatMode: 240
; IeeeMode: 1
; LDSByteSize: 0 bytes/workgroup (compile time only)
; SGPRBlocks: 3
; VGPRBlocks: 6
; NumSGPRsForWavesPerEU: 26
; NumVGPRsForWavesPerEU: 52
; AccumOffset: 52
; Occupancy: 8
; WaveLimiterHint : 1
; COMPUTE_PGM_RSRC2:SCRATCH_EN: 0
; COMPUTE_PGM_RSRC2:USER_SGPR: 2
; COMPUTE_PGM_RSRC2:TRAP_HANDLER: 0
; COMPUTE_PGM_RSRC2:TGID_X_EN: 1
; COMPUTE_PGM_RSRC2:TGID_Y_EN: 0
; COMPUTE_PGM_RSRC2:TGID_Z_EN: 0
; COMPUTE_PGM_RSRC2:TIDIG_COMP_CNT: 0
; COMPUTE_PGM_RSRC3_GFX90A:ACCUM_OFFSET: 12
; COMPUTE_PGM_RSRC3_GFX90A:TG_SPLIT: 0
	.section	.text._ZN9rocsparseL18bsrxmvn_3x3_kernelILj256ELj64EdlidddEEvT3_20rocsparse_direction_NS_24const_host_device_scalarIT1_EES1_PKS1_PKT2_SA_S7_PKT4_PKT5_S5_PT6_21rocsparse_index_base_b,"axG",@progbits,_ZN9rocsparseL18bsrxmvn_3x3_kernelILj256ELj64EdlidddEEvT3_20rocsparse_direction_NS_24const_host_device_scalarIT1_EES1_PKS1_PKT2_SA_S7_PKT4_PKT5_S5_PT6_21rocsparse_index_base_b,comdat
	.globl	_ZN9rocsparseL18bsrxmvn_3x3_kernelILj256ELj64EdlidddEEvT3_20rocsparse_direction_NS_24const_host_device_scalarIT1_EES1_PKS1_PKT2_SA_S7_PKT4_PKT5_S5_PT6_21rocsparse_index_base_b ; -- Begin function _ZN9rocsparseL18bsrxmvn_3x3_kernelILj256ELj64EdlidddEEvT3_20rocsparse_direction_NS_24const_host_device_scalarIT1_EES1_PKS1_PKT2_SA_S7_PKT4_PKT5_S5_PT6_21rocsparse_index_base_b
	.p2align	8
	.type	_ZN9rocsparseL18bsrxmvn_3x3_kernelILj256ELj64EdlidddEEvT3_20rocsparse_direction_NS_24const_host_device_scalarIT1_EES1_PKS1_PKT2_SA_S7_PKT4_PKT5_S5_PT6_21rocsparse_index_base_b,@function
_ZN9rocsparseL18bsrxmvn_3x3_kernelILj256ELj64EdlidddEEvT3_20rocsparse_direction_NS_24const_host_device_scalarIT1_EES1_PKS1_PKT2_SA_S7_PKT4_PKT5_S5_PT6_21rocsparse_index_base_b: ; @_ZN9rocsparseL18bsrxmvn_3x3_kernelILj256ELj64EdlidddEEvT3_20rocsparse_direction_NS_24const_host_device_scalarIT1_EES1_PKS1_PKT2_SA_S7_PKT4_PKT5_S5_PT6_21rocsparse_index_base_b
; %bb.0:
	s_load_dwordx2 s[12:13], s[0:1], 0x58
	s_load_dwordx2 s[8:9], s[0:1], 0x8
	;; [unrolled: 1-line block ×3, first 2 shown]
	s_waitcnt lgkmcnt(0)
	s_bitcmp1_b32 s13, 0
	s_cselect_b64 s[10:11], -1, 0
	s_xor_b64 s[6:7], s[10:11], -1
	s_and_b64 vcc, exec, s[10:11]
	v_mov_b64_e32 v[6:7], s[8:9]
	s_cbranch_vccnz .LBB29_2
; %bb.1:
	v_mov_b64_e32 v[2:3], s[8:9]
	flat_load_dwordx2 v[6:7], v[2:3]
.LBB29_2:
	s_andn2_b64 vcc, exec, s[6:7]
	v_mov_b64_e32 v[4:5], s[4:5]
	s_cbranch_vccnz .LBB29_4
; %bb.3:
	v_mov_b64_e32 v[2:3], s[4:5]
	flat_load_dwordx2 v[4:5], v[2:3]
.LBB29_4:
	s_waitcnt vmcnt(0) lgkmcnt(0)
	v_cmp_neq_f64_e32 vcc, 0, v[6:7]
	v_cmp_neq_f64_e64 s[4:5], 1.0, v[4:5]
	s_mov_b64 s[6:7], 0
	s_or_b64 s[4:5], vcc, s[4:5]
	s_and_saveexec_b64 s[8:9], s[4:5]
	s_cbranch_execz .LBB29_10
; %bb.5:
	s_load_dwordx2 s[4:5], s[0:1], 0x18
	s_load_dwordx2 s[14:15], s[0:1], 0x0
	v_lshrrev_b32_e32 v1, 6, v0
	v_lshl_or_b32 v2, s2, 2, v1
	s_mov_b64 s[2:3], 0
	s_waitcnt lgkmcnt(0)
	s_cmp_lg_u64 s[4:5], 0
	s_cbranch_scc0 .LBB29_11
; %bb.6:
	s_load_dword s6, s[0:1], 0x10
                                        ; implicit-def: $vgpr1
	s_waitcnt lgkmcnt(0)
	v_cmp_gt_i32_e32 vcc, s6, v2
	s_and_saveexec_b64 s[6:7], vcc
	s_xor_b64 s[6:7], exec, s[6:7]
	s_cbranch_execz .LBB29_8
; %bb.7:
	v_ashrrev_i32_e32 v3, 31, v2
	v_lshl_add_u64 v[8:9], v[2:3], 2, s[4:5]
	global_load_dword v1, v[8:9], off
	s_mov_b64 s[2:3], exec
	s_waitcnt vmcnt(0)
	v_subrev_u32_e32 v1, s12, v1
.LBB29_8:
	s_or_b64 exec, exec, s[6:7]
	s_mov_b64 s[6:7], s[2:3]
	s_branch .LBB29_12
.LBB29_9:
	v_cmp_gt_i32_e32 vcc, s14, v2
	s_andn2_b64 s[2:3], s[6:7], exec
	s_and_b64 s[4:5], vcc, exec
	s_or_b64 s[6:7], s[2:3], s[4:5]
	s_and_b64 exec, exec, s[6:7]
	s_cbranch_execnz .LBB29_13
.LBB29_10:
	s_endpgm
.LBB29_11:
                                        ; implicit-def: $vgpr1
	s_cbranch_execnz .LBB29_9
.LBB29_12:
	v_mov_b32_e32 v2, v1
	s_and_b64 exec, exec, s[6:7]
	s_cbranch_execz .LBB29_10
.LBB29_13:
	s_load_dwordx8 s[4:11], s[0:1], 0x20
	v_ashrrev_i32_e32 v3, 31, v2
	v_lshlrev_b64 v[8:9], 3, v[2:3]
	v_and_b32_e32 v0, 63, v0
	v_mov_b32_e32 v1, 0
	s_waitcnt lgkmcnt(0)
	v_lshl_add_u64 v[10:11], s[4:5], 0, v[8:9]
	global_load_dwordx2 v[12:13], v[10:11], off
	s_cmp_eq_u64 s[6:7], 0
	v_lshl_add_u64 v[8:9], s[6:7], 0, v[8:9]
	v_lshl_add_u64 v[10:11], v[10:11], 0, 8
	s_cselect_b64 vcc, -1, 0
	v_cndmask_b32_e32 v9, v9, v11, vcc
	v_cndmask_b32_e32 v8, v8, v10, vcc
	global_load_dwordx2 v[8:9], v[8:9], off
	s_load_dwordx2 s[4:5], s[0:1], 0x40
	s_movk_i32 s6, 0x48
	v_mov_b64_e32 v[10:11], s[10:11]
	s_cmp_eq_u32 s15, 1
	s_waitcnt vmcnt(1)
	v_subrev_co_u32_e32 v12, vcc, s12, v12
	s_nop 1
	v_subbrev_co_u32_e32 v13, vcc, 0, v13, vcc
	v_lshl_add_u64 v[12:13], v[12:13], 0, v[0:1]
	v_mad_u64_u32 v[16:17], s[2:3], v12, s6, v[10:11]
	s_waitcnt vmcnt(0)
	v_subrev_co_u32_e32 v14, vcc, s12, v8
	v_mov_b32_e32 v8, v17
	s_nop 0
	v_subbrev_co_u32_e32 v15, vcc, 0, v9, vcc
	v_mad_u64_u32 v[8:9], s[2:3], v13, s6, v[8:9]
	v_mov_b32_e32 v17, v8
	v_cmp_lt_i64_e64 s[2:3], v[12:13], v[14:15]
	s_cbranch_scc1 .LBB29_19
; %bb.14:
	v_mov_b64_e32 v[8:9], 0
	s_mov_b64 s[6:7], 0
	v_mov_b64_e32 v[10:11], v[8:9]
	v_mov_b64_e32 v[18:19], v[8:9]
	s_and_saveexec_b64 s[10:11], s[2:3]
	s_cbranch_execz .LBB29_18
; %bb.15:
	v_mov_b64_e32 v[8:9], 0
	v_lshl_add_u64 v[20:21], v[12:13], 2, s[8:9]
	s_mov_b64 s[14:15], 0
	s_mov_b64 s[16:17], 0x1200
	;; [unrolled: 1-line block ×3, first 2 shown]
	v_mov_b64_e32 v[22:23], v[16:17]
	v_mov_b64_e32 v[24:25], v[12:13]
	;; [unrolled: 1-line block ×4, first 2 shown]
.LBB29_16:                              ; =>This Inner Loop Header: Depth=1
	global_load_dword v1, v[20:21], off
	global_load_dwordx4 v[26:29], v[22:23], off offset:48
	global_load_dwordx4 v[30:33], v[22:23], off offset:16
	global_load_dwordx4 v[34:37], v[22:23], off
	v_lshl_add_u64 v[24:25], v[24:25], 0, 64
	v_cmp_ge_i64_e32 vcc, v[24:25], v[14:15]
	v_lshl_add_u64 v[20:21], v[20:21], 0, s[18:19]
	s_or_b64 s[14:15], vcc, s[14:15]
	s_waitcnt vmcnt(3)
	v_subrev_u32_e32 v1, s12, v1
	v_lshl_add_u32 v38, v1, 1, v1
	v_ashrrev_i32_e32 v39, 31, v38
	s_waitcnt lgkmcnt(0)
	v_lshl_add_u64 v[46:47], v[38:39], 3, s[4:5]
	global_load_dwordx4 v[38:41], v[46:47], off
	global_load_dwordx2 v[48:49], v[46:47], off offset:16
	global_load_dwordx4 v[42:45], v[22:23], off offset:32
	global_load_dwordx2 v[50:51], v[22:23], off offset:64
	v_lshl_add_u64 v[22:23], v[22:23], 0, s[16:17]
	s_waitcnt vmcnt(3)
	v_fmac_f64_e32 v[18:19], v[34:35], v[38:39]
	v_fmac_f64_e32 v[10:11], v[32:33], v[38:39]
	;; [unrolled: 1-line block ×4, first 2 shown]
	s_waitcnt vmcnt(1)
	v_fmac_f64_e32 v[10:11], v[42:43], v[40:41]
	v_fmac_f64_e32 v[8:9], v[28:29], v[40:41]
	;; [unrolled: 1-line block ×4, first 2 shown]
	s_waitcnt vmcnt(0)
	v_fmac_f64_e32 v[8:9], v[50:51], v[48:49]
	s_andn2_b64 exec, exec, s[14:15]
	s_cbranch_execnz .LBB29_16
; %bb.17:
	s_or_b64 exec, exec, s[14:15]
.LBB29_18:
	s_or_b64 exec, exec, s[10:11]
	s_andn2_b64 vcc, exec, s[6:7]
	s_cbranch_vccz .LBB29_20
	s_branch .LBB29_25
.LBB29_19:
                                        ; implicit-def: $vgpr8_vgpr9
                                        ; implicit-def: $vgpr10_vgpr11
                                        ; implicit-def: $vgpr18_vgpr19
.LBB29_20:
	v_mov_b64_e32 v[8:9], 0
	v_mov_b64_e32 v[10:11], v[8:9]
	;; [unrolled: 1-line block ×3, first 2 shown]
	s_and_saveexec_b64 s[6:7], s[2:3]
	s_cbranch_execz .LBB29_24
; %bb.21:
	v_mov_b64_e32 v[8:9], 0
	v_lshl_add_u64 v[20:21], v[12:13], 2, s[8:9]
	s_mov_b64 s[2:3], 0
	s_mov_b64 s[8:9], 0x1200
	s_mov_b64 s[10:11], 0x100
	v_mov_b64_e32 v[10:11], v[8:9]
	v_mov_b64_e32 v[18:19], v[8:9]
.LBB29_22:                              ; =>This Inner Loop Header: Depth=1
	global_load_dword v1, v[20:21], off
	global_load_dwordx4 v[22:25], v[16:17], off offset:32
	global_load_dwordx4 v[26:29], v[16:17], off offset:16
	global_load_dwordx4 v[30:33], v[16:17], off
	v_lshl_add_u64 v[12:13], v[12:13], 0, 64
	v_cmp_ge_i64_e32 vcc, v[12:13], v[14:15]
	v_lshl_add_u64 v[20:21], v[20:21], 0, s[10:11]
	s_or_b64 s[2:3], vcc, s[2:3]
	s_waitcnt vmcnt(3)
	v_subrev_u32_e32 v1, s12, v1
	v_lshl_add_u32 v34, v1, 1, v1
	v_ashrrev_i32_e32 v35, 31, v34
	s_waitcnt lgkmcnt(0)
	v_lshl_add_u64 v[42:43], v[34:35], 3, s[4:5]
	global_load_dwordx4 v[34:37], v[42:43], off
	global_load_dwordx2 v[44:45], v[42:43], off offset:16
	global_load_dwordx4 v[38:41], v[16:17], off offset:48
	global_load_dwordx2 v[46:47], v[16:17], off offset:64
	v_lshl_add_u64 v[16:17], v[16:17], 0, s[8:9]
	s_waitcnt vmcnt(3)
	v_fmac_f64_e32 v[18:19], v[30:31], v[34:35]
	v_fmac_f64_e32 v[10:11], v[32:33], v[34:35]
	;; [unrolled: 1-line block ×6, first 2 shown]
	s_waitcnt vmcnt(1)
	v_fmac_f64_e32 v[18:19], v[38:39], v[44:45]
	v_fmac_f64_e32 v[10:11], v[40:41], v[44:45]
	s_waitcnt vmcnt(0)
	v_fmac_f64_e32 v[8:9], v[46:47], v[44:45]
	s_andn2_b64 exec, exec, s[2:3]
	s_cbranch_execnz .LBB29_22
; %bb.23:
	s_or_b64 exec, exec, s[2:3]
.LBB29_24:
	s_or_b64 exec, exec, s[6:7]
.LBB29_25:
	v_mov_b32_dpp v12, v18 row_shr:1 row_mask:0xf bank_mask:0xf
	v_mov_b32_dpp v13, v19 row_shr:1 row_mask:0xf bank_mask:0xf
	v_add_f64 v[12:13], v[18:19], v[12:13]
	v_mov_b32_dpp v16, v10 row_shr:1 row_mask:0xf bank_mask:0xf
	v_mov_b32_dpp v17, v11 row_shr:1 row_mask:0xf bank_mask:0xf
	;; [unrolled: 1-line block ×4, first 2 shown]
	v_add_f64 v[10:11], v[10:11], v[16:17]
	v_add_f64 v[8:9], v[8:9], v[18:19]
	v_mov_b32_dpp v14, v12 row_shr:2 row_mask:0xf bank_mask:0xf
	v_mov_b32_dpp v15, v13 row_shr:2 row_mask:0xf bank_mask:0xf
	v_mov_b32_dpp v16, v10 row_shr:2 row_mask:0xf bank_mask:0xf
	v_mov_b32_dpp v17, v11 row_shr:2 row_mask:0xf bank_mask:0xf
	v_mov_b32_dpp v18, v8 row_shr:2 row_mask:0xf bank_mask:0xf
	v_mov_b32_dpp v19, v9 row_shr:2 row_mask:0xf bank_mask:0xf
	v_add_f64 v[12:13], v[12:13], v[14:15]
	v_add_f64 v[10:11], v[10:11], v[16:17]
	v_add_f64 v[8:9], v[8:9], v[18:19]
	v_mov_b32_dpp v14, v12 row_shr:4 row_mask:0xf bank_mask:0xe
	v_mov_b32_dpp v15, v13 row_shr:4 row_mask:0xf bank_mask:0xe
	v_mov_b32_dpp v16, v10 row_shr:4 row_mask:0xf bank_mask:0xe
	v_mov_b32_dpp v17, v11 row_shr:4 row_mask:0xf bank_mask:0xe
	v_mov_b32_dpp v18, v8 row_shr:4 row_mask:0xf bank_mask:0xe
	v_mov_b32_dpp v19, v9 row_shr:4 row_mask:0xf bank_mask:0xe
	v_add_f64 v[12:13], v[12:13], v[14:15]
	;; [unrolled: 9-line block ×3, first 2 shown]
	v_add_f64 v[10:11], v[10:11], v[16:17]
	v_add_f64 v[8:9], v[8:9], v[18:19]
	v_mov_b32_dpp v14, v12 row_bcast:15 row_mask:0xa bank_mask:0xf
	v_mov_b32_dpp v15, v13 row_bcast:15 row_mask:0xa bank_mask:0xf
	;; [unrolled: 1-line block ×6, first 2 shown]
	v_add_f64 v[12:13], v[12:13], v[14:15]
	v_add_f64 v[10:11], v[10:11], v[16:17]
	;; [unrolled: 1-line block ×3, first 2 shown]
	v_mov_b32_dpp v14, v12 row_bcast:31 row_mask:0xc bank_mask:0xf
	v_mov_b32_dpp v15, v13 row_bcast:31 row_mask:0xc bank_mask:0xf
	;; [unrolled: 1-line block ×6, first 2 shown]
	v_cmp_eq_u32_e32 vcc, 63, v0
	s_and_b64 exec, exec, vcc
	s_cbranch_execz .LBB29_10
; %bb.26:
	s_load_dwordx2 s[0:1], s[0:1], 0x50
	v_add_f64 v[0:1], v[12:13], v[14:15]
	v_add_f64 v[10:11], v[10:11], v[16:17]
	;; [unrolled: 1-line block ×3, first 2 shown]
	v_lshl_add_u32 v8, v2, 1, v2
	v_cmp_eq_f64_e32 vcc, 0, v[4:5]
	v_mul_f64 v[0:1], v[6:7], v[0:1]
	v_mul_f64 v[2:3], v[6:7], v[10:11]
	;; [unrolled: 1-line block ×3, first 2 shown]
	v_ashrrev_i32_e32 v9, 31, v8
	s_and_saveexec_b64 s[2:3], vcc
	s_xor_b64 s[2:3], exec, s[2:3]
	s_cbranch_execz .LBB29_28
; %bb.27:
	s_waitcnt lgkmcnt(0)
	v_lshl_add_u64 v[4:5], v[8:9], 3, s[0:1]
	global_store_dwordx4 v[4:5], v[0:3], off
	global_store_dwordx2 v[4:5], v[6:7], off offset:16
                                        ; implicit-def: $vgpr8
                                        ; implicit-def: $vgpr4_vgpr5
                                        ; implicit-def: $vgpr0_vgpr1
                                        ; implicit-def: $vgpr6_vgpr7
.LBB29_28:
	s_andn2_saveexec_b64 s[2:3], s[2:3]
	s_cbranch_execz .LBB29_10
; %bb.29:
	s_waitcnt lgkmcnt(0)
	v_lshl_add_u64 v[12:13], v[8:9], 3, s[0:1]
	global_load_dwordx4 v[8:11], v[12:13], off
	global_load_dwordx2 v[14:15], v[12:13], off offset:16
	s_waitcnt vmcnt(1)
	v_fmac_f64_e32 v[0:1], v[4:5], v[8:9]
	v_fmac_f64_e32 v[2:3], v[4:5], v[10:11]
	s_waitcnt vmcnt(0)
	v_fmac_f64_e32 v[6:7], v[4:5], v[14:15]
	global_store_dwordx4 v[12:13], v[0:3], off
	global_store_dwordx2 v[12:13], v[6:7], off offset:16
	s_endpgm
	.section	.rodata,"a",@progbits
	.p2align	6, 0x0
	.amdhsa_kernel _ZN9rocsparseL18bsrxmvn_3x3_kernelILj256ELj64EdlidddEEvT3_20rocsparse_direction_NS_24const_host_device_scalarIT1_EES1_PKS1_PKT2_SA_S7_PKT4_PKT5_S5_PT6_21rocsparse_index_base_b
		.amdhsa_group_segment_fixed_size 0
		.amdhsa_private_segment_fixed_size 0
		.amdhsa_kernarg_size 96
		.amdhsa_user_sgpr_count 2
		.amdhsa_user_sgpr_dispatch_ptr 0
		.amdhsa_user_sgpr_queue_ptr 0
		.amdhsa_user_sgpr_kernarg_segment_ptr 1
		.amdhsa_user_sgpr_dispatch_id 0
		.amdhsa_user_sgpr_kernarg_preload_length 0
		.amdhsa_user_sgpr_kernarg_preload_offset 0
		.amdhsa_user_sgpr_private_segment_size 0
		.amdhsa_uses_dynamic_stack 0
		.amdhsa_enable_private_segment 0
		.amdhsa_system_sgpr_workgroup_id_x 1
		.amdhsa_system_sgpr_workgroup_id_y 0
		.amdhsa_system_sgpr_workgroup_id_z 0
		.amdhsa_system_sgpr_workgroup_info 0
		.amdhsa_system_vgpr_workitem_id 0
		.amdhsa_next_free_vgpr 52
		.amdhsa_next_free_sgpr 20
		.amdhsa_accum_offset 52
		.amdhsa_reserve_vcc 1
		.amdhsa_float_round_mode_32 0
		.amdhsa_float_round_mode_16_64 0
		.amdhsa_float_denorm_mode_32 3
		.amdhsa_float_denorm_mode_16_64 3
		.amdhsa_dx10_clamp 1
		.amdhsa_ieee_mode 1
		.amdhsa_fp16_overflow 0
		.amdhsa_tg_split 0
		.amdhsa_exception_fp_ieee_invalid_op 0
		.amdhsa_exception_fp_denorm_src 0
		.amdhsa_exception_fp_ieee_div_zero 0
		.amdhsa_exception_fp_ieee_overflow 0
		.amdhsa_exception_fp_ieee_underflow 0
		.amdhsa_exception_fp_ieee_inexact 0
		.amdhsa_exception_int_div_zero 0
	.end_amdhsa_kernel
	.section	.text._ZN9rocsparseL18bsrxmvn_3x3_kernelILj256ELj64EdlidddEEvT3_20rocsparse_direction_NS_24const_host_device_scalarIT1_EES1_PKS1_PKT2_SA_S7_PKT4_PKT5_S5_PT6_21rocsparse_index_base_b,"axG",@progbits,_ZN9rocsparseL18bsrxmvn_3x3_kernelILj256ELj64EdlidddEEvT3_20rocsparse_direction_NS_24const_host_device_scalarIT1_EES1_PKS1_PKT2_SA_S7_PKT4_PKT5_S5_PT6_21rocsparse_index_base_b,comdat
.Lfunc_end29:
	.size	_ZN9rocsparseL18bsrxmvn_3x3_kernelILj256ELj64EdlidddEEvT3_20rocsparse_direction_NS_24const_host_device_scalarIT1_EES1_PKS1_PKT2_SA_S7_PKT4_PKT5_S5_PT6_21rocsparse_index_base_b, .Lfunc_end29-_ZN9rocsparseL18bsrxmvn_3x3_kernelILj256ELj64EdlidddEEvT3_20rocsparse_direction_NS_24const_host_device_scalarIT1_EES1_PKS1_PKT2_SA_S7_PKT4_PKT5_S5_PT6_21rocsparse_index_base_b
                                        ; -- End function
	.section	.AMDGPU.csdata,"",@progbits
; Kernel info:
; codeLenInByte = 1600
; NumSgprs: 26
; NumVgprs: 52
; NumAgprs: 0
; TotalNumVgprs: 52
; ScratchSize: 0
; MemoryBound: 1
; FloatMode: 240
; IeeeMode: 1
; LDSByteSize: 0 bytes/workgroup (compile time only)
; SGPRBlocks: 3
; VGPRBlocks: 6
; NumSGPRsForWavesPerEU: 26
; NumVGPRsForWavesPerEU: 52
; AccumOffset: 52
; Occupancy: 8
; WaveLimiterHint : 1
; COMPUTE_PGM_RSRC2:SCRATCH_EN: 0
; COMPUTE_PGM_RSRC2:USER_SGPR: 2
; COMPUTE_PGM_RSRC2:TRAP_HANDLER: 0
; COMPUTE_PGM_RSRC2:TGID_X_EN: 1
; COMPUTE_PGM_RSRC2:TGID_Y_EN: 0
; COMPUTE_PGM_RSRC2:TGID_Z_EN: 0
; COMPUTE_PGM_RSRC2:TIDIG_COMP_CNT: 0
; COMPUTE_PGM_RSRC3_GFX90A:ACCUM_OFFSET: 12
; COMPUTE_PGM_RSRC3_GFX90A:TG_SPLIT: 0
	.section	.text._ZN9rocsparseL18bsrxmvn_3x3_kernelILj256ELj4E21rocsparse_complex_numIfEliS2_S2_S2_EEvT3_20rocsparse_direction_NS_24const_host_device_scalarIT1_EES3_PKS3_PKT2_SC_S9_PKT4_PKT5_S7_PT6_21rocsparse_index_base_b,"axG",@progbits,_ZN9rocsparseL18bsrxmvn_3x3_kernelILj256ELj4E21rocsparse_complex_numIfEliS2_S2_S2_EEvT3_20rocsparse_direction_NS_24const_host_device_scalarIT1_EES3_PKS3_PKT2_SC_S9_PKT4_PKT5_S7_PT6_21rocsparse_index_base_b,comdat
	.globl	_ZN9rocsparseL18bsrxmvn_3x3_kernelILj256ELj4E21rocsparse_complex_numIfEliS2_S2_S2_EEvT3_20rocsparse_direction_NS_24const_host_device_scalarIT1_EES3_PKS3_PKT2_SC_S9_PKT4_PKT5_S7_PT6_21rocsparse_index_base_b ; -- Begin function _ZN9rocsparseL18bsrxmvn_3x3_kernelILj256ELj4E21rocsparse_complex_numIfEliS2_S2_S2_EEvT3_20rocsparse_direction_NS_24const_host_device_scalarIT1_EES3_PKS3_PKT2_SC_S9_PKT4_PKT5_S7_PT6_21rocsparse_index_base_b
	.p2align	8
	.type	_ZN9rocsparseL18bsrxmvn_3x3_kernelILj256ELj4E21rocsparse_complex_numIfEliS2_S2_S2_EEvT3_20rocsparse_direction_NS_24const_host_device_scalarIT1_EES3_PKS3_PKT2_SC_S9_PKT4_PKT5_S7_PT6_21rocsparse_index_base_b,@function
_ZN9rocsparseL18bsrxmvn_3x3_kernelILj256ELj4E21rocsparse_complex_numIfEliS2_S2_S2_EEvT3_20rocsparse_direction_NS_24const_host_device_scalarIT1_EES3_PKS3_PKT2_SC_S9_PKT4_PKT5_S7_PT6_21rocsparse_index_base_b: ; @_ZN9rocsparseL18bsrxmvn_3x3_kernelILj256ELj4E21rocsparse_complex_numIfEliS2_S2_S2_EEvT3_20rocsparse_direction_NS_24const_host_device_scalarIT1_EES3_PKS3_PKT2_SC_S9_PKT4_PKT5_S7_PT6_21rocsparse_index_base_b
; %bb.0:
	s_load_dwordx2 s[12:13], s[0:1], 0x58
	s_load_dwordx2 s[8:9], s[0:1], 0x8
	;; [unrolled: 1-line block ×3, first 2 shown]
	s_waitcnt lgkmcnt(0)
	s_bitcmp1_b32 s13, 0
	s_cselect_b64 s[4:5], -1, 0
	s_xor_b64 s[10:11], s[4:5], -1
	s_and_b64 vcc, exec, s[4:5]
	v_mov_b32_e32 v2, s8
	s_cbranch_vccnz .LBB30_2
; %bb.1:
	v_mov_b64_e32 v[2:3], s[8:9]
	flat_load_dword v2, v[2:3]
.LBB30_2:
	v_cndmask_b32_e64 v1, 0, 1, s[10:11]
	v_cmp_ne_u32_e64 s[4:5], 1, v1
	s_andn2_b64 vcc, exec, s[10:11]
	v_mov_b32_e32 v3, s9
	s_cbranch_vccz .LBB30_15
; %bb.3:
	s_and_b64 vcc, exec, s[4:5]
	v_mov_b32_e32 v4, s6
	s_cbranch_vccz .LBB30_16
.LBB30_4:
	s_and_b64 vcc, exec, s[4:5]
	v_mov_b32_e32 v5, s7
	s_cbranch_vccnz .LBB30_6
.LBB30_5:
	v_mov_b64_e32 v[6:7], s[6:7]
	flat_load_dword v5, v[6:7] offset:4
.LBB30_6:
	s_waitcnt vmcnt(0) lgkmcnt(0)
	v_and_b32_e32 v1, 0x7fffffff, v2
	v_cmp_eq_u32_e32 vcc, 0, v1
	v_cmp_eq_f32_e64 s[4:5], 0, v3
	s_and_b64 s[8:9], vcc, s[4:5]
	s_mov_b64 s[4:5], -1
	s_and_saveexec_b64 s[6:7], s[8:9]
; %bb.7:
	v_and_b32_e32 v1, 0x7fffffff, v5
	v_cmp_neq_f32_e32 vcc, 1.0, v4
	v_cmp_ne_u32_e64 s[4:5], 0, v1
	s_or_b64 s[4:5], vcc, s[4:5]
	s_orn2_b64 s[4:5], s[4:5], exec
; %bb.8:
	s_or_b64 exec, exec, s[6:7]
	s_and_saveexec_b64 s[6:7], s[4:5]
	s_cbranch_execz .LBB30_14
; %bb.9:
	s_load_dwordx2 s[4:5], s[0:1], 0x18
	s_load_dwordx2 s[14:15], s[0:1], 0x0
	v_lshrrev_b32_e32 v1, 2, v0
	v_lshl_or_b32 v6, s2, 6, v1
	s_mov_b64 s[2:3], 0
	s_waitcnt lgkmcnt(0)
	s_cmp_lg_u64 s[4:5], 0
	s_cbranch_scc0 .LBB30_17
; %bb.10:
	s_load_dword s6, s[0:1], 0x10
                                        ; implicit-def: $vgpr1
	s_waitcnt lgkmcnt(0)
	v_cmp_gt_i32_e32 vcc, s6, v6
	s_and_saveexec_b64 s[6:7], vcc
	s_xor_b64 s[6:7], exec, s[6:7]
	s_cbranch_execz .LBB30_12
; %bb.11:
	v_ashrrev_i32_e32 v7, 31, v6
	v_lshl_add_u64 v[8:9], v[6:7], 2, s[4:5]
	global_load_dword v1, v[8:9], off
	s_mov_b64 s[2:3], exec
	s_waitcnt vmcnt(0)
	v_subrev_u32_e32 v1, s12, v1
.LBB30_12:
	s_or_b64 exec, exec, s[6:7]
	s_branch .LBB30_18
.LBB30_13:
	v_cmp_gt_i32_e32 vcc, s14, v6
	s_andn2_b64 s[2:3], s[2:3], exec
	s_and_b64 s[4:5], vcc, exec
	s_or_b64 s[2:3], s[2:3], s[4:5]
	s_and_b64 exec, exec, s[2:3]
	s_cbranch_execnz .LBB30_19
.LBB30_14:
	s_endpgm
.LBB30_15:
	v_mov_b64_e32 v[4:5], s[8:9]
	flat_load_dword v3, v[4:5] offset:4
	s_and_b64 vcc, exec, s[4:5]
	v_mov_b32_e32 v4, s6
	s_cbranch_vccnz .LBB30_4
.LBB30_16:
	v_mov_b64_e32 v[4:5], s[6:7]
	flat_load_dword v4, v[4:5]
	s_and_b64 vcc, exec, s[4:5]
	v_mov_b32_e32 v5, s7
	s_cbranch_vccz .LBB30_5
	s_branch .LBB30_6
.LBB30_17:
                                        ; implicit-def: $vgpr1
	s_cbranch_execnz .LBB30_13
.LBB30_18:
	v_mov_b32_e32 v6, v1
	s_and_b64 exec, exec, s[2:3]
	s_cbranch_execz .LBB30_14
.LBB30_19:
	s_load_dwordx8 s[4:11], s[0:1], 0x20
	v_ashrrev_i32_e32 v7, 31, v6
	v_lshlrev_b64 v[8:9], 3, v[6:7]
	v_mov_b32_e32 v15, 0
	v_and_b32_e32 v0, 3, v0
	s_waitcnt lgkmcnt(0)
	v_lshl_add_u64 v[10:11], s[4:5], 0, v[8:9]
	global_load_dwordx2 v[12:13], v[10:11], off
	s_cmp_eq_u64 s[6:7], 0
	v_lshl_add_u64 v[8:9], s[6:7], 0, v[8:9]
	v_lshl_add_u64 v[10:11], v[10:11], 0, 8
	s_cselect_b64 vcc, -1, 0
	v_cndmask_b32_e32 v9, v9, v11, vcc
	v_cndmask_b32_e32 v8, v8, v10, vcc
	global_load_dwordx2 v[10:11], v[8:9], off
	v_mov_b32_e32 v1, v15
	s_load_dwordx2 s[4:5], s[0:1], 0x40
	s_movk_i32 s6, 0x48
	v_mov_b64_e32 v[16:17], s[10:11]
	s_cmp_eq_u32 s15, 1
	s_waitcnt vmcnt(1)
	v_subrev_co_u32_e32 v8, vcc, s12, v12
	s_nop 1
	v_subbrev_co_u32_e32 v9, vcc, 0, v13, vcc
	v_lshl_add_u64 v[8:9], v[8:9], 0, v[0:1]
	v_mad_u64_u32 v[12:13], s[2:3], v8, s6, v[16:17]
	s_waitcnt vmcnt(0)
	v_subrev_co_u32_e32 v10, vcc, s12, v10
	v_mov_b32_e32 v14, v13
	s_nop 0
	v_subbrev_co_u32_e32 v11, vcc, 0, v11, vcc
	v_mad_u64_u32 v[16:17], s[2:3], v9, s6, v[14:15]
	v_mov_b32_e32 v13, v16
	v_cmp_lt_i64_e64 s[2:3], v[8:9], v[10:11]
	s_cbranch_scc1 .LBB30_25
; %bb.20:
	v_mov_b32_e32 v14, 0
	v_mov_b32_e32 v19, 0
	;; [unrolled: 1-line block ×5, first 2 shown]
	s_and_saveexec_b64 s[6:7], s[2:3]
	s_cbranch_execz .LBB30_24
; %bb.21:
	v_mov_b32_e32 v16, 0
	v_lshl_add_u64 v[20:21], v[8:9], 2, s[8:9]
	s_mov_b64 s[10:11], 0
	s_mov_b64 s[14:15], 0x120
	v_mov_b64_e32 v[22:23], v[8:9]
	v_mov_b64_e32 v[24:25], v[12:13]
	v_mov_b32_e32 v17, v16
	v_mov_b32_e32 v18, v16
	v_mov_b32_e32 v19, v16
	v_mov_b32_e32 v14, v16
	v_mov_b32_e32 v15, v16
.LBB30_22:                              ; =>This Inner Loop Header: Depth=1
	global_load_dword v1, v[20:21], off
	global_load_dwordx4 v[26:29], v[24:25], off offset:48
	global_load_dwordx4 v[30:33], v[24:25], off offset:16
	global_load_dwordx4 v[34:37], v[24:25], off
	v_lshl_add_u64 v[22:23], v[22:23], 0, 4
	v_cmp_ge_i64_e32 vcc, v[22:23], v[10:11]
	v_lshl_add_u64 v[20:21], v[20:21], 0, 16
	s_or_b64 s[10:11], vcc, s[10:11]
	s_waitcnt vmcnt(3)
	v_subrev_u32_e32 v1, s12, v1
	v_lshl_add_u32 v38, v1, 1, v1
	v_ashrrev_i32_e32 v39, 31, v38
	s_waitcnt lgkmcnt(0)
	v_lshl_add_u64 v[46:47], v[38:39], 3, s[4:5]
	global_load_dwordx2 v[48:49], v[46:47], off offset:16
	global_load_dwordx4 v[38:41], v[46:47], off
	global_load_dwordx4 v[42:45], v[24:25], off offset:32
	global_load_dwordx2 v[50:51], v[24:25], off offset:64
	s_waitcnt vmcnt(5)
	v_xor_b32_e32 v52, 0x80000000, v33
	v_mov_b32_e32 v53, v32
	s_waitcnt vmcnt(4)
	v_xor_b32_e32 v46, 0x80000000, v37
	v_mov_b32_e32 v47, v36
	v_xor_b32_e32 v56, 0x80000000, v29
	v_mov_b32_e32 v57, v28
	v_lshl_add_u64 v[24:25], v[24:25], 0, s[14:15]
	s_waitcnt vmcnt(2)
	v_pk_fma_f32 v[14:15], v[34:35], v[38:39], v[14:15] op_sel_hi:[1,0,1]
	v_pk_fma_f32 v[16:17], v[32:33], v[38:39], v[16:17] op_sel_hi:[1,0,1]
	v_pk_fma_f32 v[18:19], v[26:27], v[38:39], v[18:19] op_sel_hi:[1,0,1]
	v_pk_fma_f32 v[14:15], v[34:35], v[38:39], v[14:15] op_sel:[1,1,0] op_sel_hi:[0,1,1] neg_lo:[1,0,0]
	v_pk_fma_f32 v[16:17], v[52:53], v[38:39], v[16:17] op_sel:[0,1,0]
	v_pk_fma_f32 v[18:19], v[26:27], v[38:39], v[18:19] op_sel:[1,1,0] op_sel_hi:[0,1,1] neg_lo:[1,0,0]
	v_mov_b32_e32 v58, v41
	v_pk_fma_f32 v[14:15], v[36:37], v[40:41], v[14:15] op_sel_hi:[1,0,1]
	s_waitcnt vmcnt(1)
	v_pk_fma_f32 v[16:17], v[42:43], v[40:41], v[16:17] op_sel_hi:[1,0,1]
	v_pk_fma_f32 v[18:19], v[28:29], v[40:41], v[18:19] op_sel_hi:[1,0,1]
	;; [unrolled: 1-line block ×3, first 2 shown]
	v_pk_fma_f32 v[16:17], v[42:43], v[58:59], v[16:17] op_sel:[1,0,0] op_sel_hi:[0,0,1] neg_lo:[1,0,0]
	v_pk_fma_f32 v[18:19], v[56:57], v[58:59], v[18:19] op_sel_hi:[1,0,1]
	v_xor_b32_e32 v54, 0x80000000, v45
	v_mov_b32_e32 v55, v44
	v_pk_fma_f32 v[14:15], v[30:31], v[48:49], v[14:15] op_sel_hi:[1,0,1]
	v_pk_fma_f32 v[16:17], v[44:45], v[48:49], v[16:17] op_sel_hi:[1,0,1]
	s_waitcnt vmcnt(0)
	v_pk_fma_f32 v[18:19], v[50:51], v[48:49], v[18:19] op_sel_hi:[1,0,1]
	v_pk_fma_f32 v[14:15], v[30:31], v[48:49], v[14:15] op_sel:[1,1,0] op_sel_hi:[0,1,1] neg_lo:[1,0,0]
	v_pk_fma_f32 v[16:17], v[54:55], v[48:49], v[16:17] op_sel:[0,1,0]
	v_pk_fma_f32 v[18:19], v[50:51], v[48:49], v[18:19] op_sel:[1,1,0] op_sel_hi:[0,1,1] neg_lo:[1,0,0]
	s_andn2_b64 exec, exec, s[10:11]
	s_cbranch_execnz .LBB30_22
; %bb.23:
	s_or_b64 exec, exec, s[10:11]
.LBB30_24:
	s_or_b64 exec, exec, s[6:7]
	s_cbranch_execz .LBB30_26
	s_branch .LBB30_31
.LBB30_25:
                                        ; implicit-def: $vgpr15
                                        ; implicit-def: $vgpr19
                                        ; implicit-def: $vgpr17
.LBB30_26:
	v_mov_b32_e32 v15, 0
	v_mov_b32_e32 v14, v15
	;; [unrolled: 1-line block ×6, first 2 shown]
	s_and_saveexec_b64 s[6:7], s[2:3]
	s_cbranch_execz .LBB30_30
; %bb.27:
	v_mov_b32_e32 v16, 0
	v_lshl_add_u64 v[20:21], v[8:9], 2, s[8:9]
	s_mov_b64 s[2:3], 0
	s_mov_b64 s[8:9], 0x120
	v_mov_b32_e32 v17, v16
	v_mov_b32_e32 v18, v16
	v_mov_b32_e32 v19, v16
	v_mov_b32_e32 v14, v16
	v_mov_b32_e32 v15, v16
.LBB30_28:                              ; =>This Inner Loop Header: Depth=1
	global_load_dword v1, v[20:21], off
	global_load_dwordx4 v[22:25], v[12:13], off offset:48
	global_load_dwordx4 v[26:29], v[12:13], off offset:16
	global_load_dwordx4 v[30:33], v[12:13], off
	v_lshl_add_u64 v[8:9], v[8:9], 0, 4
	v_cmp_ge_i64_e32 vcc, v[8:9], v[10:11]
	v_lshl_add_u64 v[20:21], v[20:21], 0, 16
	s_or_b64 s[2:3], vcc, s[2:3]
	s_waitcnt vmcnt(3)
	v_subrev_u32_e32 v1, s12, v1
	v_lshl_add_u32 v34, v1, 1, v1
	v_ashrrev_i32_e32 v35, 31, v34
	s_waitcnt lgkmcnt(0)
	v_lshl_add_u64 v[42:43], v[34:35], 3, s[4:5]
	global_load_dwordx2 v[44:45], v[42:43], off offset:16
	global_load_dwordx4 v[34:37], v[42:43], off
	global_load_dwordx4 v[38:41], v[12:13], off offset:32
	global_load_dwordx2 v[46:47], v[12:13], off offset:64
	s_waitcnt vmcnt(4)
	v_xor_b32_e32 v48, 0x80000000, v33
	v_mov_b32_e32 v49, v32
	v_xor_b32_e32 v42, 0x80000000, v29
	v_mov_b32_e32 v43, v28
	;; [unrolled: 2-line block ×3, first 2 shown]
	v_lshl_add_u64 v[12:13], v[12:13], 0, s[8:9]
	s_waitcnt vmcnt(2)
	v_pk_fma_f32 v[14:15], v[30:31], v[34:35], v[14:15] op_sel_hi:[1,0,1]
	v_pk_fma_f32 v[16:17], v[32:33], v[34:35], v[16:17] op_sel_hi:[1,0,1]
	;; [unrolled: 1-line block ×3, first 2 shown]
	v_pk_fma_f32 v[14:15], v[30:31], v[34:35], v[14:15] op_sel:[1,1,0] op_sel_hi:[0,1,1] neg_lo:[1,0,0]
	v_pk_fma_f32 v[16:17], v[48:49], v[34:35], v[16:17] op_sel:[0,1,0]
	v_pk_fma_f32 v[18:19], v[26:27], v[34:35], v[18:19] op_sel:[1,1,0] op_sel_hi:[0,1,1] neg_lo:[1,0,0]
	s_waitcnt vmcnt(1)
	v_xor_b32_e32 v52, 0x80000000, v41
	v_mov_b32_e32 v53, v40
	v_mov_b32_e32 v54, v37
	v_pk_fma_f32 v[14:15], v[28:29], v[36:37], v[14:15] op_sel_hi:[1,0,1]
	v_pk_fma_f32 v[16:17], v[38:39], v[36:37], v[16:17] op_sel_hi:[1,0,1]
	v_pk_fma_f32 v[18:19], v[40:41], v[36:37], v[18:19] op_sel_hi:[1,0,1]
	v_pk_fma_f32 v[14:15], v[42:43], v[54:55], v[14:15] op_sel_hi:[1,0,1]
	v_pk_fma_f32 v[16:17], v[38:39], v[54:55], v[16:17] op_sel:[1,0,0] op_sel_hi:[0,0,1] neg_lo:[1,0,0]
	v_pk_fma_f32 v[18:19], v[52:53], v[54:55], v[18:19] op_sel_hi:[1,0,1]
	v_pk_fma_f32 v[14:15], v[22:23], v[44:45], v[14:15] op_sel_hi:[1,0,1]
	;; [unrolled: 1-line block ×3, first 2 shown]
	s_waitcnt vmcnt(0)
	v_pk_fma_f32 v[18:19], v[46:47], v[44:45], v[18:19] op_sel_hi:[1,0,1]
	v_pk_fma_f32 v[14:15], v[22:23], v[44:45], v[14:15] op_sel:[1,1,0] op_sel_hi:[0,1,1] neg_lo:[1,0,0]
	v_pk_fma_f32 v[16:17], v[50:51], v[44:45], v[16:17] op_sel:[0,1,0]
	v_pk_fma_f32 v[18:19], v[46:47], v[44:45], v[18:19] op_sel:[1,1,0] op_sel_hi:[0,1,1] neg_lo:[1,0,0]
	s_andn2_b64 exec, exec, s[2:3]
	s_cbranch_execnz .LBB30_28
; %bb.29:
	s_or_b64 exec, exec, s[2:3]
.LBB30_30:
	s_or_b64 exec, exec, s[6:7]
.LBB30_31:
	v_mov_b32_dpp v12, v17 row_shr:1 row_mask:0xf bank_mask:0xf
	v_mov_b32_dpp v8, v15 row_shr:1 row_mask:0xf bank_mask:0xf
	v_add_f32_e32 v13, v17, v12
	v_mov_b32_dpp v12, v18 row_shr:1 row_mask:0xf bank_mask:0xf
	v_mov_b32_dpp v1, v14 row_shr:1 row_mask:0xf bank_mask:0xf
	v_add_f32_e32 v8, v15, v8
	v_mov_b32_dpp v10, v16 row_shr:1 row_mask:0xf bank_mask:0xf
	v_add_f32_e32 v15, v18, v12
	;; [unrolled: 2-line block ×3, first 2 shown]
	v_add_f32_e32 v10, v16, v10
	v_add_f32_e32 v18, v19, v12
	v_mov_b32_dpp v7, v1 row_shr:2 row_mask:0xf bank_mask:0xf
	v_mov_b32_dpp v9, v8 row_shr:2 row_mask:0xf bank_mask:0xf
	v_mov_b32_dpp v11, v10 row_shr:2 row_mask:0xf bank_mask:0xf
	v_mov_b32_dpp v14, v13 row_shr:2 row_mask:0xf bank_mask:0xf
	v_mov_b32_dpp v17, v15 row_shr:2 row_mask:0xf bank_mask:0xf
	v_mov_b32_dpp v19, v18 row_shr:2 row_mask:0xf bank_mask:0xf
	v_cmp_eq_u32_e32 vcc, 3, v0
	s_and_b64 exec, exec, vcc
	s_cbranch_execz .LBB30_14
; %bb.32:
	s_load_dwordx2 s[2:3], s[0:1], 0x50
	v_add_f32_e32 v12, v1, v7
	v_and_b32_e32 v1, 0x7fffffff, v4
	v_cmp_eq_u32_e32 vcc, 0, v1
	v_cmp_eq_f32_e64 s[0:1], 0, v5
	v_lshl_add_u32 v6, v6, 1, v6
	v_add_f32_e32 v16, v8, v9
	v_add_f32_e32 v10, v10, v11
	;; [unrolled: 1-line block ×5, first 2 shown]
	s_and_b64 s[0:1], vcc, s[0:1]
	v_ashrrev_i32_e32 v7, 31, v6
	s_waitcnt lgkmcnt(0)
	s_and_saveexec_b64 s[4:5], s[0:1]
	s_xor_b64 s[0:1], exec, s[4:5]
	s_cbranch_execz .LBB30_34
; %bb.33:
	v_xor_b32_e32 v18, 0x80000000, v3
	v_mov_b32_e32 v19, v2
	v_lshl_add_u64 v[20:21], v[6:7], 3, s[2:3]
	v_pk_mul_f32 v[4:5], v[16:17], v[18:19] op_sel_hi:[0,1]
	v_pk_mul_f32 v[6:7], v[14:15], v[18:19] op_sel_hi:[0,1]
	v_pk_fma_f32 v[4:5], v[2:3], v[12:13], v[4:5] op_sel_hi:[1,0,1]
	v_pk_fma_f32 v[6:7], v[2:3], v[10:11], v[6:7] op_sel_hi:[1,0,1]
	global_store_dwordx4 v[20:21], v[4:7], off
                                        ; implicit-def: $vgpr12
                                        ; implicit-def: $vgpr16
                                        ; implicit-def: $vgpr10
                                        ; implicit-def: $vgpr14
                                        ; implicit-def: $vgpr6
	s_nop 1
	v_pk_mul_f32 v[4:5], v[8:9], v[18:19] op_sel_hi:[0,1]
	v_pk_fma_f32 v[0:1], v[2:3], v[0:1], v[4:5] op_sel_hi:[1,0,1]
	global_store_dwordx2 v[20:21], v[0:1], off offset:16
                                        ; implicit-def: $vgpr3
                                        ; implicit-def: $vgpr4
                                        ; implicit-def: $vgpr0
                                        ; implicit-def: $vgpr8
.LBB30_34:
	s_andn2_saveexec_b64 s[0:1], s[0:1]
	s_cbranch_execz .LBB30_14
; %bb.35:
	v_lshl_add_u64 v[6:7], v[6:7], 3, s[2:3]
	global_load_dwordx4 v[18:21], v[6:7], off
	global_load_dwordx2 v[22:23], v[6:7], off offset:16
	v_xor_b32_e32 v24, 0x80000000, v3
	v_mov_b32_e32 v25, v2
	v_pk_mul_f32 v[16:17], v[16:17], v[24:25] op_sel_hi:[0,1]
	v_pk_mul_f32 v[14:15], v[14:15], v[24:25] op_sel_hi:[0,1]
	;; [unrolled: 1-line block ×3, first 2 shown]
	v_pk_fma_f32 v[12:13], v[2:3], v[12:13], v[16:17] op_sel_hi:[1,0,1]
	v_pk_fma_f32 v[10:11], v[2:3], v[10:11], v[14:15] op_sel_hi:[1,0,1]
	v_xor_b32_e32 v26, 0x80000000, v5
	v_mov_b32_e32 v27, v4
	v_pk_fma_f32 v[0:1], v[2:3], v[0:1], v[8:9] op_sel_hi:[1,0,1]
	s_waitcnt vmcnt(1)
	v_pk_fma_f32 v[2:3], v[4:5], v[18:19], v[12:13] op_sel_hi:[1,0,1]
	v_pk_fma_f32 v[8:9], v[4:5], v[20:21], v[10:11] op_sel_hi:[1,0,1]
	v_mov_b32_e32 v10, v21
	s_waitcnt vmcnt(0)
	v_pk_fma_f32 v[4:5], v[4:5], v[22:23], v[0:1] op_sel_hi:[1,0,1]
	v_pk_fma_f32 v[0:1], v[26:27], v[18:19], v[2:3] op_sel:[0,1,0]
	v_pk_fma_f32 v[2:3], v[26:27], v[10:11], v[8:9] op_sel_hi:[1,0,1]
	v_pk_fma_f32 v[4:5], v[26:27], v[22:23], v[4:5] op_sel:[0,1,0]
	global_store_dwordx4 v[6:7], v[0:3], off
	global_store_dwordx2 v[6:7], v[4:5], off offset:16
	s_endpgm
	.section	.rodata,"a",@progbits
	.p2align	6, 0x0
	.amdhsa_kernel _ZN9rocsparseL18bsrxmvn_3x3_kernelILj256ELj4E21rocsparse_complex_numIfEliS2_S2_S2_EEvT3_20rocsparse_direction_NS_24const_host_device_scalarIT1_EES3_PKS3_PKT2_SC_S9_PKT4_PKT5_S7_PT6_21rocsparse_index_base_b
		.amdhsa_group_segment_fixed_size 0
		.amdhsa_private_segment_fixed_size 0
		.amdhsa_kernarg_size 96
		.amdhsa_user_sgpr_count 2
		.amdhsa_user_sgpr_dispatch_ptr 0
		.amdhsa_user_sgpr_queue_ptr 0
		.amdhsa_user_sgpr_kernarg_segment_ptr 1
		.amdhsa_user_sgpr_dispatch_id 0
		.amdhsa_user_sgpr_kernarg_preload_length 0
		.amdhsa_user_sgpr_kernarg_preload_offset 0
		.amdhsa_user_sgpr_private_segment_size 0
		.amdhsa_uses_dynamic_stack 0
		.amdhsa_enable_private_segment 0
		.amdhsa_system_sgpr_workgroup_id_x 1
		.amdhsa_system_sgpr_workgroup_id_y 0
		.amdhsa_system_sgpr_workgroup_id_z 0
		.amdhsa_system_sgpr_workgroup_info 0
		.amdhsa_system_vgpr_workitem_id 0
		.amdhsa_next_free_vgpr 60
		.amdhsa_next_free_sgpr 16
		.amdhsa_accum_offset 60
		.amdhsa_reserve_vcc 1
		.amdhsa_float_round_mode_32 0
		.amdhsa_float_round_mode_16_64 0
		.amdhsa_float_denorm_mode_32 3
		.amdhsa_float_denorm_mode_16_64 3
		.amdhsa_dx10_clamp 1
		.amdhsa_ieee_mode 1
		.amdhsa_fp16_overflow 0
		.amdhsa_tg_split 0
		.amdhsa_exception_fp_ieee_invalid_op 0
		.amdhsa_exception_fp_denorm_src 0
		.amdhsa_exception_fp_ieee_div_zero 0
		.amdhsa_exception_fp_ieee_overflow 0
		.amdhsa_exception_fp_ieee_underflow 0
		.amdhsa_exception_fp_ieee_inexact 0
		.amdhsa_exception_int_div_zero 0
	.end_amdhsa_kernel
	.section	.text._ZN9rocsparseL18bsrxmvn_3x3_kernelILj256ELj4E21rocsparse_complex_numIfEliS2_S2_S2_EEvT3_20rocsparse_direction_NS_24const_host_device_scalarIT1_EES3_PKS3_PKT2_SC_S9_PKT4_PKT5_S7_PT6_21rocsparse_index_base_b,"axG",@progbits,_ZN9rocsparseL18bsrxmvn_3x3_kernelILj256ELj4E21rocsparse_complex_numIfEliS2_S2_S2_EEvT3_20rocsparse_direction_NS_24const_host_device_scalarIT1_EES3_PKS3_PKT2_SC_S9_PKT4_PKT5_S7_PT6_21rocsparse_index_base_b,comdat
.Lfunc_end30:
	.size	_ZN9rocsparseL18bsrxmvn_3x3_kernelILj256ELj4E21rocsparse_complex_numIfEliS2_S2_S2_EEvT3_20rocsparse_direction_NS_24const_host_device_scalarIT1_EES3_PKS3_PKT2_SC_S9_PKT4_PKT5_S7_PT6_21rocsparse_index_base_b, .Lfunc_end30-_ZN9rocsparseL18bsrxmvn_3x3_kernelILj256ELj4E21rocsparse_complex_numIfEliS2_S2_S2_EEvT3_20rocsparse_direction_NS_24const_host_device_scalarIT1_EES3_PKS3_PKT2_SC_S9_PKT4_PKT5_S7_PT6_21rocsparse_index_base_b
                                        ; -- End function
	.section	.AMDGPU.csdata,"",@progbits
; Kernel info:
; codeLenInByte = 1968
; NumSgprs: 22
; NumVgprs: 60
; NumAgprs: 0
; TotalNumVgprs: 60
; ScratchSize: 0
; MemoryBound: 0
; FloatMode: 240
; IeeeMode: 1
; LDSByteSize: 0 bytes/workgroup (compile time only)
; SGPRBlocks: 2
; VGPRBlocks: 7
; NumSGPRsForWavesPerEU: 22
; NumVGPRsForWavesPerEU: 60
; AccumOffset: 60
; Occupancy: 8
; WaveLimiterHint : 1
; COMPUTE_PGM_RSRC2:SCRATCH_EN: 0
; COMPUTE_PGM_RSRC2:USER_SGPR: 2
; COMPUTE_PGM_RSRC2:TRAP_HANDLER: 0
; COMPUTE_PGM_RSRC2:TGID_X_EN: 1
; COMPUTE_PGM_RSRC2:TGID_Y_EN: 0
; COMPUTE_PGM_RSRC2:TGID_Z_EN: 0
; COMPUTE_PGM_RSRC2:TIDIG_COMP_CNT: 0
; COMPUTE_PGM_RSRC3_GFX90A:ACCUM_OFFSET: 14
; COMPUTE_PGM_RSRC3_GFX90A:TG_SPLIT: 0
	.section	.text._ZN9rocsparseL18bsrxmvn_3x3_kernelILj256ELj8E21rocsparse_complex_numIfEliS2_S2_S2_EEvT3_20rocsparse_direction_NS_24const_host_device_scalarIT1_EES3_PKS3_PKT2_SC_S9_PKT4_PKT5_S7_PT6_21rocsparse_index_base_b,"axG",@progbits,_ZN9rocsparseL18bsrxmvn_3x3_kernelILj256ELj8E21rocsparse_complex_numIfEliS2_S2_S2_EEvT3_20rocsparse_direction_NS_24const_host_device_scalarIT1_EES3_PKS3_PKT2_SC_S9_PKT4_PKT5_S7_PT6_21rocsparse_index_base_b,comdat
	.globl	_ZN9rocsparseL18bsrxmvn_3x3_kernelILj256ELj8E21rocsparse_complex_numIfEliS2_S2_S2_EEvT3_20rocsparse_direction_NS_24const_host_device_scalarIT1_EES3_PKS3_PKT2_SC_S9_PKT4_PKT5_S7_PT6_21rocsparse_index_base_b ; -- Begin function _ZN9rocsparseL18bsrxmvn_3x3_kernelILj256ELj8E21rocsparse_complex_numIfEliS2_S2_S2_EEvT3_20rocsparse_direction_NS_24const_host_device_scalarIT1_EES3_PKS3_PKT2_SC_S9_PKT4_PKT5_S7_PT6_21rocsparse_index_base_b
	.p2align	8
	.type	_ZN9rocsparseL18bsrxmvn_3x3_kernelILj256ELj8E21rocsparse_complex_numIfEliS2_S2_S2_EEvT3_20rocsparse_direction_NS_24const_host_device_scalarIT1_EES3_PKS3_PKT2_SC_S9_PKT4_PKT5_S7_PT6_21rocsparse_index_base_b,@function
_ZN9rocsparseL18bsrxmvn_3x3_kernelILj256ELj8E21rocsparse_complex_numIfEliS2_S2_S2_EEvT3_20rocsparse_direction_NS_24const_host_device_scalarIT1_EES3_PKS3_PKT2_SC_S9_PKT4_PKT5_S7_PT6_21rocsparse_index_base_b: ; @_ZN9rocsparseL18bsrxmvn_3x3_kernelILj256ELj8E21rocsparse_complex_numIfEliS2_S2_S2_EEvT3_20rocsparse_direction_NS_24const_host_device_scalarIT1_EES3_PKS3_PKT2_SC_S9_PKT4_PKT5_S7_PT6_21rocsparse_index_base_b
; %bb.0:
	s_load_dwordx2 s[12:13], s[0:1], 0x58
	s_load_dwordx2 s[8:9], s[0:1], 0x8
	;; [unrolled: 1-line block ×3, first 2 shown]
	s_waitcnt lgkmcnt(0)
	s_bitcmp1_b32 s13, 0
	s_cselect_b64 s[4:5], -1, 0
	s_xor_b64 s[10:11], s[4:5], -1
	s_and_b64 vcc, exec, s[4:5]
	v_mov_b32_e32 v2, s8
	s_cbranch_vccnz .LBB31_2
; %bb.1:
	v_mov_b64_e32 v[2:3], s[8:9]
	flat_load_dword v2, v[2:3]
.LBB31_2:
	v_cndmask_b32_e64 v1, 0, 1, s[10:11]
	v_cmp_ne_u32_e64 s[4:5], 1, v1
	s_andn2_b64 vcc, exec, s[10:11]
	v_mov_b32_e32 v3, s9
	s_cbranch_vccz .LBB31_15
; %bb.3:
	s_and_b64 vcc, exec, s[4:5]
	v_mov_b32_e32 v4, s6
	s_cbranch_vccz .LBB31_16
.LBB31_4:
	s_and_b64 vcc, exec, s[4:5]
	v_mov_b32_e32 v5, s7
	s_cbranch_vccnz .LBB31_6
.LBB31_5:
	v_mov_b64_e32 v[6:7], s[6:7]
	flat_load_dword v5, v[6:7] offset:4
.LBB31_6:
	s_waitcnt vmcnt(0) lgkmcnt(0)
	v_and_b32_e32 v1, 0x7fffffff, v2
	v_cmp_eq_u32_e32 vcc, 0, v1
	v_cmp_eq_f32_e64 s[4:5], 0, v3
	s_and_b64 s[8:9], vcc, s[4:5]
	s_mov_b64 s[4:5], -1
	s_and_saveexec_b64 s[6:7], s[8:9]
; %bb.7:
	v_and_b32_e32 v1, 0x7fffffff, v5
	v_cmp_neq_f32_e32 vcc, 1.0, v4
	v_cmp_ne_u32_e64 s[4:5], 0, v1
	s_or_b64 s[4:5], vcc, s[4:5]
	s_orn2_b64 s[4:5], s[4:5], exec
; %bb.8:
	s_or_b64 exec, exec, s[6:7]
	s_and_saveexec_b64 s[6:7], s[4:5]
	s_cbranch_execz .LBB31_14
; %bb.9:
	s_load_dwordx2 s[4:5], s[0:1], 0x18
	s_load_dwordx2 s[14:15], s[0:1], 0x0
	v_lshrrev_b32_e32 v1, 3, v0
	v_lshl_or_b32 v6, s2, 5, v1
	s_mov_b64 s[2:3], 0
	s_waitcnt lgkmcnt(0)
	s_cmp_lg_u64 s[4:5], 0
	s_cbranch_scc0 .LBB31_17
; %bb.10:
	s_load_dword s6, s[0:1], 0x10
                                        ; implicit-def: $vgpr1
	s_waitcnt lgkmcnt(0)
	v_cmp_gt_i32_e32 vcc, s6, v6
	s_and_saveexec_b64 s[6:7], vcc
	s_xor_b64 s[6:7], exec, s[6:7]
	s_cbranch_execz .LBB31_12
; %bb.11:
	v_ashrrev_i32_e32 v7, 31, v6
	v_lshl_add_u64 v[8:9], v[6:7], 2, s[4:5]
	global_load_dword v1, v[8:9], off
	s_mov_b64 s[2:3], exec
	s_waitcnt vmcnt(0)
	v_subrev_u32_e32 v1, s12, v1
.LBB31_12:
	s_or_b64 exec, exec, s[6:7]
	s_branch .LBB31_18
.LBB31_13:
	v_cmp_gt_i32_e32 vcc, s14, v6
	s_andn2_b64 s[2:3], s[2:3], exec
	s_and_b64 s[4:5], vcc, exec
	s_or_b64 s[2:3], s[2:3], s[4:5]
	s_and_b64 exec, exec, s[2:3]
	s_cbranch_execnz .LBB31_19
.LBB31_14:
	s_endpgm
.LBB31_15:
	v_mov_b64_e32 v[4:5], s[8:9]
	flat_load_dword v3, v[4:5] offset:4
	s_and_b64 vcc, exec, s[4:5]
	v_mov_b32_e32 v4, s6
	s_cbranch_vccnz .LBB31_4
.LBB31_16:
	v_mov_b64_e32 v[4:5], s[6:7]
	flat_load_dword v4, v[4:5]
	s_and_b64 vcc, exec, s[4:5]
	v_mov_b32_e32 v5, s7
	s_cbranch_vccz .LBB31_5
	s_branch .LBB31_6
.LBB31_17:
                                        ; implicit-def: $vgpr1
	s_cbranch_execnz .LBB31_13
.LBB31_18:
	v_mov_b32_e32 v6, v1
	s_and_b64 exec, exec, s[2:3]
	s_cbranch_execz .LBB31_14
.LBB31_19:
	s_load_dwordx8 s[4:11], s[0:1], 0x20
	v_ashrrev_i32_e32 v7, 31, v6
	v_lshlrev_b64 v[8:9], 3, v[6:7]
	v_mov_b32_e32 v15, 0
	v_and_b32_e32 v0, 7, v0
	s_waitcnt lgkmcnt(0)
	v_lshl_add_u64 v[10:11], s[4:5], 0, v[8:9]
	global_load_dwordx2 v[12:13], v[10:11], off
	s_cmp_eq_u64 s[6:7], 0
	v_lshl_add_u64 v[8:9], s[6:7], 0, v[8:9]
	v_lshl_add_u64 v[10:11], v[10:11], 0, 8
	s_cselect_b64 vcc, -1, 0
	v_cndmask_b32_e32 v9, v9, v11, vcc
	v_cndmask_b32_e32 v8, v8, v10, vcc
	global_load_dwordx2 v[10:11], v[8:9], off
	v_mov_b32_e32 v1, v15
	s_load_dwordx2 s[4:5], s[0:1], 0x40
	s_movk_i32 s6, 0x48
	v_mov_b64_e32 v[16:17], s[10:11]
	s_cmp_eq_u32 s15, 1
	s_waitcnt vmcnt(1)
	v_subrev_co_u32_e32 v8, vcc, s12, v12
	s_nop 1
	v_subbrev_co_u32_e32 v9, vcc, 0, v13, vcc
	v_lshl_add_u64 v[8:9], v[8:9], 0, v[0:1]
	v_mad_u64_u32 v[12:13], s[2:3], v8, s6, v[16:17]
	s_waitcnt vmcnt(0)
	v_subrev_co_u32_e32 v10, vcc, s12, v10
	v_mov_b32_e32 v14, v13
	s_nop 0
	v_subbrev_co_u32_e32 v11, vcc, 0, v11, vcc
	v_mad_u64_u32 v[16:17], s[2:3], v9, s6, v[14:15]
	v_mov_b32_e32 v13, v16
	v_cmp_lt_i64_e64 s[2:3], v[8:9], v[10:11]
	s_cbranch_scc1 .LBB31_25
; %bb.20:
	v_mov_b32_e32 v14, 0
	v_mov_b32_e32 v19, 0
	;; [unrolled: 1-line block ×5, first 2 shown]
	s_and_saveexec_b64 s[6:7], s[2:3]
	s_cbranch_execz .LBB31_24
; %bb.21:
	v_mov_b32_e32 v16, 0
	v_lshl_add_u64 v[20:21], v[8:9], 2, s[8:9]
	s_mov_b64 s[10:11], 0
	s_mov_b64 s[14:15], 0x240
	v_mov_b64_e32 v[22:23], v[8:9]
	v_mov_b64_e32 v[24:25], v[12:13]
	v_mov_b32_e32 v17, v16
	v_mov_b32_e32 v18, v16
	;; [unrolled: 1-line block ×5, first 2 shown]
.LBB31_22:                              ; =>This Inner Loop Header: Depth=1
	global_load_dword v1, v[20:21], off
	global_load_dwordx4 v[26:29], v[24:25], off offset:48
	global_load_dwordx4 v[30:33], v[24:25], off offset:16
	global_load_dwordx4 v[34:37], v[24:25], off
	v_lshl_add_u64 v[22:23], v[22:23], 0, 8
	v_cmp_ge_i64_e32 vcc, v[22:23], v[10:11]
	v_lshl_add_u64 v[20:21], v[20:21], 0, 32
	s_or_b64 s[10:11], vcc, s[10:11]
	s_waitcnt vmcnt(3)
	v_subrev_u32_e32 v1, s12, v1
	v_lshl_add_u32 v38, v1, 1, v1
	v_ashrrev_i32_e32 v39, 31, v38
	s_waitcnt lgkmcnt(0)
	v_lshl_add_u64 v[46:47], v[38:39], 3, s[4:5]
	global_load_dwordx2 v[48:49], v[46:47], off offset:16
	global_load_dwordx4 v[38:41], v[46:47], off
	global_load_dwordx4 v[42:45], v[24:25], off offset:32
	global_load_dwordx2 v[50:51], v[24:25], off offset:64
	s_waitcnt vmcnt(5)
	v_xor_b32_e32 v52, 0x80000000, v33
	v_mov_b32_e32 v53, v32
	s_waitcnt vmcnt(4)
	v_xor_b32_e32 v46, 0x80000000, v37
	v_mov_b32_e32 v47, v36
	v_xor_b32_e32 v56, 0x80000000, v29
	v_mov_b32_e32 v57, v28
	v_lshl_add_u64 v[24:25], v[24:25], 0, s[14:15]
	s_waitcnt vmcnt(2)
	v_pk_fma_f32 v[14:15], v[34:35], v[38:39], v[14:15] op_sel_hi:[1,0,1]
	v_pk_fma_f32 v[16:17], v[32:33], v[38:39], v[16:17] op_sel_hi:[1,0,1]
	;; [unrolled: 1-line block ×3, first 2 shown]
	v_pk_fma_f32 v[14:15], v[34:35], v[38:39], v[14:15] op_sel:[1,1,0] op_sel_hi:[0,1,1] neg_lo:[1,0,0]
	v_pk_fma_f32 v[16:17], v[52:53], v[38:39], v[16:17] op_sel:[0,1,0]
	v_pk_fma_f32 v[18:19], v[26:27], v[38:39], v[18:19] op_sel:[1,1,0] op_sel_hi:[0,1,1] neg_lo:[1,0,0]
	v_mov_b32_e32 v58, v41
	v_pk_fma_f32 v[14:15], v[36:37], v[40:41], v[14:15] op_sel_hi:[1,0,1]
	s_waitcnt vmcnt(1)
	v_pk_fma_f32 v[16:17], v[42:43], v[40:41], v[16:17] op_sel_hi:[1,0,1]
	v_pk_fma_f32 v[18:19], v[28:29], v[40:41], v[18:19] op_sel_hi:[1,0,1]
	v_pk_fma_f32 v[14:15], v[46:47], v[58:59], v[14:15] op_sel_hi:[1,0,1]
	v_pk_fma_f32 v[16:17], v[42:43], v[58:59], v[16:17] op_sel:[1,0,0] op_sel_hi:[0,0,1] neg_lo:[1,0,0]
	v_pk_fma_f32 v[18:19], v[56:57], v[58:59], v[18:19] op_sel_hi:[1,0,1]
	v_xor_b32_e32 v54, 0x80000000, v45
	v_mov_b32_e32 v55, v44
	v_pk_fma_f32 v[14:15], v[30:31], v[48:49], v[14:15] op_sel_hi:[1,0,1]
	v_pk_fma_f32 v[16:17], v[44:45], v[48:49], v[16:17] op_sel_hi:[1,0,1]
	s_waitcnt vmcnt(0)
	v_pk_fma_f32 v[18:19], v[50:51], v[48:49], v[18:19] op_sel_hi:[1,0,1]
	v_pk_fma_f32 v[14:15], v[30:31], v[48:49], v[14:15] op_sel:[1,1,0] op_sel_hi:[0,1,1] neg_lo:[1,0,0]
	v_pk_fma_f32 v[16:17], v[54:55], v[48:49], v[16:17] op_sel:[0,1,0]
	v_pk_fma_f32 v[18:19], v[50:51], v[48:49], v[18:19] op_sel:[1,1,0] op_sel_hi:[0,1,1] neg_lo:[1,0,0]
	s_andn2_b64 exec, exec, s[10:11]
	s_cbranch_execnz .LBB31_22
; %bb.23:
	s_or_b64 exec, exec, s[10:11]
.LBB31_24:
	s_or_b64 exec, exec, s[6:7]
	s_cbranch_execz .LBB31_26
	s_branch .LBB31_31
.LBB31_25:
                                        ; implicit-def: $vgpr15
                                        ; implicit-def: $vgpr19
                                        ; implicit-def: $vgpr17
.LBB31_26:
	v_mov_b32_e32 v15, 0
	v_mov_b32_e32 v14, v15
	;; [unrolled: 1-line block ×6, first 2 shown]
	s_and_saveexec_b64 s[6:7], s[2:3]
	s_cbranch_execz .LBB31_30
; %bb.27:
	v_mov_b32_e32 v16, 0
	v_lshl_add_u64 v[20:21], v[8:9], 2, s[8:9]
	s_mov_b64 s[2:3], 0
	s_mov_b64 s[8:9], 0x240
	v_mov_b32_e32 v17, v16
	v_mov_b32_e32 v18, v16
	;; [unrolled: 1-line block ×5, first 2 shown]
.LBB31_28:                              ; =>This Inner Loop Header: Depth=1
	global_load_dword v1, v[20:21], off
	global_load_dwordx4 v[22:25], v[12:13], off offset:48
	global_load_dwordx4 v[26:29], v[12:13], off offset:16
	global_load_dwordx4 v[30:33], v[12:13], off
	v_lshl_add_u64 v[8:9], v[8:9], 0, 8
	v_cmp_ge_i64_e32 vcc, v[8:9], v[10:11]
	v_lshl_add_u64 v[20:21], v[20:21], 0, 32
	s_or_b64 s[2:3], vcc, s[2:3]
	s_waitcnt vmcnt(3)
	v_subrev_u32_e32 v1, s12, v1
	v_lshl_add_u32 v34, v1, 1, v1
	v_ashrrev_i32_e32 v35, 31, v34
	s_waitcnt lgkmcnt(0)
	v_lshl_add_u64 v[42:43], v[34:35], 3, s[4:5]
	global_load_dwordx2 v[44:45], v[42:43], off offset:16
	global_load_dwordx4 v[34:37], v[42:43], off
	global_load_dwordx4 v[38:41], v[12:13], off offset:32
	global_load_dwordx2 v[46:47], v[12:13], off offset:64
	s_waitcnt vmcnt(4)
	v_xor_b32_e32 v48, 0x80000000, v33
	v_mov_b32_e32 v49, v32
	v_xor_b32_e32 v42, 0x80000000, v29
	v_mov_b32_e32 v43, v28
	;; [unrolled: 2-line block ×3, first 2 shown]
	v_lshl_add_u64 v[12:13], v[12:13], 0, s[8:9]
	s_waitcnt vmcnt(2)
	v_pk_fma_f32 v[14:15], v[30:31], v[34:35], v[14:15] op_sel_hi:[1,0,1]
	v_pk_fma_f32 v[16:17], v[32:33], v[34:35], v[16:17] op_sel_hi:[1,0,1]
	;; [unrolled: 1-line block ×3, first 2 shown]
	v_pk_fma_f32 v[14:15], v[30:31], v[34:35], v[14:15] op_sel:[1,1,0] op_sel_hi:[0,1,1] neg_lo:[1,0,0]
	v_pk_fma_f32 v[16:17], v[48:49], v[34:35], v[16:17] op_sel:[0,1,0]
	v_pk_fma_f32 v[18:19], v[26:27], v[34:35], v[18:19] op_sel:[1,1,0] op_sel_hi:[0,1,1] neg_lo:[1,0,0]
	s_waitcnt vmcnt(1)
	v_xor_b32_e32 v52, 0x80000000, v41
	v_mov_b32_e32 v53, v40
	v_mov_b32_e32 v54, v37
	v_pk_fma_f32 v[14:15], v[28:29], v[36:37], v[14:15] op_sel_hi:[1,0,1]
	v_pk_fma_f32 v[16:17], v[38:39], v[36:37], v[16:17] op_sel_hi:[1,0,1]
	;; [unrolled: 1-line block ×4, first 2 shown]
	v_pk_fma_f32 v[16:17], v[38:39], v[54:55], v[16:17] op_sel:[1,0,0] op_sel_hi:[0,0,1] neg_lo:[1,0,0]
	v_pk_fma_f32 v[18:19], v[52:53], v[54:55], v[18:19] op_sel_hi:[1,0,1]
	v_pk_fma_f32 v[14:15], v[22:23], v[44:45], v[14:15] op_sel_hi:[1,0,1]
	;; [unrolled: 1-line block ×3, first 2 shown]
	s_waitcnt vmcnt(0)
	v_pk_fma_f32 v[18:19], v[46:47], v[44:45], v[18:19] op_sel_hi:[1,0,1]
	v_pk_fma_f32 v[14:15], v[22:23], v[44:45], v[14:15] op_sel:[1,1,0] op_sel_hi:[0,1,1] neg_lo:[1,0,0]
	v_pk_fma_f32 v[16:17], v[50:51], v[44:45], v[16:17] op_sel:[0,1,0]
	v_pk_fma_f32 v[18:19], v[46:47], v[44:45], v[18:19] op_sel:[1,1,0] op_sel_hi:[0,1,1] neg_lo:[1,0,0]
	s_andn2_b64 exec, exec, s[2:3]
	s_cbranch_execnz .LBB31_28
; %bb.29:
	s_or_b64 exec, exec, s[2:3]
.LBB31_30:
	s_or_b64 exec, exec, s[6:7]
.LBB31_31:
	v_mov_b32_dpp v12, v17 row_shr:1 row_mask:0xf bank_mask:0xf
	v_add_f32_e32 v12, v17, v12
	v_mov_b32_dpp v8, v15 row_shr:1 row_mask:0xf bank_mask:0xf
	v_add_f32_e32 v8, v15, v8
	v_mov_b32_dpp v13, v12 row_shr:2 row_mask:0xf bank_mask:0xf
	v_add_f32_e32 v13, v12, v13
	v_mov_b32_dpp v12, v18 row_shr:1 row_mask:0xf bank_mask:0xf
	v_add_f32_e32 v12, v18, v12
	v_mov_b32_dpp v1, v14 row_shr:1 row_mask:0xf bank_mask:0xf
	v_mov_b32_dpp v10, v16 row_shr:1 row_mask:0xf bank_mask:0xf
	;; [unrolled: 1-line block ×3, first 2 shown]
	v_add_f32_e32 v15, v12, v15
	v_mov_b32_dpp v12, v19 row_shr:1 row_mask:0xf bank_mask:0xf
	v_add_f32_e32 v1, v14, v1
	v_add_f32_e32 v10, v16, v10
	;; [unrolled: 1-line block ×3, first 2 shown]
	v_mov_b32_dpp v7, v1 row_shr:2 row_mask:0xf bank_mask:0xf
	v_mov_b32_dpp v9, v8 row_shr:2 row_mask:0xf bank_mask:0xf
	;; [unrolled: 1-line block ×4, first 2 shown]
	v_add_f32_e32 v1, v1, v7
	v_add_f32_e32 v8, v8, v9
	v_add_f32_e32 v10, v10, v11
	v_add_f32_e32 v18, v12, v16
	v_mov_b32_dpp v7, v1 row_shr:4 row_mask:0xf bank_mask:0xe
	v_mov_b32_dpp v9, v8 row_shr:4 row_mask:0xf bank_mask:0xe
	;; [unrolled: 1-line block ×6, first 2 shown]
	v_cmp_eq_u32_e32 vcc, 7, v0
	s_and_b64 exec, exec, vcc
	s_cbranch_execz .LBB31_14
; %bb.32:
	s_load_dwordx2 s[2:3], s[0:1], 0x50
	v_add_f32_e32 v12, v1, v7
	v_and_b32_e32 v1, 0x7fffffff, v4
	v_cmp_eq_u32_e32 vcc, 0, v1
	v_cmp_eq_f32_e64 s[0:1], 0, v5
	v_lshl_add_u32 v6, v6, 1, v6
	v_add_f32_e32 v16, v8, v9
	v_add_f32_e32 v10, v10, v11
	;; [unrolled: 1-line block ×5, first 2 shown]
	s_and_b64 s[0:1], vcc, s[0:1]
	v_ashrrev_i32_e32 v7, 31, v6
	s_waitcnt lgkmcnt(0)
	s_and_saveexec_b64 s[4:5], s[0:1]
	s_xor_b64 s[0:1], exec, s[4:5]
	s_cbranch_execz .LBB31_34
; %bb.33:
	v_xor_b32_e32 v18, 0x80000000, v3
	v_mov_b32_e32 v19, v2
	v_lshl_add_u64 v[20:21], v[6:7], 3, s[2:3]
	v_pk_mul_f32 v[4:5], v[16:17], v[18:19] op_sel_hi:[0,1]
	v_pk_mul_f32 v[6:7], v[14:15], v[18:19] op_sel_hi:[0,1]
	v_pk_fma_f32 v[4:5], v[2:3], v[12:13], v[4:5] op_sel_hi:[1,0,1]
	v_pk_fma_f32 v[6:7], v[2:3], v[10:11], v[6:7] op_sel_hi:[1,0,1]
	global_store_dwordx4 v[20:21], v[4:7], off
                                        ; implicit-def: $vgpr12
                                        ; implicit-def: $vgpr16
                                        ; implicit-def: $vgpr10
                                        ; implicit-def: $vgpr14
                                        ; implicit-def: $vgpr6
	s_nop 1
	v_pk_mul_f32 v[4:5], v[8:9], v[18:19] op_sel_hi:[0,1]
	v_pk_fma_f32 v[0:1], v[2:3], v[0:1], v[4:5] op_sel_hi:[1,0,1]
	global_store_dwordx2 v[20:21], v[0:1], off offset:16
                                        ; implicit-def: $vgpr3
                                        ; implicit-def: $vgpr4
                                        ; implicit-def: $vgpr0
                                        ; implicit-def: $vgpr8
.LBB31_34:
	s_andn2_saveexec_b64 s[0:1], s[0:1]
	s_cbranch_execz .LBB31_14
; %bb.35:
	v_lshl_add_u64 v[6:7], v[6:7], 3, s[2:3]
	global_load_dwordx4 v[18:21], v[6:7], off
	global_load_dwordx2 v[22:23], v[6:7], off offset:16
	v_xor_b32_e32 v24, 0x80000000, v3
	v_mov_b32_e32 v25, v2
	v_pk_mul_f32 v[16:17], v[16:17], v[24:25] op_sel_hi:[0,1]
	v_pk_mul_f32 v[14:15], v[14:15], v[24:25] op_sel_hi:[0,1]
	;; [unrolled: 1-line block ×3, first 2 shown]
	v_pk_fma_f32 v[12:13], v[2:3], v[12:13], v[16:17] op_sel_hi:[1,0,1]
	v_pk_fma_f32 v[10:11], v[2:3], v[10:11], v[14:15] op_sel_hi:[1,0,1]
	v_xor_b32_e32 v26, 0x80000000, v5
	v_mov_b32_e32 v27, v4
	v_pk_fma_f32 v[0:1], v[2:3], v[0:1], v[8:9] op_sel_hi:[1,0,1]
	s_waitcnt vmcnt(1)
	v_pk_fma_f32 v[2:3], v[4:5], v[18:19], v[12:13] op_sel_hi:[1,0,1]
	v_pk_fma_f32 v[8:9], v[4:5], v[20:21], v[10:11] op_sel_hi:[1,0,1]
	v_mov_b32_e32 v10, v21
	s_waitcnt vmcnt(0)
	v_pk_fma_f32 v[4:5], v[4:5], v[22:23], v[0:1] op_sel_hi:[1,0,1]
	v_pk_fma_f32 v[0:1], v[26:27], v[18:19], v[2:3] op_sel:[0,1,0]
	v_pk_fma_f32 v[2:3], v[26:27], v[10:11], v[8:9] op_sel_hi:[1,0,1]
	v_pk_fma_f32 v[4:5], v[26:27], v[22:23], v[4:5] op_sel:[0,1,0]
	global_store_dwordx4 v[6:7], v[0:3], off
	global_store_dwordx2 v[6:7], v[4:5], off offset:16
	s_endpgm
	.section	.rodata,"a",@progbits
	.p2align	6, 0x0
	.amdhsa_kernel _ZN9rocsparseL18bsrxmvn_3x3_kernelILj256ELj8E21rocsparse_complex_numIfEliS2_S2_S2_EEvT3_20rocsparse_direction_NS_24const_host_device_scalarIT1_EES3_PKS3_PKT2_SC_S9_PKT4_PKT5_S7_PT6_21rocsparse_index_base_b
		.amdhsa_group_segment_fixed_size 0
		.amdhsa_private_segment_fixed_size 0
		.amdhsa_kernarg_size 96
		.amdhsa_user_sgpr_count 2
		.amdhsa_user_sgpr_dispatch_ptr 0
		.amdhsa_user_sgpr_queue_ptr 0
		.amdhsa_user_sgpr_kernarg_segment_ptr 1
		.amdhsa_user_sgpr_dispatch_id 0
		.amdhsa_user_sgpr_kernarg_preload_length 0
		.amdhsa_user_sgpr_kernarg_preload_offset 0
		.amdhsa_user_sgpr_private_segment_size 0
		.amdhsa_uses_dynamic_stack 0
		.amdhsa_enable_private_segment 0
		.amdhsa_system_sgpr_workgroup_id_x 1
		.amdhsa_system_sgpr_workgroup_id_y 0
		.amdhsa_system_sgpr_workgroup_id_z 0
		.amdhsa_system_sgpr_workgroup_info 0
		.amdhsa_system_vgpr_workitem_id 0
		.amdhsa_next_free_vgpr 60
		.amdhsa_next_free_sgpr 16
		.amdhsa_accum_offset 60
		.amdhsa_reserve_vcc 1
		.amdhsa_float_round_mode_32 0
		.amdhsa_float_round_mode_16_64 0
		.amdhsa_float_denorm_mode_32 3
		.amdhsa_float_denorm_mode_16_64 3
		.amdhsa_dx10_clamp 1
		.amdhsa_ieee_mode 1
		.amdhsa_fp16_overflow 0
		.amdhsa_tg_split 0
		.amdhsa_exception_fp_ieee_invalid_op 0
		.amdhsa_exception_fp_denorm_src 0
		.amdhsa_exception_fp_ieee_div_zero 0
		.amdhsa_exception_fp_ieee_overflow 0
		.amdhsa_exception_fp_ieee_underflow 0
		.amdhsa_exception_fp_ieee_inexact 0
		.amdhsa_exception_int_div_zero 0
	.end_amdhsa_kernel
	.section	.text._ZN9rocsparseL18bsrxmvn_3x3_kernelILj256ELj8E21rocsparse_complex_numIfEliS2_S2_S2_EEvT3_20rocsparse_direction_NS_24const_host_device_scalarIT1_EES3_PKS3_PKT2_SC_S9_PKT4_PKT5_S7_PT6_21rocsparse_index_base_b,"axG",@progbits,_ZN9rocsparseL18bsrxmvn_3x3_kernelILj256ELj8E21rocsparse_complex_numIfEliS2_S2_S2_EEvT3_20rocsparse_direction_NS_24const_host_device_scalarIT1_EES3_PKS3_PKT2_SC_S9_PKT4_PKT5_S7_PT6_21rocsparse_index_base_b,comdat
.Lfunc_end31:
	.size	_ZN9rocsparseL18bsrxmvn_3x3_kernelILj256ELj8E21rocsparse_complex_numIfEliS2_S2_S2_EEvT3_20rocsparse_direction_NS_24const_host_device_scalarIT1_EES3_PKS3_PKT2_SC_S9_PKT4_PKT5_S7_PT6_21rocsparse_index_base_b, .Lfunc_end31-_ZN9rocsparseL18bsrxmvn_3x3_kernelILj256ELj8E21rocsparse_complex_numIfEliS2_S2_S2_EEvT3_20rocsparse_direction_NS_24const_host_device_scalarIT1_EES3_PKS3_PKT2_SC_S9_PKT4_PKT5_S7_PT6_21rocsparse_index_base_b
                                        ; -- End function
	.section	.AMDGPU.csdata,"",@progbits
; Kernel info:
; codeLenInByte = 2040
; NumSgprs: 22
; NumVgprs: 60
; NumAgprs: 0
; TotalNumVgprs: 60
; ScratchSize: 0
; MemoryBound: 0
; FloatMode: 240
; IeeeMode: 1
; LDSByteSize: 0 bytes/workgroup (compile time only)
; SGPRBlocks: 2
; VGPRBlocks: 7
; NumSGPRsForWavesPerEU: 22
; NumVGPRsForWavesPerEU: 60
; AccumOffset: 60
; Occupancy: 8
; WaveLimiterHint : 1
; COMPUTE_PGM_RSRC2:SCRATCH_EN: 0
; COMPUTE_PGM_RSRC2:USER_SGPR: 2
; COMPUTE_PGM_RSRC2:TRAP_HANDLER: 0
; COMPUTE_PGM_RSRC2:TGID_X_EN: 1
; COMPUTE_PGM_RSRC2:TGID_Y_EN: 0
; COMPUTE_PGM_RSRC2:TGID_Z_EN: 0
; COMPUTE_PGM_RSRC2:TIDIG_COMP_CNT: 0
; COMPUTE_PGM_RSRC3_GFX90A:ACCUM_OFFSET: 14
; COMPUTE_PGM_RSRC3_GFX90A:TG_SPLIT: 0
	.section	.text._ZN9rocsparseL18bsrxmvn_3x3_kernelILj256ELj16E21rocsparse_complex_numIfEliS2_S2_S2_EEvT3_20rocsparse_direction_NS_24const_host_device_scalarIT1_EES3_PKS3_PKT2_SC_S9_PKT4_PKT5_S7_PT6_21rocsparse_index_base_b,"axG",@progbits,_ZN9rocsparseL18bsrxmvn_3x3_kernelILj256ELj16E21rocsparse_complex_numIfEliS2_S2_S2_EEvT3_20rocsparse_direction_NS_24const_host_device_scalarIT1_EES3_PKS3_PKT2_SC_S9_PKT4_PKT5_S7_PT6_21rocsparse_index_base_b,comdat
	.globl	_ZN9rocsparseL18bsrxmvn_3x3_kernelILj256ELj16E21rocsparse_complex_numIfEliS2_S2_S2_EEvT3_20rocsparse_direction_NS_24const_host_device_scalarIT1_EES3_PKS3_PKT2_SC_S9_PKT4_PKT5_S7_PT6_21rocsparse_index_base_b ; -- Begin function _ZN9rocsparseL18bsrxmvn_3x3_kernelILj256ELj16E21rocsparse_complex_numIfEliS2_S2_S2_EEvT3_20rocsparse_direction_NS_24const_host_device_scalarIT1_EES3_PKS3_PKT2_SC_S9_PKT4_PKT5_S7_PT6_21rocsparse_index_base_b
	.p2align	8
	.type	_ZN9rocsparseL18bsrxmvn_3x3_kernelILj256ELj16E21rocsparse_complex_numIfEliS2_S2_S2_EEvT3_20rocsparse_direction_NS_24const_host_device_scalarIT1_EES3_PKS3_PKT2_SC_S9_PKT4_PKT5_S7_PT6_21rocsparse_index_base_b,@function
_ZN9rocsparseL18bsrxmvn_3x3_kernelILj256ELj16E21rocsparse_complex_numIfEliS2_S2_S2_EEvT3_20rocsparse_direction_NS_24const_host_device_scalarIT1_EES3_PKS3_PKT2_SC_S9_PKT4_PKT5_S7_PT6_21rocsparse_index_base_b: ; @_ZN9rocsparseL18bsrxmvn_3x3_kernelILj256ELj16E21rocsparse_complex_numIfEliS2_S2_S2_EEvT3_20rocsparse_direction_NS_24const_host_device_scalarIT1_EES3_PKS3_PKT2_SC_S9_PKT4_PKT5_S7_PT6_21rocsparse_index_base_b
; %bb.0:
	s_load_dwordx2 s[12:13], s[0:1], 0x58
	s_load_dwordx2 s[8:9], s[0:1], 0x8
	s_load_dwordx2 s[6:7], s[0:1], 0x48
	s_waitcnt lgkmcnt(0)
	s_bitcmp1_b32 s13, 0
	s_cselect_b64 s[4:5], -1, 0
	s_xor_b64 s[10:11], s[4:5], -1
	s_and_b64 vcc, exec, s[4:5]
	v_mov_b32_e32 v2, s8
	s_cbranch_vccnz .LBB32_2
; %bb.1:
	v_mov_b64_e32 v[2:3], s[8:9]
	flat_load_dword v2, v[2:3]
.LBB32_2:
	v_cndmask_b32_e64 v1, 0, 1, s[10:11]
	v_cmp_ne_u32_e64 s[4:5], 1, v1
	s_andn2_b64 vcc, exec, s[10:11]
	v_mov_b32_e32 v3, s9
	s_cbranch_vccz .LBB32_15
; %bb.3:
	s_and_b64 vcc, exec, s[4:5]
	v_mov_b32_e32 v4, s6
	s_cbranch_vccz .LBB32_16
.LBB32_4:
	s_and_b64 vcc, exec, s[4:5]
	v_mov_b32_e32 v5, s7
	s_cbranch_vccnz .LBB32_6
.LBB32_5:
	v_mov_b64_e32 v[6:7], s[6:7]
	flat_load_dword v5, v[6:7] offset:4
.LBB32_6:
	s_waitcnt vmcnt(0) lgkmcnt(0)
	v_and_b32_e32 v1, 0x7fffffff, v2
	v_cmp_eq_u32_e32 vcc, 0, v1
	v_cmp_eq_f32_e64 s[4:5], 0, v3
	s_and_b64 s[8:9], vcc, s[4:5]
	s_mov_b64 s[4:5], -1
	s_and_saveexec_b64 s[6:7], s[8:9]
; %bb.7:
	v_and_b32_e32 v1, 0x7fffffff, v5
	v_cmp_neq_f32_e32 vcc, 1.0, v4
	v_cmp_ne_u32_e64 s[4:5], 0, v1
	s_or_b64 s[4:5], vcc, s[4:5]
	s_orn2_b64 s[4:5], s[4:5], exec
; %bb.8:
	s_or_b64 exec, exec, s[6:7]
	s_and_saveexec_b64 s[6:7], s[4:5]
	s_cbranch_execz .LBB32_14
; %bb.9:
	s_load_dwordx2 s[4:5], s[0:1], 0x18
	s_load_dwordx2 s[14:15], s[0:1], 0x0
	v_lshrrev_b32_e32 v1, 4, v0
	v_lshl_or_b32 v6, s2, 4, v1
	s_mov_b64 s[2:3], 0
	s_waitcnt lgkmcnt(0)
	s_cmp_lg_u64 s[4:5], 0
	s_cbranch_scc0 .LBB32_17
; %bb.10:
	s_load_dword s6, s[0:1], 0x10
                                        ; implicit-def: $vgpr1
	s_waitcnt lgkmcnt(0)
	v_cmp_gt_i32_e32 vcc, s6, v6
	s_and_saveexec_b64 s[6:7], vcc
	s_xor_b64 s[6:7], exec, s[6:7]
	s_cbranch_execz .LBB32_12
; %bb.11:
	v_ashrrev_i32_e32 v7, 31, v6
	v_lshl_add_u64 v[8:9], v[6:7], 2, s[4:5]
	global_load_dword v1, v[8:9], off
	s_mov_b64 s[2:3], exec
	s_waitcnt vmcnt(0)
	v_subrev_u32_e32 v1, s12, v1
.LBB32_12:
	s_or_b64 exec, exec, s[6:7]
	s_branch .LBB32_18
.LBB32_13:
	v_cmp_gt_i32_e32 vcc, s14, v6
	s_andn2_b64 s[2:3], s[2:3], exec
	s_and_b64 s[4:5], vcc, exec
	s_or_b64 s[2:3], s[2:3], s[4:5]
	s_and_b64 exec, exec, s[2:3]
	s_cbranch_execnz .LBB32_19
.LBB32_14:
	s_endpgm
.LBB32_15:
	v_mov_b64_e32 v[4:5], s[8:9]
	flat_load_dword v3, v[4:5] offset:4
	s_and_b64 vcc, exec, s[4:5]
	v_mov_b32_e32 v4, s6
	s_cbranch_vccnz .LBB32_4
.LBB32_16:
	v_mov_b64_e32 v[4:5], s[6:7]
	flat_load_dword v4, v[4:5]
	s_and_b64 vcc, exec, s[4:5]
	v_mov_b32_e32 v5, s7
	s_cbranch_vccz .LBB32_5
	s_branch .LBB32_6
.LBB32_17:
                                        ; implicit-def: $vgpr1
	s_cbranch_execnz .LBB32_13
.LBB32_18:
	v_mov_b32_e32 v6, v1
	s_and_b64 exec, exec, s[2:3]
	s_cbranch_execz .LBB32_14
.LBB32_19:
	s_load_dwordx8 s[4:11], s[0:1], 0x20
	v_ashrrev_i32_e32 v7, 31, v6
	v_lshlrev_b64 v[8:9], 3, v[6:7]
	v_mov_b32_e32 v17, 0
	v_and_b32_e32 v0, 15, v0
	s_waitcnt lgkmcnt(0)
	v_lshl_add_u64 v[10:11], s[4:5], 0, v[8:9]
	global_load_dwordx2 v[12:13], v[10:11], off
	s_cmp_eq_u64 s[6:7], 0
	v_lshl_add_u64 v[8:9], s[6:7], 0, v[8:9]
	v_lshl_add_u64 v[10:11], v[10:11], 0, 8
	s_cselect_b64 vcc, -1, 0
	v_cndmask_b32_e32 v9, v9, v11, vcc
	v_cndmask_b32_e32 v8, v8, v10, vcc
	global_load_dwordx2 v[10:11], v[8:9], off
	v_mov_b32_e32 v1, v17
	s_load_dwordx2 s[4:5], s[0:1], 0x40
	s_movk_i32 s6, 0x48
	v_mov_b64_e32 v[14:15], s[10:11]
	s_cmp_eq_u32 s15, 1
	s_waitcnt vmcnt(1)
	v_subrev_co_u32_e32 v8, vcc, s12, v12
	s_nop 1
	v_subbrev_co_u32_e32 v9, vcc, 0, v13, vcc
	v_lshl_add_u64 v[8:9], v[8:9], 0, v[0:1]
	v_mad_u64_u32 v[12:13], s[2:3], v8, s6, v[14:15]
	s_waitcnt vmcnt(0)
	v_subrev_co_u32_e32 v10, vcc, s12, v10
	v_mov_b32_e32 v14, v13
	s_nop 0
	v_subbrev_co_u32_e32 v11, vcc, 0, v11, vcc
	v_mad_u64_u32 v[14:15], s[2:3], v9, s6, v[14:15]
	v_mov_b32_e32 v13, v14
	v_cmp_lt_i64_e64 s[2:3], v[8:9], v[10:11]
	s_cbranch_scc1 .LBB32_25
; %bb.20:
	v_mov_b32_e32 v16, 0
	v_mov_b32_e32 v15, 0
	;; [unrolled: 1-line block ×5, first 2 shown]
	s_and_saveexec_b64 s[6:7], s[2:3]
	s_cbranch_execz .LBB32_24
; %bb.21:
	v_mov_b32_e32 v18, 0
	v_lshl_add_u64 v[20:21], v[8:9], 2, s[8:9]
	s_mov_b64 s[10:11], 0
	s_mov_b64 s[14:15], 0x480
	v_mov_b64_e32 v[22:23], v[8:9]
	v_mov_b64_e32 v[24:25], v[12:13]
	v_mov_b32_e32 v19, v18
	v_mov_b32_e32 v14, v18
	;; [unrolled: 1-line block ×5, first 2 shown]
.LBB32_22:                              ; =>This Inner Loop Header: Depth=1
	global_load_dword v1, v[20:21], off
	global_load_dwordx4 v[26:29], v[24:25], off offset:48
	global_load_dwordx4 v[30:33], v[24:25], off offset:16
	global_load_dwordx4 v[34:37], v[24:25], off
	v_lshl_add_u64 v[22:23], v[22:23], 0, 16
	v_cmp_ge_i64_e32 vcc, v[22:23], v[10:11]
	v_lshl_add_u64 v[20:21], v[20:21], 0, 64
	s_or_b64 s[10:11], vcc, s[10:11]
	s_waitcnt vmcnt(3)
	v_subrev_u32_e32 v1, s12, v1
	v_lshl_add_u32 v38, v1, 1, v1
	v_ashrrev_i32_e32 v39, 31, v38
	s_waitcnt lgkmcnt(0)
	v_lshl_add_u64 v[46:47], v[38:39], 3, s[4:5]
	global_load_dwordx2 v[48:49], v[46:47], off offset:16
	global_load_dwordx4 v[38:41], v[46:47], off
	global_load_dwordx4 v[42:45], v[24:25], off offset:32
	global_load_dwordx2 v[50:51], v[24:25], off offset:64
	s_waitcnt vmcnt(5)
	v_xor_b32_e32 v52, 0x80000000, v33
	v_mov_b32_e32 v53, v32
	s_waitcnt vmcnt(4)
	v_xor_b32_e32 v46, 0x80000000, v37
	v_mov_b32_e32 v47, v36
	v_xor_b32_e32 v56, 0x80000000, v29
	v_mov_b32_e32 v57, v28
	v_lshl_add_u64 v[24:25], v[24:25], 0, s[14:15]
	s_waitcnt vmcnt(2)
	v_pk_fma_f32 v[16:17], v[34:35], v[38:39], v[16:17] op_sel_hi:[1,0,1]
	v_pk_fma_f32 v[18:19], v[32:33], v[38:39], v[18:19] op_sel_hi:[1,0,1]
	;; [unrolled: 1-line block ×3, first 2 shown]
	v_pk_fma_f32 v[16:17], v[34:35], v[38:39], v[16:17] op_sel:[1,1,0] op_sel_hi:[0,1,1] neg_lo:[1,0,0]
	v_pk_fma_f32 v[18:19], v[52:53], v[38:39], v[18:19] op_sel:[0,1,0]
	v_pk_fma_f32 v[14:15], v[26:27], v[38:39], v[14:15] op_sel:[1,1,0] op_sel_hi:[0,1,1] neg_lo:[1,0,0]
	v_mov_b32_e32 v58, v41
	v_pk_fma_f32 v[16:17], v[36:37], v[40:41], v[16:17] op_sel_hi:[1,0,1]
	s_waitcnt vmcnt(1)
	v_pk_fma_f32 v[18:19], v[42:43], v[40:41], v[18:19] op_sel_hi:[1,0,1]
	v_pk_fma_f32 v[14:15], v[28:29], v[40:41], v[14:15] op_sel_hi:[1,0,1]
	;; [unrolled: 1-line block ×3, first 2 shown]
	v_pk_fma_f32 v[18:19], v[42:43], v[58:59], v[18:19] op_sel:[1,0,0] op_sel_hi:[0,0,1] neg_lo:[1,0,0]
	v_pk_fma_f32 v[14:15], v[56:57], v[58:59], v[14:15] op_sel_hi:[1,0,1]
	v_xor_b32_e32 v54, 0x80000000, v45
	v_mov_b32_e32 v55, v44
	v_pk_fma_f32 v[16:17], v[30:31], v[48:49], v[16:17] op_sel_hi:[1,0,1]
	v_pk_fma_f32 v[18:19], v[44:45], v[48:49], v[18:19] op_sel_hi:[1,0,1]
	s_waitcnt vmcnt(0)
	v_pk_fma_f32 v[14:15], v[50:51], v[48:49], v[14:15] op_sel_hi:[1,0,1]
	v_pk_fma_f32 v[16:17], v[30:31], v[48:49], v[16:17] op_sel:[1,1,0] op_sel_hi:[0,1,1] neg_lo:[1,0,0]
	v_pk_fma_f32 v[18:19], v[54:55], v[48:49], v[18:19] op_sel:[0,1,0]
	v_pk_fma_f32 v[14:15], v[50:51], v[48:49], v[14:15] op_sel:[1,1,0] op_sel_hi:[0,1,1] neg_lo:[1,0,0]
	s_andn2_b64 exec, exec, s[10:11]
	s_cbranch_execnz .LBB32_22
; %bb.23:
	s_or_b64 exec, exec, s[10:11]
.LBB32_24:
	s_or_b64 exec, exec, s[6:7]
	s_cbranch_execz .LBB32_26
	s_branch .LBB32_31
.LBB32_25:
                                        ; implicit-def: $vgpr17
                                        ; implicit-def: $vgpr15
                                        ; implicit-def: $vgpr19
.LBB32_26:
	v_mov_b32_e32 v17, 0
	v_mov_b32_e32 v16, v17
	;; [unrolled: 1-line block ×6, first 2 shown]
	s_and_saveexec_b64 s[6:7], s[2:3]
	s_cbranch_execz .LBB32_30
; %bb.27:
	v_mov_b32_e32 v18, 0
	v_lshl_add_u64 v[20:21], v[8:9], 2, s[8:9]
	s_mov_b64 s[2:3], 0
	s_mov_b64 s[8:9], 0x480
	v_mov_b32_e32 v19, v18
	v_mov_b32_e32 v14, v18
	;; [unrolled: 1-line block ×5, first 2 shown]
.LBB32_28:                              ; =>This Inner Loop Header: Depth=1
	global_load_dword v1, v[20:21], off
	global_load_dwordx4 v[22:25], v[12:13], off offset:48
	global_load_dwordx4 v[26:29], v[12:13], off offset:16
	global_load_dwordx4 v[30:33], v[12:13], off
	v_lshl_add_u64 v[8:9], v[8:9], 0, 16
	v_cmp_ge_i64_e32 vcc, v[8:9], v[10:11]
	v_lshl_add_u64 v[20:21], v[20:21], 0, 64
	s_or_b64 s[2:3], vcc, s[2:3]
	s_waitcnt vmcnt(3)
	v_subrev_u32_e32 v1, s12, v1
	v_lshl_add_u32 v34, v1, 1, v1
	v_ashrrev_i32_e32 v35, 31, v34
	s_waitcnt lgkmcnt(0)
	v_lshl_add_u64 v[42:43], v[34:35], 3, s[4:5]
	global_load_dwordx2 v[44:45], v[42:43], off offset:16
	global_load_dwordx4 v[34:37], v[42:43], off
	global_load_dwordx4 v[38:41], v[12:13], off offset:32
	global_load_dwordx2 v[46:47], v[12:13], off offset:64
	s_waitcnt vmcnt(4)
	v_xor_b32_e32 v48, 0x80000000, v33
	v_mov_b32_e32 v49, v32
	v_xor_b32_e32 v42, 0x80000000, v29
	v_mov_b32_e32 v43, v28
	v_xor_b32_e32 v50, 0x80000000, v25
	v_mov_b32_e32 v51, v24
	v_lshl_add_u64 v[12:13], v[12:13], 0, s[8:9]
	s_waitcnt vmcnt(2)
	v_pk_fma_f32 v[16:17], v[30:31], v[34:35], v[16:17] op_sel_hi:[1,0,1]
	v_pk_fma_f32 v[18:19], v[32:33], v[34:35], v[18:19] op_sel_hi:[1,0,1]
	;; [unrolled: 1-line block ×3, first 2 shown]
	v_pk_fma_f32 v[16:17], v[30:31], v[34:35], v[16:17] op_sel:[1,1,0] op_sel_hi:[0,1,1] neg_lo:[1,0,0]
	v_pk_fma_f32 v[18:19], v[48:49], v[34:35], v[18:19] op_sel:[0,1,0]
	v_pk_fma_f32 v[14:15], v[26:27], v[34:35], v[14:15] op_sel:[1,1,0] op_sel_hi:[0,1,1] neg_lo:[1,0,0]
	s_waitcnt vmcnt(1)
	v_xor_b32_e32 v52, 0x80000000, v41
	v_mov_b32_e32 v53, v40
	v_mov_b32_e32 v54, v37
	v_pk_fma_f32 v[16:17], v[28:29], v[36:37], v[16:17] op_sel_hi:[1,0,1]
	v_pk_fma_f32 v[18:19], v[38:39], v[36:37], v[18:19] op_sel_hi:[1,0,1]
	;; [unrolled: 1-line block ×4, first 2 shown]
	v_pk_fma_f32 v[18:19], v[38:39], v[54:55], v[18:19] op_sel:[1,0,0] op_sel_hi:[0,0,1] neg_lo:[1,0,0]
	v_pk_fma_f32 v[14:15], v[52:53], v[54:55], v[14:15] op_sel_hi:[1,0,1]
	v_pk_fma_f32 v[16:17], v[22:23], v[44:45], v[16:17] op_sel_hi:[1,0,1]
	;; [unrolled: 1-line block ×3, first 2 shown]
	s_waitcnt vmcnt(0)
	v_pk_fma_f32 v[14:15], v[46:47], v[44:45], v[14:15] op_sel_hi:[1,0,1]
	v_pk_fma_f32 v[16:17], v[22:23], v[44:45], v[16:17] op_sel:[1,1,0] op_sel_hi:[0,1,1] neg_lo:[1,0,0]
	v_pk_fma_f32 v[18:19], v[50:51], v[44:45], v[18:19] op_sel:[0,1,0]
	v_pk_fma_f32 v[14:15], v[46:47], v[44:45], v[14:15] op_sel:[1,1,0] op_sel_hi:[0,1,1] neg_lo:[1,0,0]
	s_andn2_b64 exec, exec, s[2:3]
	s_cbranch_execnz .LBB32_28
; %bb.29:
	s_or_b64 exec, exec, s[2:3]
.LBB32_30:
	s_or_b64 exec, exec, s[6:7]
.LBB32_31:
	v_mov_b32_dpp v12, v19 row_shr:1 row_mask:0xf bank_mask:0xf
	v_add_f32_e32 v12, v19, v12
	v_mov_b32_dpp v10, v18 row_shr:1 row_mask:0xf bank_mask:0xf
	v_mov_b32_dpp v1, v16 row_shr:1 row_mask:0xf bank_mask:0xf
	;; [unrolled: 1-line block ×3, first 2 shown]
	v_add_f32_e32 v12, v12, v13
	v_mov_b32_dpp v8, v17 row_shr:1 row_mask:0xf bank_mask:0xf
	v_add_f32_e32 v10, v18, v10
	v_mov_b32_dpp v13, v12 row_shr:4 row_mask:0xf bank_mask:0xe
	;; [unrolled: 2-line block ×3, first 2 shown]
	v_add_f32_e32 v12, v14, v12
	v_add_f32_e32 v1, v16, v1
	;; [unrolled: 1-line block ×3, first 2 shown]
	v_mov_b32_dpp v14, v12 row_shr:2 row_mask:0xf bank_mask:0xf
	v_add_f32_e32 v12, v12, v14
	v_mov_b32_dpp v7, v1 row_shr:2 row_mask:0xf bank_mask:0xf
	v_mov_b32_dpp v9, v8 row_shr:2 row_mask:0xf bank_mask:0xf
	;; [unrolled: 1-line block ×3, first 2 shown]
	v_add_f32_e32 v18, v12, v14
	v_mov_b32_dpp v12, v15 row_shr:1 row_mask:0xf bank_mask:0xf
	v_add_f32_e32 v12, v15, v12
	v_mov_b32_dpp v11, v10 row_shr:2 row_mask:0xf bank_mask:0xf
	;; [unrolled: 2-line block ×3, first 2 shown]
	v_add_f32_e32 v8, v8, v9
	v_add_f32_e32 v10, v10, v11
	;; [unrolled: 1-line block ×3, first 2 shown]
	v_mov_b32_dpp v7, v1 row_shr:4 row_mask:0xf bank_mask:0xe
	v_mov_b32_dpp v9, v8 row_shr:4 row_mask:0xf bank_mask:0xe
	;; [unrolled: 1-line block ×4, first 2 shown]
	v_add_f32_e32 v1, v1, v7
	v_add_f32_e32 v8, v8, v9
	;; [unrolled: 1-line block ×4, first 2 shown]
	v_mov_b32_dpp v7, v1 row_shr:8 row_mask:0xf bank_mask:0xc
	v_mov_b32_dpp v9, v8 row_shr:8 row_mask:0xf bank_mask:0xc
	;; [unrolled: 1-line block ×6, first 2 shown]
	v_cmp_eq_u32_e32 vcc, 15, v0
	s_and_b64 exec, exec, vcc
	s_cbranch_execz .LBB32_14
; %bb.32:
	s_load_dwordx2 s[2:3], s[0:1], 0x50
	v_add_f32_e32 v12, v1, v7
	v_and_b32_e32 v1, 0x7fffffff, v4
	v_cmp_eq_u32_e32 vcc, 0, v1
	v_cmp_eq_f32_e64 s[0:1], 0, v5
	v_lshl_add_u32 v6, v6, 1, v6
	v_add_f32_e32 v16, v8, v9
	v_add_f32_e32 v10, v10, v11
	;; [unrolled: 1-line block ×5, first 2 shown]
	s_and_b64 s[0:1], vcc, s[0:1]
	v_ashrrev_i32_e32 v7, 31, v6
	s_waitcnt lgkmcnt(0)
	s_and_saveexec_b64 s[4:5], s[0:1]
	s_xor_b64 s[0:1], exec, s[4:5]
	s_cbranch_execz .LBB32_34
; %bb.33:
	v_xor_b32_e32 v18, 0x80000000, v3
	v_mov_b32_e32 v19, v2
	v_lshl_add_u64 v[20:21], v[6:7], 3, s[2:3]
	v_pk_mul_f32 v[4:5], v[16:17], v[18:19] op_sel_hi:[0,1]
	v_pk_mul_f32 v[6:7], v[14:15], v[18:19] op_sel_hi:[0,1]
	v_pk_fma_f32 v[4:5], v[2:3], v[12:13], v[4:5] op_sel_hi:[1,0,1]
	v_pk_fma_f32 v[6:7], v[2:3], v[10:11], v[6:7] op_sel_hi:[1,0,1]
	global_store_dwordx4 v[20:21], v[4:7], off
                                        ; implicit-def: $vgpr12
                                        ; implicit-def: $vgpr16
                                        ; implicit-def: $vgpr10
                                        ; implicit-def: $vgpr14
                                        ; implicit-def: $vgpr6
	s_nop 1
	v_pk_mul_f32 v[4:5], v[8:9], v[18:19] op_sel_hi:[0,1]
	v_pk_fma_f32 v[0:1], v[2:3], v[0:1], v[4:5] op_sel_hi:[1,0,1]
	global_store_dwordx2 v[20:21], v[0:1], off offset:16
                                        ; implicit-def: $vgpr3
                                        ; implicit-def: $vgpr4
                                        ; implicit-def: $vgpr0
                                        ; implicit-def: $vgpr8
.LBB32_34:
	s_andn2_saveexec_b64 s[0:1], s[0:1]
	s_cbranch_execz .LBB32_14
; %bb.35:
	v_lshl_add_u64 v[6:7], v[6:7], 3, s[2:3]
	global_load_dwordx4 v[18:21], v[6:7], off
	global_load_dwordx2 v[22:23], v[6:7], off offset:16
	v_xor_b32_e32 v24, 0x80000000, v3
	v_mov_b32_e32 v25, v2
	v_pk_mul_f32 v[16:17], v[16:17], v[24:25] op_sel_hi:[0,1]
	v_pk_mul_f32 v[14:15], v[14:15], v[24:25] op_sel_hi:[0,1]
	;; [unrolled: 1-line block ×3, first 2 shown]
	v_pk_fma_f32 v[12:13], v[2:3], v[12:13], v[16:17] op_sel_hi:[1,0,1]
	v_pk_fma_f32 v[10:11], v[2:3], v[10:11], v[14:15] op_sel_hi:[1,0,1]
	v_xor_b32_e32 v26, 0x80000000, v5
	v_mov_b32_e32 v27, v4
	v_pk_fma_f32 v[0:1], v[2:3], v[0:1], v[8:9] op_sel_hi:[1,0,1]
	s_waitcnt vmcnt(1)
	v_pk_fma_f32 v[2:3], v[4:5], v[18:19], v[12:13] op_sel_hi:[1,0,1]
	v_pk_fma_f32 v[8:9], v[4:5], v[20:21], v[10:11] op_sel_hi:[1,0,1]
	v_mov_b32_e32 v10, v21
	s_waitcnt vmcnt(0)
	v_pk_fma_f32 v[4:5], v[4:5], v[22:23], v[0:1] op_sel_hi:[1,0,1]
	v_pk_fma_f32 v[0:1], v[26:27], v[18:19], v[2:3] op_sel:[0,1,0]
	v_pk_fma_f32 v[2:3], v[26:27], v[10:11], v[8:9] op_sel_hi:[1,0,1]
	v_pk_fma_f32 v[4:5], v[26:27], v[22:23], v[4:5] op_sel:[0,1,0]
	global_store_dwordx4 v[6:7], v[0:3], off
	global_store_dwordx2 v[6:7], v[4:5], off offset:16
	s_endpgm
	.section	.rodata,"a",@progbits
	.p2align	6, 0x0
	.amdhsa_kernel _ZN9rocsparseL18bsrxmvn_3x3_kernelILj256ELj16E21rocsparse_complex_numIfEliS2_S2_S2_EEvT3_20rocsparse_direction_NS_24const_host_device_scalarIT1_EES3_PKS3_PKT2_SC_S9_PKT4_PKT5_S7_PT6_21rocsparse_index_base_b
		.amdhsa_group_segment_fixed_size 0
		.amdhsa_private_segment_fixed_size 0
		.amdhsa_kernarg_size 96
		.amdhsa_user_sgpr_count 2
		.amdhsa_user_sgpr_dispatch_ptr 0
		.amdhsa_user_sgpr_queue_ptr 0
		.amdhsa_user_sgpr_kernarg_segment_ptr 1
		.amdhsa_user_sgpr_dispatch_id 0
		.amdhsa_user_sgpr_kernarg_preload_length 0
		.amdhsa_user_sgpr_kernarg_preload_offset 0
		.amdhsa_user_sgpr_private_segment_size 0
		.amdhsa_uses_dynamic_stack 0
		.amdhsa_enable_private_segment 0
		.amdhsa_system_sgpr_workgroup_id_x 1
		.amdhsa_system_sgpr_workgroup_id_y 0
		.amdhsa_system_sgpr_workgroup_id_z 0
		.amdhsa_system_sgpr_workgroup_info 0
		.amdhsa_system_vgpr_workitem_id 0
		.amdhsa_next_free_vgpr 60
		.amdhsa_next_free_sgpr 16
		.amdhsa_accum_offset 60
		.amdhsa_reserve_vcc 1
		.amdhsa_float_round_mode_32 0
		.amdhsa_float_round_mode_16_64 0
		.amdhsa_float_denorm_mode_32 3
		.amdhsa_float_denorm_mode_16_64 3
		.amdhsa_dx10_clamp 1
		.amdhsa_ieee_mode 1
		.amdhsa_fp16_overflow 0
		.amdhsa_tg_split 0
		.amdhsa_exception_fp_ieee_invalid_op 0
		.amdhsa_exception_fp_denorm_src 0
		.amdhsa_exception_fp_ieee_div_zero 0
		.amdhsa_exception_fp_ieee_overflow 0
		.amdhsa_exception_fp_ieee_underflow 0
		.amdhsa_exception_fp_ieee_inexact 0
		.amdhsa_exception_int_div_zero 0
	.end_amdhsa_kernel
	.section	.text._ZN9rocsparseL18bsrxmvn_3x3_kernelILj256ELj16E21rocsparse_complex_numIfEliS2_S2_S2_EEvT3_20rocsparse_direction_NS_24const_host_device_scalarIT1_EES3_PKS3_PKT2_SC_S9_PKT4_PKT5_S7_PT6_21rocsparse_index_base_b,"axG",@progbits,_ZN9rocsparseL18bsrxmvn_3x3_kernelILj256ELj16E21rocsparse_complex_numIfEliS2_S2_S2_EEvT3_20rocsparse_direction_NS_24const_host_device_scalarIT1_EES3_PKS3_PKT2_SC_S9_PKT4_PKT5_S7_PT6_21rocsparse_index_base_b,comdat
.Lfunc_end32:
	.size	_ZN9rocsparseL18bsrxmvn_3x3_kernelILj256ELj16E21rocsparse_complex_numIfEliS2_S2_S2_EEvT3_20rocsparse_direction_NS_24const_host_device_scalarIT1_EES3_PKS3_PKT2_SC_S9_PKT4_PKT5_S7_PT6_21rocsparse_index_base_b, .Lfunc_end32-_ZN9rocsparseL18bsrxmvn_3x3_kernelILj256ELj16E21rocsparse_complex_numIfEliS2_S2_S2_EEvT3_20rocsparse_direction_NS_24const_host_device_scalarIT1_EES3_PKS3_PKT2_SC_S9_PKT4_PKT5_S7_PT6_21rocsparse_index_base_b
                                        ; -- End function
	.section	.AMDGPU.csdata,"",@progbits
; Kernel info:
; codeLenInByte = 2112
; NumSgprs: 22
; NumVgprs: 60
; NumAgprs: 0
; TotalNumVgprs: 60
; ScratchSize: 0
; MemoryBound: 0
; FloatMode: 240
; IeeeMode: 1
; LDSByteSize: 0 bytes/workgroup (compile time only)
; SGPRBlocks: 2
; VGPRBlocks: 7
; NumSGPRsForWavesPerEU: 22
; NumVGPRsForWavesPerEU: 60
; AccumOffset: 60
; Occupancy: 8
; WaveLimiterHint : 1
; COMPUTE_PGM_RSRC2:SCRATCH_EN: 0
; COMPUTE_PGM_RSRC2:USER_SGPR: 2
; COMPUTE_PGM_RSRC2:TRAP_HANDLER: 0
; COMPUTE_PGM_RSRC2:TGID_X_EN: 1
; COMPUTE_PGM_RSRC2:TGID_Y_EN: 0
; COMPUTE_PGM_RSRC2:TGID_Z_EN: 0
; COMPUTE_PGM_RSRC2:TIDIG_COMP_CNT: 0
; COMPUTE_PGM_RSRC3_GFX90A:ACCUM_OFFSET: 14
; COMPUTE_PGM_RSRC3_GFX90A:TG_SPLIT: 0
	.section	.text._ZN9rocsparseL18bsrxmvn_3x3_kernelILj256ELj32E21rocsparse_complex_numIfEliS2_S2_S2_EEvT3_20rocsparse_direction_NS_24const_host_device_scalarIT1_EES3_PKS3_PKT2_SC_S9_PKT4_PKT5_S7_PT6_21rocsparse_index_base_b,"axG",@progbits,_ZN9rocsparseL18bsrxmvn_3x3_kernelILj256ELj32E21rocsparse_complex_numIfEliS2_S2_S2_EEvT3_20rocsparse_direction_NS_24const_host_device_scalarIT1_EES3_PKS3_PKT2_SC_S9_PKT4_PKT5_S7_PT6_21rocsparse_index_base_b,comdat
	.globl	_ZN9rocsparseL18bsrxmvn_3x3_kernelILj256ELj32E21rocsparse_complex_numIfEliS2_S2_S2_EEvT3_20rocsparse_direction_NS_24const_host_device_scalarIT1_EES3_PKS3_PKT2_SC_S9_PKT4_PKT5_S7_PT6_21rocsparse_index_base_b ; -- Begin function _ZN9rocsparseL18bsrxmvn_3x3_kernelILj256ELj32E21rocsparse_complex_numIfEliS2_S2_S2_EEvT3_20rocsparse_direction_NS_24const_host_device_scalarIT1_EES3_PKS3_PKT2_SC_S9_PKT4_PKT5_S7_PT6_21rocsparse_index_base_b
	.p2align	8
	.type	_ZN9rocsparseL18bsrxmvn_3x3_kernelILj256ELj32E21rocsparse_complex_numIfEliS2_S2_S2_EEvT3_20rocsparse_direction_NS_24const_host_device_scalarIT1_EES3_PKS3_PKT2_SC_S9_PKT4_PKT5_S7_PT6_21rocsparse_index_base_b,@function
_ZN9rocsparseL18bsrxmvn_3x3_kernelILj256ELj32E21rocsparse_complex_numIfEliS2_S2_S2_EEvT3_20rocsparse_direction_NS_24const_host_device_scalarIT1_EES3_PKS3_PKT2_SC_S9_PKT4_PKT5_S7_PT6_21rocsparse_index_base_b: ; @_ZN9rocsparseL18bsrxmvn_3x3_kernelILj256ELj32E21rocsparse_complex_numIfEliS2_S2_S2_EEvT3_20rocsparse_direction_NS_24const_host_device_scalarIT1_EES3_PKS3_PKT2_SC_S9_PKT4_PKT5_S7_PT6_21rocsparse_index_base_b
; %bb.0:
	s_load_dwordx2 s[12:13], s[0:1], 0x58
	s_load_dwordx2 s[8:9], s[0:1], 0x8
	s_load_dwordx2 s[6:7], s[0:1], 0x48
	s_waitcnt lgkmcnt(0)
	s_bitcmp1_b32 s13, 0
	s_cselect_b64 s[4:5], -1, 0
	s_xor_b64 s[10:11], s[4:5], -1
	s_and_b64 vcc, exec, s[4:5]
	v_mov_b32_e32 v2, s8
	s_cbranch_vccnz .LBB33_2
; %bb.1:
	v_mov_b64_e32 v[2:3], s[8:9]
	flat_load_dword v2, v[2:3]
.LBB33_2:
	v_cndmask_b32_e64 v1, 0, 1, s[10:11]
	v_cmp_ne_u32_e64 s[4:5], 1, v1
	s_andn2_b64 vcc, exec, s[10:11]
	v_mov_b32_e32 v3, s9
	s_cbranch_vccz .LBB33_15
; %bb.3:
	s_and_b64 vcc, exec, s[4:5]
	v_mov_b32_e32 v4, s6
	s_cbranch_vccz .LBB33_16
.LBB33_4:
	s_and_b64 vcc, exec, s[4:5]
	v_mov_b32_e32 v5, s7
	s_cbranch_vccnz .LBB33_6
.LBB33_5:
	v_mov_b64_e32 v[6:7], s[6:7]
	flat_load_dword v5, v[6:7] offset:4
.LBB33_6:
	s_waitcnt vmcnt(0) lgkmcnt(0)
	v_and_b32_e32 v1, 0x7fffffff, v2
	v_cmp_eq_u32_e32 vcc, 0, v1
	v_cmp_eq_f32_e64 s[4:5], 0, v3
	s_and_b64 s[8:9], vcc, s[4:5]
	s_mov_b64 s[4:5], -1
	s_and_saveexec_b64 s[6:7], s[8:9]
; %bb.7:
	v_and_b32_e32 v1, 0x7fffffff, v5
	v_cmp_neq_f32_e32 vcc, 1.0, v4
	v_cmp_ne_u32_e64 s[4:5], 0, v1
	s_or_b64 s[4:5], vcc, s[4:5]
	s_orn2_b64 s[4:5], s[4:5], exec
; %bb.8:
	s_or_b64 exec, exec, s[6:7]
	s_and_saveexec_b64 s[6:7], s[4:5]
	s_cbranch_execz .LBB33_14
; %bb.9:
	s_load_dwordx2 s[4:5], s[0:1], 0x18
	s_load_dwordx2 s[14:15], s[0:1], 0x0
	v_lshrrev_b32_e32 v1, 5, v0
	v_lshl_or_b32 v6, s2, 3, v1
	s_mov_b64 s[2:3], 0
	s_waitcnt lgkmcnt(0)
	s_cmp_lg_u64 s[4:5], 0
	s_cbranch_scc0 .LBB33_17
; %bb.10:
	s_load_dword s6, s[0:1], 0x10
                                        ; implicit-def: $vgpr1
	s_waitcnt lgkmcnt(0)
	v_cmp_gt_i32_e32 vcc, s6, v6
	s_and_saveexec_b64 s[6:7], vcc
	s_xor_b64 s[6:7], exec, s[6:7]
	s_cbranch_execz .LBB33_12
; %bb.11:
	v_ashrrev_i32_e32 v7, 31, v6
	v_lshl_add_u64 v[8:9], v[6:7], 2, s[4:5]
	global_load_dword v1, v[8:9], off
	s_mov_b64 s[2:3], exec
	s_waitcnt vmcnt(0)
	v_subrev_u32_e32 v1, s12, v1
.LBB33_12:
	s_or_b64 exec, exec, s[6:7]
	s_branch .LBB33_18
.LBB33_13:
	v_cmp_gt_i32_e32 vcc, s14, v6
	s_andn2_b64 s[2:3], s[2:3], exec
	s_and_b64 s[4:5], vcc, exec
	s_or_b64 s[2:3], s[2:3], s[4:5]
	s_and_b64 exec, exec, s[2:3]
	s_cbranch_execnz .LBB33_19
.LBB33_14:
	s_endpgm
.LBB33_15:
	v_mov_b64_e32 v[4:5], s[8:9]
	flat_load_dword v3, v[4:5] offset:4
	s_and_b64 vcc, exec, s[4:5]
	v_mov_b32_e32 v4, s6
	s_cbranch_vccnz .LBB33_4
.LBB33_16:
	v_mov_b64_e32 v[4:5], s[6:7]
	flat_load_dword v4, v[4:5]
	s_and_b64 vcc, exec, s[4:5]
	v_mov_b32_e32 v5, s7
	s_cbranch_vccz .LBB33_5
	s_branch .LBB33_6
.LBB33_17:
                                        ; implicit-def: $vgpr1
	s_cbranch_execnz .LBB33_13
.LBB33_18:
	v_mov_b32_e32 v6, v1
	s_and_b64 exec, exec, s[2:3]
	s_cbranch_execz .LBB33_14
.LBB33_19:
	s_load_dwordx8 s[4:11], s[0:1], 0x20
	v_ashrrev_i32_e32 v7, 31, v6
	v_lshlrev_b64 v[8:9], 3, v[6:7]
	v_mov_b32_e32 v19, 0
	v_and_b32_e32 v0, 31, v0
	s_waitcnt lgkmcnt(0)
	v_lshl_add_u64 v[10:11], s[4:5], 0, v[8:9]
	global_load_dwordx2 v[12:13], v[10:11], off
	s_cmp_eq_u64 s[6:7], 0
	v_lshl_add_u64 v[8:9], s[6:7], 0, v[8:9]
	v_lshl_add_u64 v[10:11], v[10:11], 0, 8
	s_cselect_b64 vcc, -1, 0
	v_cndmask_b32_e32 v9, v9, v11, vcc
	v_cndmask_b32_e32 v8, v8, v10, vcc
	global_load_dwordx2 v[8:9], v[8:9], off
	v_mov_b32_e32 v1, v19
	s_load_dwordx2 s[4:5], s[0:1], 0x40
	s_movk_i32 s6, 0x48
	v_mov_b64_e32 v[14:15], s[10:11]
	s_cmp_eq_u32 s15, 1
	s_waitcnt vmcnt(1)
	v_subrev_co_u32_e32 v10, vcc, s12, v12
	s_nop 1
	v_subbrev_co_u32_e32 v11, vcc, 0, v13, vcc
	v_lshl_add_u64 v[10:11], v[10:11], 0, v[0:1]
	v_mad_u64_u32 v[14:15], s[2:3], v10, s6, v[14:15]
	s_waitcnt vmcnt(0)
	v_subrev_co_u32_e32 v12, vcc, s12, v8
	v_mov_b32_e32 v8, v15
	s_nop 0
	v_subbrev_co_u32_e32 v13, vcc, 0, v9, vcc
	v_mad_u64_u32 v[8:9], s[2:3], v11, s6, v[8:9]
	v_mov_b32_e32 v15, v8
	v_cmp_lt_i64_e64 s[2:3], v[10:11], v[12:13]
	s_cbranch_scc1 .LBB33_25
; %bb.20:
	v_mov_b32_e32 v18, 0
	v_mov_b32_e32 v9, 0
	;; [unrolled: 1-line block ×5, first 2 shown]
	s_and_saveexec_b64 s[6:7], s[2:3]
	s_cbranch_execz .LBB33_24
; %bb.21:
	v_mov_b32_e32 v16, 0
	v_lshl_add_u64 v[20:21], v[10:11], 2, s[8:9]
	s_mov_b64 s[10:11], 0
	s_mov_b64 s[14:15], 0x80
	;; [unrolled: 1-line block ×3, first 2 shown]
	v_mov_b64_e32 v[22:23], v[10:11]
	v_mov_b64_e32 v[24:25], v[14:15]
	v_mov_b32_e32 v17, v16
	v_mov_b32_e32 v8, v16
	v_mov_b32_e32 v9, v16
	v_mov_b32_e32 v18, v16
	v_mov_b32_e32 v19, v16
.LBB33_22:                              ; =>This Inner Loop Header: Depth=1
	global_load_dword v1, v[20:21], off
	global_load_dwordx4 v[26:29], v[24:25], off offset:48
	global_load_dwordx4 v[30:33], v[24:25], off offset:16
	global_load_dwordx4 v[34:37], v[24:25], off
	v_lshl_add_u64 v[22:23], v[22:23], 0, 32
	v_cmp_ge_i64_e32 vcc, v[22:23], v[12:13]
	v_lshl_add_u64 v[20:21], v[20:21], 0, s[14:15]
	s_or_b64 s[10:11], vcc, s[10:11]
	s_waitcnt vmcnt(3)
	v_subrev_u32_e32 v1, s12, v1
	v_lshl_add_u32 v38, v1, 1, v1
	v_ashrrev_i32_e32 v39, 31, v38
	s_waitcnt lgkmcnt(0)
	v_lshl_add_u64 v[46:47], v[38:39], 3, s[4:5]
	global_load_dwordx2 v[48:49], v[46:47], off offset:16
	global_load_dwordx4 v[38:41], v[46:47], off
	global_load_dwordx4 v[42:45], v[24:25], off offset:32
	global_load_dwordx2 v[50:51], v[24:25], off offset:64
	s_waitcnt vmcnt(5)
	v_xor_b32_e32 v52, 0x80000000, v33
	v_mov_b32_e32 v53, v32
	s_waitcnt vmcnt(4)
	v_xor_b32_e32 v46, 0x80000000, v37
	v_mov_b32_e32 v47, v36
	v_xor_b32_e32 v56, 0x80000000, v29
	v_mov_b32_e32 v57, v28
	v_lshl_add_u64 v[24:25], v[24:25], 0, s[16:17]
	s_waitcnt vmcnt(2)
	v_pk_fma_f32 v[18:19], v[34:35], v[38:39], v[18:19] op_sel_hi:[1,0,1]
	v_pk_fma_f32 v[16:17], v[32:33], v[38:39], v[16:17] op_sel_hi:[1,0,1]
	;; [unrolled: 1-line block ×3, first 2 shown]
	v_pk_fma_f32 v[18:19], v[34:35], v[38:39], v[18:19] op_sel:[1,1,0] op_sel_hi:[0,1,1] neg_lo:[1,0,0]
	v_pk_fma_f32 v[16:17], v[52:53], v[38:39], v[16:17] op_sel:[0,1,0]
	v_pk_fma_f32 v[8:9], v[26:27], v[38:39], v[8:9] op_sel:[1,1,0] op_sel_hi:[0,1,1] neg_lo:[1,0,0]
	v_mov_b32_e32 v58, v41
	v_pk_fma_f32 v[18:19], v[36:37], v[40:41], v[18:19] op_sel_hi:[1,0,1]
	s_waitcnt vmcnt(1)
	v_pk_fma_f32 v[16:17], v[42:43], v[40:41], v[16:17] op_sel_hi:[1,0,1]
	v_pk_fma_f32 v[8:9], v[28:29], v[40:41], v[8:9] op_sel_hi:[1,0,1]
	;; [unrolled: 1-line block ×3, first 2 shown]
	v_pk_fma_f32 v[16:17], v[42:43], v[58:59], v[16:17] op_sel:[1,0,0] op_sel_hi:[0,0,1] neg_lo:[1,0,0]
	v_pk_fma_f32 v[8:9], v[56:57], v[58:59], v[8:9] op_sel_hi:[1,0,1]
	v_xor_b32_e32 v54, 0x80000000, v45
	v_mov_b32_e32 v55, v44
	v_pk_fma_f32 v[18:19], v[30:31], v[48:49], v[18:19] op_sel_hi:[1,0,1]
	v_pk_fma_f32 v[16:17], v[44:45], v[48:49], v[16:17] op_sel_hi:[1,0,1]
	s_waitcnt vmcnt(0)
	v_pk_fma_f32 v[8:9], v[50:51], v[48:49], v[8:9] op_sel_hi:[1,0,1]
	v_pk_fma_f32 v[18:19], v[30:31], v[48:49], v[18:19] op_sel:[1,1,0] op_sel_hi:[0,1,1] neg_lo:[1,0,0]
	v_pk_fma_f32 v[16:17], v[54:55], v[48:49], v[16:17] op_sel:[0,1,0]
	v_pk_fma_f32 v[8:9], v[50:51], v[48:49], v[8:9] op_sel:[1,1,0] op_sel_hi:[0,1,1] neg_lo:[1,0,0]
	s_andn2_b64 exec, exec, s[10:11]
	s_cbranch_execnz .LBB33_22
; %bb.23:
	s_or_b64 exec, exec, s[10:11]
.LBB33_24:
	s_or_b64 exec, exec, s[6:7]
	s_cbranch_execz .LBB33_26
	s_branch .LBB33_31
.LBB33_25:
                                        ; implicit-def: $vgpr19
                                        ; implicit-def: $vgpr9
                                        ; implicit-def: $vgpr17
.LBB33_26:
	v_mov_b32_e32 v19, 0
	v_mov_b32_e32 v18, v19
	;; [unrolled: 1-line block ×6, first 2 shown]
	s_and_saveexec_b64 s[6:7], s[2:3]
	s_cbranch_execz .LBB33_30
; %bb.27:
	v_mov_b32_e32 v16, 0
	v_lshl_add_u64 v[20:21], v[10:11], 2, s[8:9]
	s_mov_b64 s[2:3], 0
	s_mov_b64 s[8:9], 0x80
	;; [unrolled: 1-line block ×3, first 2 shown]
	v_mov_b32_e32 v17, v16
	v_mov_b32_e32 v8, v16
	;; [unrolled: 1-line block ×5, first 2 shown]
.LBB33_28:                              ; =>This Inner Loop Header: Depth=1
	global_load_dword v1, v[20:21], off
	global_load_dwordx4 v[22:25], v[14:15], off offset:48
	global_load_dwordx4 v[26:29], v[14:15], off offset:16
	global_load_dwordx4 v[30:33], v[14:15], off
	v_lshl_add_u64 v[10:11], v[10:11], 0, 32
	v_cmp_ge_i64_e32 vcc, v[10:11], v[12:13]
	v_lshl_add_u64 v[20:21], v[20:21], 0, s[8:9]
	s_or_b64 s[2:3], vcc, s[2:3]
	s_waitcnt vmcnt(3)
	v_subrev_u32_e32 v1, s12, v1
	v_lshl_add_u32 v34, v1, 1, v1
	v_ashrrev_i32_e32 v35, 31, v34
	s_waitcnt lgkmcnt(0)
	v_lshl_add_u64 v[42:43], v[34:35], 3, s[4:5]
	global_load_dwordx2 v[44:45], v[42:43], off offset:16
	global_load_dwordx4 v[34:37], v[42:43], off
	global_load_dwordx4 v[38:41], v[14:15], off offset:32
	global_load_dwordx2 v[46:47], v[14:15], off offset:64
	s_waitcnt vmcnt(4)
	v_xor_b32_e32 v48, 0x80000000, v33
	v_mov_b32_e32 v49, v32
	v_xor_b32_e32 v42, 0x80000000, v29
	v_mov_b32_e32 v43, v28
	;; [unrolled: 2-line block ×3, first 2 shown]
	v_lshl_add_u64 v[14:15], v[14:15], 0, s[10:11]
	s_waitcnt vmcnt(2)
	v_pk_fma_f32 v[18:19], v[30:31], v[34:35], v[18:19] op_sel_hi:[1,0,1]
	v_pk_fma_f32 v[16:17], v[32:33], v[34:35], v[16:17] op_sel_hi:[1,0,1]
	;; [unrolled: 1-line block ×3, first 2 shown]
	v_pk_fma_f32 v[18:19], v[30:31], v[34:35], v[18:19] op_sel:[1,1,0] op_sel_hi:[0,1,1] neg_lo:[1,0,0]
	v_pk_fma_f32 v[16:17], v[48:49], v[34:35], v[16:17] op_sel:[0,1,0]
	v_pk_fma_f32 v[8:9], v[26:27], v[34:35], v[8:9] op_sel:[1,1,0] op_sel_hi:[0,1,1] neg_lo:[1,0,0]
	s_waitcnt vmcnt(1)
	v_xor_b32_e32 v52, 0x80000000, v41
	v_mov_b32_e32 v53, v40
	v_mov_b32_e32 v54, v37
	v_pk_fma_f32 v[18:19], v[28:29], v[36:37], v[18:19] op_sel_hi:[1,0,1]
	v_pk_fma_f32 v[16:17], v[38:39], v[36:37], v[16:17] op_sel_hi:[1,0,1]
	;; [unrolled: 1-line block ×4, first 2 shown]
	v_pk_fma_f32 v[16:17], v[38:39], v[54:55], v[16:17] op_sel:[1,0,0] op_sel_hi:[0,0,1] neg_lo:[1,0,0]
	v_pk_fma_f32 v[8:9], v[52:53], v[54:55], v[8:9] op_sel_hi:[1,0,1]
	v_pk_fma_f32 v[18:19], v[22:23], v[44:45], v[18:19] op_sel_hi:[1,0,1]
	;; [unrolled: 1-line block ×3, first 2 shown]
	s_waitcnt vmcnt(0)
	v_pk_fma_f32 v[8:9], v[46:47], v[44:45], v[8:9] op_sel_hi:[1,0,1]
	v_pk_fma_f32 v[18:19], v[22:23], v[44:45], v[18:19] op_sel:[1,1,0] op_sel_hi:[0,1,1] neg_lo:[1,0,0]
	v_pk_fma_f32 v[16:17], v[50:51], v[44:45], v[16:17] op_sel:[0,1,0]
	v_pk_fma_f32 v[8:9], v[46:47], v[44:45], v[8:9] op_sel:[1,1,0] op_sel_hi:[0,1,1] neg_lo:[1,0,0]
	s_andn2_b64 exec, exec, s[2:3]
	s_cbranch_execnz .LBB33_28
; %bb.29:
	s_or_b64 exec, exec, s[2:3]
.LBB33_30:
	s_or_b64 exec, exec, s[6:7]
.LBB33_31:
	v_mov_b32_dpp v12, v16 row_shr:1 row_mask:0xf bank_mask:0xf
	v_add_f32_e32 v12, v16, v12
	v_mov_b32_dpp v1, v18 row_shr:1 row_mask:0xf bank_mask:0xf
	v_mov_b32_dpp v10, v19 row_shr:1 row_mask:0xf bank_mask:0xf
	;; [unrolled: 1-line block ×3, first 2 shown]
	v_add_f32_e32 v12, v12, v13
	v_add_f32_e32 v1, v18, v1
	v_add_f32_e32 v10, v19, v10
	v_mov_b32_dpp v13, v12 row_shr:4 row_mask:0xf bank_mask:0xe
	v_add_f32_e32 v12, v12, v13
	v_mov_b32_dpp v7, v1 row_shr:2 row_mask:0xf bank_mask:0xf
	v_mov_b32_dpp v11, v10 row_shr:2 row_mask:0xf bank_mask:0xf
	;; [unrolled: 1-line block ×3, first 2 shown]
	v_add_f32_e32 v13, v12, v13
	v_mov_b32_dpp v12, v17 row_shr:1 row_mask:0xf bank_mask:0xf
	v_add_f32_e32 v12, v17, v12
	v_add_f32_e32 v1, v1, v7
	;; [unrolled: 1-line block ×3, first 2 shown]
	v_mov_b32_dpp v15, v12 row_shr:2 row_mask:0xf bank_mask:0xf
	v_add_f32_e32 v12, v12, v15
	v_mov_b32_dpp v7, v1 row_shr:4 row_mask:0xf bank_mask:0xe
	v_mov_b32_dpp v11, v10 row_shr:4 row_mask:0xf bank_mask:0xe
	;; [unrolled: 1-line block ×3, first 2 shown]
	v_add_f32_e32 v12, v12, v15
	v_add_f32_e32 v1, v1, v7
	;; [unrolled: 1-line block ×3, first 2 shown]
	v_mov_b32_dpp v15, v12 row_shr:8 row_mask:0xf bank_mask:0xc
	v_add_f32_e32 v15, v12, v15
	v_mov_b32_dpp v12, v8 row_shr:1 row_mask:0xf bank_mask:0xf
	v_add_f32_e32 v8, v8, v12
	v_mov_b32_dpp v7, v1 row_shr:8 row_mask:0xf bank_mask:0xc
	v_mov_b32_dpp v11, v10 row_shr:8 row_mask:0xf bank_mask:0xc
	v_mov_b32_dpp v12, v8 row_shr:2 row_mask:0xf bank_mask:0xf
	v_add_f32_e32 v8, v8, v12
	v_add_f32_e32 v1, v1, v7
	;; [unrolled: 1-line block ×3, first 2 shown]
	v_mov_b32_dpp v12, v8 row_shr:4 row_mask:0xf bank_mask:0xe
	v_add_f32_e32 v8, v8, v12
	v_mov_b32_dpp v7, v1 row_bcast:15 row_mask:0xa bank_mask:0xf
	v_mov_b32_dpp v11, v10 row_bcast:15 row_mask:0xa bank_mask:0xf
	v_mov_b32_dpp v12, v8 row_shr:8 row_mask:0xf bank_mask:0xc
	v_add_f32_e32 v8, v8, v12
	v_mov_b32_dpp v14, v13 row_bcast:15 row_mask:0xa bank_mask:0xf
	v_mov_b32_dpp v12, v9 row_shr:1 row_mask:0xf bank_mask:0xf
	v_add_f32_e32 v9, v9, v12
	v_mov_b32_dpp v17, v15 row_bcast:15 row_mask:0xa bank_mask:0xf
	v_mov_b32_dpp v18, v8 row_bcast:15 row_mask:0xa bank_mask:0xf
	v_mov_b32_dpp v12, v9 row_shr:2 row_mask:0xf bank_mask:0xf
	v_add_f32_e32 v9, v9, v12
	v_cmp_eq_u32_e32 vcc, 31, v0
	s_nop 0
	v_mov_b32_dpp v12, v9 row_shr:4 row_mask:0xf bank_mask:0xe
	v_add_f32_e32 v9, v9, v12
	s_nop 1
	v_mov_b32_dpp v12, v9 row_shr:8 row_mask:0xf bank_mask:0xc
	v_add_f32_e32 v9, v9, v12
	s_nop 1
	v_mov_b32_dpp v19, v9 row_bcast:15 row_mask:0xa bank_mask:0xf
	s_and_b64 exec, exec, vcc
	s_cbranch_execz .LBB33_14
; %bb.32:
	s_load_dwordx2 s[2:3], s[0:1], 0x50
	v_add_f32_e32 v12, v1, v7
	v_and_b32_e32 v1, 0x7fffffff, v4
	v_cmp_eq_u32_e32 vcc, 0, v1
	v_cmp_eq_f32_e64 s[0:1], 0, v5
	v_lshl_add_u32 v6, v6, 1, v6
	v_add_f32_e32 v16, v10, v11
	v_add_f32_e32 v10, v13, v14
	;; [unrolled: 1-line block ×5, first 2 shown]
	s_and_b64 s[0:1], vcc, s[0:1]
	v_ashrrev_i32_e32 v7, 31, v6
	s_waitcnt lgkmcnt(0)
	s_and_saveexec_b64 s[4:5], s[0:1]
	s_xor_b64 s[0:1], exec, s[4:5]
	s_cbranch_execz .LBB33_34
; %bb.33:
	v_xor_b32_e32 v18, 0x80000000, v3
	v_mov_b32_e32 v19, v2
	v_lshl_add_u64 v[20:21], v[6:7], 3, s[2:3]
	v_pk_mul_f32 v[4:5], v[16:17], v[18:19] op_sel_hi:[0,1]
	v_pk_mul_f32 v[6:7], v[14:15], v[18:19] op_sel_hi:[0,1]
	v_pk_fma_f32 v[4:5], v[2:3], v[12:13], v[4:5] op_sel_hi:[1,0,1]
	v_pk_fma_f32 v[6:7], v[2:3], v[10:11], v[6:7] op_sel_hi:[1,0,1]
	global_store_dwordx4 v[20:21], v[4:7], off
                                        ; implicit-def: $vgpr12
                                        ; implicit-def: $vgpr16
                                        ; implicit-def: $vgpr10
                                        ; implicit-def: $vgpr14
                                        ; implicit-def: $vgpr6
	s_nop 1
	v_pk_mul_f32 v[4:5], v[8:9], v[18:19] op_sel_hi:[0,1]
	v_pk_fma_f32 v[0:1], v[2:3], v[0:1], v[4:5] op_sel_hi:[1,0,1]
	global_store_dwordx2 v[20:21], v[0:1], off offset:16
                                        ; implicit-def: $vgpr3
                                        ; implicit-def: $vgpr4
                                        ; implicit-def: $vgpr0
                                        ; implicit-def: $vgpr8
.LBB33_34:
	s_andn2_saveexec_b64 s[0:1], s[0:1]
	s_cbranch_execz .LBB33_14
; %bb.35:
	v_lshl_add_u64 v[6:7], v[6:7], 3, s[2:3]
	global_load_dwordx4 v[18:21], v[6:7], off
	global_load_dwordx2 v[22:23], v[6:7], off offset:16
	v_xor_b32_e32 v24, 0x80000000, v3
	v_mov_b32_e32 v25, v2
	v_pk_mul_f32 v[16:17], v[16:17], v[24:25] op_sel_hi:[0,1]
	v_pk_mul_f32 v[14:15], v[14:15], v[24:25] op_sel_hi:[0,1]
	;; [unrolled: 1-line block ×3, first 2 shown]
	v_pk_fma_f32 v[12:13], v[2:3], v[12:13], v[16:17] op_sel_hi:[1,0,1]
	v_pk_fma_f32 v[10:11], v[2:3], v[10:11], v[14:15] op_sel_hi:[1,0,1]
	v_xor_b32_e32 v26, 0x80000000, v5
	v_mov_b32_e32 v27, v4
	v_pk_fma_f32 v[0:1], v[2:3], v[0:1], v[8:9] op_sel_hi:[1,0,1]
	s_waitcnt vmcnt(1)
	v_pk_fma_f32 v[2:3], v[4:5], v[18:19], v[12:13] op_sel_hi:[1,0,1]
	v_pk_fma_f32 v[8:9], v[4:5], v[20:21], v[10:11] op_sel_hi:[1,0,1]
	v_mov_b32_e32 v10, v21
	s_waitcnt vmcnt(0)
	v_pk_fma_f32 v[4:5], v[4:5], v[22:23], v[0:1] op_sel_hi:[1,0,1]
	v_pk_fma_f32 v[0:1], v[26:27], v[18:19], v[2:3] op_sel:[0,1,0]
	v_pk_fma_f32 v[2:3], v[26:27], v[10:11], v[8:9] op_sel_hi:[1,0,1]
	v_pk_fma_f32 v[4:5], v[26:27], v[22:23], v[4:5] op_sel:[0,1,0]
	global_store_dwordx4 v[6:7], v[0:3], off
	global_store_dwordx2 v[6:7], v[4:5], off offset:16
	s_endpgm
	.section	.rodata,"a",@progbits
	.p2align	6, 0x0
	.amdhsa_kernel _ZN9rocsparseL18bsrxmvn_3x3_kernelILj256ELj32E21rocsparse_complex_numIfEliS2_S2_S2_EEvT3_20rocsparse_direction_NS_24const_host_device_scalarIT1_EES3_PKS3_PKT2_SC_S9_PKT4_PKT5_S7_PT6_21rocsparse_index_base_b
		.amdhsa_group_segment_fixed_size 0
		.amdhsa_private_segment_fixed_size 0
		.amdhsa_kernarg_size 96
		.amdhsa_user_sgpr_count 2
		.amdhsa_user_sgpr_dispatch_ptr 0
		.amdhsa_user_sgpr_queue_ptr 0
		.amdhsa_user_sgpr_kernarg_segment_ptr 1
		.amdhsa_user_sgpr_dispatch_id 0
		.amdhsa_user_sgpr_kernarg_preload_length 0
		.amdhsa_user_sgpr_kernarg_preload_offset 0
		.amdhsa_user_sgpr_private_segment_size 0
		.amdhsa_uses_dynamic_stack 0
		.amdhsa_enable_private_segment 0
		.amdhsa_system_sgpr_workgroup_id_x 1
		.amdhsa_system_sgpr_workgroup_id_y 0
		.amdhsa_system_sgpr_workgroup_id_z 0
		.amdhsa_system_sgpr_workgroup_info 0
		.amdhsa_system_vgpr_workitem_id 0
		.amdhsa_next_free_vgpr 60
		.amdhsa_next_free_sgpr 18
		.amdhsa_accum_offset 60
		.amdhsa_reserve_vcc 1
		.amdhsa_float_round_mode_32 0
		.amdhsa_float_round_mode_16_64 0
		.amdhsa_float_denorm_mode_32 3
		.amdhsa_float_denorm_mode_16_64 3
		.amdhsa_dx10_clamp 1
		.amdhsa_ieee_mode 1
		.amdhsa_fp16_overflow 0
		.amdhsa_tg_split 0
		.amdhsa_exception_fp_ieee_invalid_op 0
		.amdhsa_exception_fp_denorm_src 0
		.amdhsa_exception_fp_ieee_div_zero 0
		.amdhsa_exception_fp_ieee_overflow 0
		.amdhsa_exception_fp_ieee_underflow 0
		.amdhsa_exception_fp_ieee_inexact 0
		.amdhsa_exception_int_div_zero 0
	.end_amdhsa_kernel
	.section	.text._ZN9rocsparseL18bsrxmvn_3x3_kernelILj256ELj32E21rocsparse_complex_numIfEliS2_S2_S2_EEvT3_20rocsparse_direction_NS_24const_host_device_scalarIT1_EES3_PKS3_PKT2_SC_S9_PKT4_PKT5_S7_PT6_21rocsparse_index_base_b,"axG",@progbits,_ZN9rocsparseL18bsrxmvn_3x3_kernelILj256ELj32E21rocsparse_complex_numIfEliS2_S2_S2_EEvT3_20rocsparse_direction_NS_24const_host_device_scalarIT1_EES3_PKS3_PKT2_SC_S9_PKT4_PKT5_S7_PT6_21rocsparse_index_base_b,comdat
.Lfunc_end33:
	.size	_ZN9rocsparseL18bsrxmvn_3x3_kernelILj256ELj32E21rocsparse_complex_numIfEliS2_S2_S2_EEvT3_20rocsparse_direction_NS_24const_host_device_scalarIT1_EES3_PKS3_PKT2_SC_S9_PKT4_PKT5_S7_PT6_21rocsparse_index_base_b, .Lfunc_end33-_ZN9rocsparseL18bsrxmvn_3x3_kernelILj256ELj32E21rocsparse_complex_numIfEliS2_S2_S2_EEvT3_20rocsparse_direction_NS_24const_host_device_scalarIT1_EES3_PKS3_PKT2_SC_S9_PKT4_PKT5_S7_PT6_21rocsparse_index_base_b
                                        ; -- End function
	.section	.AMDGPU.csdata,"",@progbits
; Kernel info:
; codeLenInByte = 2212
; NumSgprs: 24
; NumVgprs: 60
; NumAgprs: 0
; TotalNumVgprs: 60
; ScratchSize: 0
; MemoryBound: 0
; FloatMode: 240
; IeeeMode: 1
; LDSByteSize: 0 bytes/workgroup (compile time only)
; SGPRBlocks: 2
; VGPRBlocks: 7
; NumSGPRsForWavesPerEU: 24
; NumVGPRsForWavesPerEU: 60
; AccumOffset: 60
; Occupancy: 8
; WaveLimiterHint : 1
; COMPUTE_PGM_RSRC2:SCRATCH_EN: 0
; COMPUTE_PGM_RSRC2:USER_SGPR: 2
; COMPUTE_PGM_RSRC2:TRAP_HANDLER: 0
; COMPUTE_PGM_RSRC2:TGID_X_EN: 1
; COMPUTE_PGM_RSRC2:TGID_Y_EN: 0
; COMPUTE_PGM_RSRC2:TGID_Z_EN: 0
; COMPUTE_PGM_RSRC2:TIDIG_COMP_CNT: 0
; COMPUTE_PGM_RSRC3_GFX90A:ACCUM_OFFSET: 14
; COMPUTE_PGM_RSRC3_GFX90A:TG_SPLIT: 0
	.section	.text._ZN9rocsparseL18bsrxmvn_3x3_kernelILj256ELj64E21rocsparse_complex_numIfEliS2_S2_S2_EEvT3_20rocsparse_direction_NS_24const_host_device_scalarIT1_EES3_PKS3_PKT2_SC_S9_PKT4_PKT5_S7_PT6_21rocsparse_index_base_b,"axG",@progbits,_ZN9rocsparseL18bsrxmvn_3x3_kernelILj256ELj64E21rocsparse_complex_numIfEliS2_S2_S2_EEvT3_20rocsparse_direction_NS_24const_host_device_scalarIT1_EES3_PKS3_PKT2_SC_S9_PKT4_PKT5_S7_PT6_21rocsparse_index_base_b,comdat
	.globl	_ZN9rocsparseL18bsrxmvn_3x3_kernelILj256ELj64E21rocsparse_complex_numIfEliS2_S2_S2_EEvT3_20rocsparse_direction_NS_24const_host_device_scalarIT1_EES3_PKS3_PKT2_SC_S9_PKT4_PKT5_S7_PT6_21rocsparse_index_base_b ; -- Begin function _ZN9rocsparseL18bsrxmvn_3x3_kernelILj256ELj64E21rocsparse_complex_numIfEliS2_S2_S2_EEvT3_20rocsparse_direction_NS_24const_host_device_scalarIT1_EES3_PKS3_PKT2_SC_S9_PKT4_PKT5_S7_PT6_21rocsparse_index_base_b
	.p2align	8
	.type	_ZN9rocsparseL18bsrxmvn_3x3_kernelILj256ELj64E21rocsparse_complex_numIfEliS2_S2_S2_EEvT3_20rocsparse_direction_NS_24const_host_device_scalarIT1_EES3_PKS3_PKT2_SC_S9_PKT4_PKT5_S7_PT6_21rocsparse_index_base_b,@function
_ZN9rocsparseL18bsrxmvn_3x3_kernelILj256ELj64E21rocsparse_complex_numIfEliS2_S2_S2_EEvT3_20rocsparse_direction_NS_24const_host_device_scalarIT1_EES3_PKS3_PKT2_SC_S9_PKT4_PKT5_S7_PT6_21rocsparse_index_base_b: ; @_ZN9rocsparseL18bsrxmvn_3x3_kernelILj256ELj64E21rocsparse_complex_numIfEliS2_S2_S2_EEvT3_20rocsparse_direction_NS_24const_host_device_scalarIT1_EES3_PKS3_PKT2_SC_S9_PKT4_PKT5_S7_PT6_21rocsparse_index_base_b
; %bb.0:
	s_load_dwordx2 s[12:13], s[0:1], 0x58
	s_load_dwordx2 s[8:9], s[0:1], 0x8
	;; [unrolled: 1-line block ×3, first 2 shown]
	s_waitcnt lgkmcnt(0)
	s_bitcmp1_b32 s13, 0
	s_cselect_b64 s[4:5], -1, 0
	s_xor_b64 s[10:11], s[4:5], -1
	s_and_b64 vcc, exec, s[4:5]
	v_mov_b32_e32 v2, s8
	s_cbranch_vccnz .LBB34_2
; %bb.1:
	v_mov_b64_e32 v[2:3], s[8:9]
	flat_load_dword v2, v[2:3]
.LBB34_2:
	v_cndmask_b32_e64 v1, 0, 1, s[10:11]
	v_cmp_ne_u32_e64 s[4:5], 1, v1
	s_andn2_b64 vcc, exec, s[10:11]
	v_mov_b32_e32 v3, s9
	s_cbranch_vccz .LBB34_15
; %bb.3:
	s_and_b64 vcc, exec, s[4:5]
	v_mov_b32_e32 v4, s6
	s_cbranch_vccz .LBB34_16
.LBB34_4:
	s_and_b64 vcc, exec, s[4:5]
	v_mov_b32_e32 v5, s7
	s_cbranch_vccnz .LBB34_6
.LBB34_5:
	v_mov_b64_e32 v[6:7], s[6:7]
	flat_load_dword v5, v[6:7] offset:4
.LBB34_6:
	s_waitcnt vmcnt(0) lgkmcnt(0)
	v_and_b32_e32 v1, 0x7fffffff, v2
	v_cmp_eq_u32_e32 vcc, 0, v1
	v_cmp_eq_f32_e64 s[4:5], 0, v3
	s_and_b64 s[8:9], vcc, s[4:5]
	s_mov_b64 s[4:5], -1
	s_and_saveexec_b64 s[6:7], s[8:9]
; %bb.7:
	v_and_b32_e32 v1, 0x7fffffff, v5
	v_cmp_neq_f32_e32 vcc, 1.0, v4
	v_cmp_ne_u32_e64 s[4:5], 0, v1
	s_or_b64 s[4:5], vcc, s[4:5]
	s_orn2_b64 s[4:5], s[4:5], exec
; %bb.8:
	s_or_b64 exec, exec, s[6:7]
	s_and_saveexec_b64 s[6:7], s[4:5]
	s_cbranch_execz .LBB34_14
; %bb.9:
	s_load_dwordx2 s[4:5], s[0:1], 0x18
	s_load_dwordx2 s[14:15], s[0:1], 0x0
	v_lshrrev_b32_e32 v1, 6, v0
	v_lshl_or_b32 v6, s2, 2, v1
	s_mov_b64 s[2:3], 0
	s_waitcnt lgkmcnt(0)
	s_cmp_lg_u64 s[4:5], 0
	s_cbranch_scc0 .LBB34_17
; %bb.10:
	s_load_dword s6, s[0:1], 0x10
                                        ; implicit-def: $vgpr1
	s_waitcnt lgkmcnt(0)
	v_cmp_gt_i32_e32 vcc, s6, v6
	s_and_saveexec_b64 s[6:7], vcc
	s_xor_b64 s[6:7], exec, s[6:7]
	s_cbranch_execz .LBB34_12
; %bb.11:
	v_ashrrev_i32_e32 v7, 31, v6
	v_lshl_add_u64 v[8:9], v[6:7], 2, s[4:5]
	global_load_dword v1, v[8:9], off
	s_mov_b64 s[2:3], exec
	s_waitcnt vmcnt(0)
	v_subrev_u32_e32 v1, s12, v1
.LBB34_12:
	s_or_b64 exec, exec, s[6:7]
	s_branch .LBB34_18
.LBB34_13:
	v_cmp_gt_i32_e32 vcc, s14, v6
	s_andn2_b64 s[2:3], s[2:3], exec
	s_and_b64 s[4:5], vcc, exec
	s_or_b64 s[2:3], s[2:3], s[4:5]
	s_and_b64 exec, exec, s[2:3]
	s_cbranch_execnz .LBB34_19
.LBB34_14:
	s_endpgm
.LBB34_15:
	v_mov_b64_e32 v[4:5], s[8:9]
	flat_load_dword v3, v[4:5] offset:4
	s_and_b64 vcc, exec, s[4:5]
	v_mov_b32_e32 v4, s6
	s_cbranch_vccnz .LBB34_4
.LBB34_16:
	v_mov_b64_e32 v[4:5], s[6:7]
	flat_load_dword v4, v[4:5]
	s_and_b64 vcc, exec, s[4:5]
	v_mov_b32_e32 v5, s7
	s_cbranch_vccz .LBB34_5
	s_branch .LBB34_6
.LBB34_17:
                                        ; implicit-def: $vgpr1
	s_cbranch_execnz .LBB34_13
.LBB34_18:
	v_mov_b32_e32 v6, v1
	s_and_b64 exec, exec, s[2:3]
	s_cbranch_execz .LBB34_14
.LBB34_19:
	s_load_dwordx8 s[4:11], s[0:1], 0x20
	v_ashrrev_i32_e32 v7, 31, v6
	v_lshlrev_b64 v[8:9], 3, v[6:7]
	v_mov_b32_e32 v19, 0
	v_and_b32_e32 v0, 63, v0
	s_waitcnt lgkmcnt(0)
	v_lshl_add_u64 v[10:11], s[4:5], 0, v[8:9]
	global_load_dwordx2 v[12:13], v[10:11], off
	s_cmp_eq_u64 s[6:7], 0
	v_lshl_add_u64 v[8:9], s[6:7], 0, v[8:9]
	v_lshl_add_u64 v[10:11], v[10:11], 0, 8
	s_cselect_b64 vcc, -1, 0
	v_cndmask_b32_e32 v9, v9, v11, vcc
	v_cndmask_b32_e32 v8, v8, v10, vcc
	global_load_dwordx2 v[8:9], v[8:9], off
	v_mov_b32_e32 v1, v19
	s_load_dwordx2 s[4:5], s[0:1], 0x40
	s_movk_i32 s6, 0x48
	v_mov_b64_e32 v[10:11], s[10:11]
	s_cmp_eq_u32 s15, 1
	s_waitcnt vmcnt(1)
	v_subrev_co_u32_e32 v12, vcc, s12, v12
	s_nop 1
	v_subbrev_co_u32_e32 v13, vcc, 0, v13, vcc
	v_lshl_add_u64 v[12:13], v[12:13], 0, v[0:1]
	v_mad_u64_u32 v[16:17], s[2:3], v12, s6, v[10:11]
	s_waitcnt vmcnt(0)
	v_subrev_co_u32_e32 v14, vcc, s12, v8
	v_mov_b32_e32 v8, v17
	s_nop 0
	v_subbrev_co_u32_e32 v15, vcc, 0, v9, vcc
	v_mad_u64_u32 v[8:9], s[2:3], v13, s6, v[8:9]
	v_mov_b32_e32 v17, v8
	v_cmp_lt_i64_e64 s[2:3], v[12:13], v[14:15]
	s_cbranch_scc1 .LBB34_25
; %bb.20:
	v_mov_b32_e32 v18, 0
	v_mov_b32_e32 v9, 0
	;; [unrolled: 1-line block ×5, first 2 shown]
	s_and_saveexec_b64 s[6:7], s[2:3]
	s_cbranch_execz .LBB34_24
; %bb.21:
	v_mov_b32_e32 v10, 0
	v_lshl_add_u64 v[20:21], v[12:13], 2, s[8:9]
	s_mov_b64 s[10:11], 0
	s_mov_b64 s[14:15], 0x100
	s_mov_b64 s[16:17], 0x1200
	v_mov_b64_e32 v[22:23], v[12:13]
	v_mov_b64_e32 v[24:25], v[16:17]
	v_mov_b32_e32 v11, v10
	v_mov_b32_e32 v8, v10
	;; [unrolled: 1-line block ×5, first 2 shown]
.LBB34_22:                              ; =>This Inner Loop Header: Depth=1
	global_load_dword v1, v[20:21], off
	global_load_dwordx4 v[26:29], v[24:25], off offset:48
	global_load_dwordx4 v[30:33], v[24:25], off offset:16
	global_load_dwordx4 v[34:37], v[24:25], off
	v_lshl_add_u64 v[22:23], v[22:23], 0, 64
	v_cmp_ge_i64_e32 vcc, v[22:23], v[14:15]
	v_lshl_add_u64 v[20:21], v[20:21], 0, s[14:15]
	s_or_b64 s[10:11], vcc, s[10:11]
	s_waitcnt vmcnt(3)
	v_subrev_u32_e32 v1, s12, v1
	v_lshl_add_u32 v38, v1, 1, v1
	v_ashrrev_i32_e32 v39, 31, v38
	s_waitcnt lgkmcnt(0)
	v_lshl_add_u64 v[46:47], v[38:39], 3, s[4:5]
	global_load_dwordx2 v[48:49], v[46:47], off offset:16
	global_load_dwordx4 v[38:41], v[46:47], off
	global_load_dwordx4 v[42:45], v[24:25], off offset:32
	global_load_dwordx2 v[50:51], v[24:25], off offset:64
	s_waitcnt vmcnt(5)
	v_xor_b32_e32 v52, 0x80000000, v33
	v_mov_b32_e32 v53, v32
	s_waitcnt vmcnt(4)
	v_xor_b32_e32 v46, 0x80000000, v37
	v_mov_b32_e32 v47, v36
	v_xor_b32_e32 v56, 0x80000000, v29
	v_mov_b32_e32 v57, v28
	v_lshl_add_u64 v[24:25], v[24:25], 0, s[16:17]
	s_waitcnt vmcnt(2)
	v_pk_fma_f32 v[18:19], v[34:35], v[38:39], v[18:19] op_sel_hi:[1,0,1]
	v_pk_fma_f32 v[10:11], v[32:33], v[38:39], v[10:11] op_sel_hi:[1,0,1]
	;; [unrolled: 1-line block ×3, first 2 shown]
	v_pk_fma_f32 v[18:19], v[34:35], v[38:39], v[18:19] op_sel:[1,1,0] op_sel_hi:[0,1,1] neg_lo:[1,0,0]
	v_pk_fma_f32 v[10:11], v[52:53], v[38:39], v[10:11] op_sel:[0,1,0]
	v_pk_fma_f32 v[8:9], v[26:27], v[38:39], v[8:9] op_sel:[1,1,0] op_sel_hi:[0,1,1] neg_lo:[1,0,0]
	v_mov_b32_e32 v58, v41
	v_pk_fma_f32 v[18:19], v[36:37], v[40:41], v[18:19] op_sel_hi:[1,0,1]
	s_waitcnt vmcnt(1)
	v_pk_fma_f32 v[10:11], v[42:43], v[40:41], v[10:11] op_sel_hi:[1,0,1]
	v_pk_fma_f32 v[8:9], v[28:29], v[40:41], v[8:9] op_sel_hi:[1,0,1]
	;; [unrolled: 1-line block ×3, first 2 shown]
	v_pk_fma_f32 v[10:11], v[42:43], v[58:59], v[10:11] op_sel:[1,0,0] op_sel_hi:[0,0,1] neg_lo:[1,0,0]
	v_pk_fma_f32 v[8:9], v[56:57], v[58:59], v[8:9] op_sel_hi:[1,0,1]
	v_xor_b32_e32 v54, 0x80000000, v45
	v_mov_b32_e32 v55, v44
	v_pk_fma_f32 v[18:19], v[30:31], v[48:49], v[18:19] op_sel_hi:[1,0,1]
	v_pk_fma_f32 v[10:11], v[44:45], v[48:49], v[10:11] op_sel_hi:[1,0,1]
	s_waitcnt vmcnt(0)
	v_pk_fma_f32 v[8:9], v[50:51], v[48:49], v[8:9] op_sel_hi:[1,0,1]
	v_pk_fma_f32 v[18:19], v[30:31], v[48:49], v[18:19] op_sel:[1,1,0] op_sel_hi:[0,1,1] neg_lo:[1,0,0]
	v_pk_fma_f32 v[10:11], v[54:55], v[48:49], v[10:11] op_sel:[0,1,0]
	v_pk_fma_f32 v[8:9], v[50:51], v[48:49], v[8:9] op_sel:[1,1,0] op_sel_hi:[0,1,1] neg_lo:[1,0,0]
	s_andn2_b64 exec, exec, s[10:11]
	s_cbranch_execnz .LBB34_22
; %bb.23:
	s_or_b64 exec, exec, s[10:11]
.LBB34_24:
	s_or_b64 exec, exec, s[6:7]
	s_cbranch_execz .LBB34_26
	s_branch .LBB34_31
.LBB34_25:
                                        ; implicit-def: $vgpr19
                                        ; implicit-def: $vgpr9
                                        ; implicit-def: $vgpr11
.LBB34_26:
	v_mov_b32_e32 v19, 0
	v_mov_b32_e32 v18, v19
	;; [unrolled: 1-line block ×6, first 2 shown]
	s_and_saveexec_b64 s[6:7], s[2:3]
	s_cbranch_execz .LBB34_30
; %bb.27:
	v_mov_b32_e32 v10, 0
	v_lshl_add_u64 v[20:21], v[12:13], 2, s[8:9]
	s_mov_b64 s[2:3], 0
	s_mov_b64 s[8:9], 0x100
	;; [unrolled: 1-line block ×3, first 2 shown]
	v_mov_b32_e32 v11, v10
	v_mov_b32_e32 v8, v10
	;; [unrolled: 1-line block ×5, first 2 shown]
.LBB34_28:                              ; =>This Inner Loop Header: Depth=1
	global_load_dword v1, v[20:21], off
	global_load_dwordx4 v[22:25], v[16:17], off offset:48
	global_load_dwordx4 v[26:29], v[16:17], off offset:16
	global_load_dwordx4 v[30:33], v[16:17], off
	v_lshl_add_u64 v[12:13], v[12:13], 0, 64
	v_cmp_ge_i64_e32 vcc, v[12:13], v[14:15]
	v_lshl_add_u64 v[20:21], v[20:21], 0, s[8:9]
	s_or_b64 s[2:3], vcc, s[2:3]
	s_waitcnt vmcnt(3)
	v_subrev_u32_e32 v1, s12, v1
	v_lshl_add_u32 v34, v1, 1, v1
	v_ashrrev_i32_e32 v35, 31, v34
	s_waitcnt lgkmcnt(0)
	v_lshl_add_u64 v[42:43], v[34:35], 3, s[4:5]
	global_load_dwordx2 v[44:45], v[42:43], off offset:16
	global_load_dwordx4 v[34:37], v[42:43], off
	global_load_dwordx4 v[38:41], v[16:17], off offset:32
	global_load_dwordx2 v[46:47], v[16:17], off offset:64
	s_waitcnt vmcnt(4)
	v_xor_b32_e32 v48, 0x80000000, v33
	v_mov_b32_e32 v49, v32
	v_xor_b32_e32 v42, 0x80000000, v29
	v_mov_b32_e32 v43, v28
	;; [unrolled: 2-line block ×3, first 2 shown]
	v_lshl_add_u64 v[16:17], v[16:17], 0, s[10:11]
	s_waitcnt vmcnt(2)
	v_pk_fma_f32 v[18:19], v[30:31], v[34:35], v[18:19] op_sel_hi:[1,0,1]
	v_pk_fma_f32 v[10:11], v[32:33], v[34:35], v[10:11] op_sel_hi:[1,0,1]
	;; [unrolled: 1-line block ×3, first 2 shown]
	v_pk_fma_f32 v[18:19], v[30:31], v[34:35], v[18:19] op_sel:[1,1,0] op_sel_hi:[0,1,1] neg_lo:[1,0,0]
	v_pk_fma_f32 v[10:11], v[48:49], v[34:35], v[10:11] op_sel:[0,1,0]
	v_pk_fma_f32 v[8:9], v[26:27], v[34:35], v[8:9] op_sel:[1,1,0] op_sel_hi:[0,1,1] neg_lo:[1,0,0]
	s_waitcnt vmcnt(1)
	v_xor_b32_e32 v52, 0x80000000, v41
	v_mov_b32_e32 v53, v40
	v_mov_b32_e32 v54, v37
	v_pk_fma_f32 v[18:19], v[28:29], v[36:37], v[18:19] op_sel_hi:[1,0,1]
	v_pk_fma_f32 v[10:11], v[38:39], v[36:37], v[10:11] op_sel_hi:[1,0,1]
	;; [unrolled: 1-line block ×4, first 2 shown]
	v_pk_fma_f32 v[10:11], v[38:39], v[54:55], v[10:11] op_sel:[1,0,0] op_sel_hi:[0,0,1] neg_lo:[1,0,0]
	v_pk_fma_f32 v[8:9], v[52:53], v[54:55], v[8:9] op_sel_hi:[1,0,1]
	v_pk_fma_f32 v[18:19], v[22:23], v[44:45], v[18:19] op_sel_hi:[1,0,1]
	;; [unrolled: 1-line block ×3, first 2 shown]
	s_waitcnt vmcnt(0)
	v_pk_fma_f32 v[8:9], v[46:47], v[44:45], v[8:9] op_sel_hi:[1,0,1]
	v_pk_fma_f32 v[18:19], v[22:23], v[44:45], v[18:19] op_sel:[1,1,0] op_sel_hi:[0,1,1] neg_lo:[1,0,0]
	v_pk_fma_f32 v[10:11], v[50:51], v[44:45], v[10:11] op_sel:[0,1,0]
	v_pk_fma_f32 v[8:9], v[46:47], v[44:45], v[8:9] op_sel:[1,1,0] op_sel_hi:[0,1,1] neg_lo:[1,0,0]
	s_andn2_b64 exec, exec, s[2:3]
	s_cbranch_execnz .LBB34_28
; %bb.29:
	s_or_b64 exec, exec, s[2:3]
.LBB34_30:
	s_or_b64 exec, exec, s[6:7]
.LBB34_31:
	v_mov_b32_dpp v12, v19 row_shr:1 row_mask:0xf bank_mask:0xf
	v_add_f32_e32 v12, v19, v12
	v_mov_b32_dpp v1, v18 row_shr:1 row_mask:0xf bank_mask:0xf
	v_add_f32_e32 v1, v18, v1
	;; [unrolled: 2-line block ×8, first 2 shown]
	v_mov_b32_dpp v13, v12 row_bcast:15 row_mask:0xa bank_mask:0xf
	v_add_f32_e32 v13, v12, v13
	v_mov_b32_dpp v12, v10 row_shr:1 row_mask:0xf bank_mask:0xf
	v_add_f32_e32 v10, v10, v12
	v_mov_b32_dpp v7, v1 row_bcast:15 row_mask:0xa bank_mask:0xf
	v_add_f32_e32 v1, v1, v7
	v_mov_b32_dpp v12, v10 row_shr:2 row_mask:0xf bank_mask:0xf
	v_add_f32_e32 v10, v10, v12
	v_mov_b32_dpp v7, v1 row_bcast:31 row_mask:0xc bank_mask:0xf
	v_mov_b32_dpp v14, v13 row_bcast:31 row_mask:0xc bank_mask:0xf
	v_mov_b32_dpp v12, v10 row_shr:4 row_mask:0xf bank_mask:0xe
	v_add_f32_e32 v10, v10, v12
	v_cmp_eq_u32_e32 vcc, 63, v0
	s_nop 0
	v_mov_b32_dpp v12, v10 row_shr:8 row_mask:0xf bank_mask:0xc
	v_add_f32_e32 v10, v10, v12
	s_nop 1
	v_mov_b32_dpp v12, v10 row_bcast:15 row_mask:0xa bank_mask:0xf
	v_add_f32_e32 v10, v10, v12
	s_nop 0
	v_mov_b32_dpp v12, v11 row_shr:1 row_mask:0xf bank_mask:0xf
	v_add_f32_e32 v11, v11, v12
	v_mov_b32_dpp v15, v10 row_bcast:31 row_mask:0xc bank_mask:0xf
	s_nop 0
	v_mov_b32_dpp v12, v11 row_shr:2 row_mask:0xf bank_mask:0xf
	v_add_f32_e32 v11, v11, v12
	s_nop 1
	v_mov_b32_dpp v12, v11 row_shr:4 row_mask:0xf bank_mask:0xe
	v_add_f32_e32 v11, v11, v12
	s_nop 1
	v_mov_b32_dpp v12, v11 row_shr:8 row_mask:0xf bank_mask:0xc
	v_add_f32_e32 v11, v11, v12
	s_nop 1
	v_mov_b32_dpp v12, v11 row_bcast:15 row_mask:0xa bank_mask:0xf
	v_add_f32_e32 v11, v11, v12
	s_nop 0
	v_mov_b32_dpp v12, v8 row_shr:1 row_mask:0xf bank_mask:0xf
	v_add_f32_e32 v8, v8, v12
	v_mov_b32_dpp v17, v11 row_bcast:31 row_mask:0xc bank_mask:0xf
	s_nop 0
	v_mov_b32_dpp v12, v8 row_shr:2 row_mask:0xf bank_mask:0xf
	v_add_f32_e32 v8, v8, v12
	s_nop 1
	v_mov_b32_dpp v12, v8 row_shr:4 row_mask:0xf bank_mask:0xe
	v_add_f32_e32 v8, v8, v12
	;; [unrolled: 16-line block ×3, first 2 shown]
	s_nop 1
	v_mov_b32_dpp v12, v9 row_shr:8 row_mask:0xf bank_mask:0xc
	v_add_f32_e32 v9, v9, v12
	s_nop 1
	v_mov_b32_dpp v12, v9 row_bcast:15 row_mask:0xa bank_mask:0xf
	v_add_f32_e32 v9, v9, v12
	s_nop 1
	v_mov_b32_dpp v19, v9 row_bcast:31 row_mask:0xc bank_mask:0xf
	s_and_b64 exec, exec, vcc
	s_cbranch_execz .LBB34_14
; %bb.32:
	s_load_dwordx2 s[2:3], s[0:1], 0x50
	v_add_f32_e32 v12, v1, v7
	v_and_b32_e32 v1, 0x7fffffff, v4
	v_cmp_eq_u32_e32 vcc, 0, v1
	v_cmp_eq_f32_e64 s[0:1], 0, v5
	v_lshl_add_u32 v6, v6, 1, v6
	v_add_f32_e32 v16, v13, v14
	v_add_f32_e32 v10, v10, v15
	;; [unrolled: 1-line block ×5, first 2 shown]
	s_and_b64 s[0:1], vcc, s[0:1]
	v_ashrrev_i32_e32 v7, 31, v6
	s_waitcnt lgkmcnt(0)
	s_and_saveexec_b64 s[4:5], s[0:1]
	s_xor_b64 s[0:1], exec, s[4:5]
	s_cbranch_execz .LBB34_34
; %bb.33:
	v_xor_b32_e32 v18, 0x80000000, v3
	v_mov_b32_e32 v19, v2
	v_lshl_add_u64 v[20:21], v[6:7], 3, s[2:3]
	v_pk_mul_f32 v[4:5], v[16:17], v[18:19] op_sel_hi:[0,1]
	v_pk_mul_f32 v[6:7], v[14:15], v[18:19] op_sel_hi:[0,1]
	v_pk_fma_f32 v[4:5], v[2:3], v[12:13], v[4:5] op_sel_hi:[1,0,1]
	v_pk_fma_f32 v[6:7], v[2:3], v[10:11], v[6:7] op_sel_hi:[1,0,1]
	global_store_dwordx4 v[20:21], v[4:7], off
                                        ; implicit-def: $vgpr12
                                        ; implicit-def: $vgpr16
                                        ; implicit-def: $vgpr10
                                        ; implicit-def: $vgpr14
                                        ; implicit-def: $vgpr6
	s_nop 1
	v_pk_mul_f32 v[4:5], v[8:9], v[18:19] op_sel_hi:[0,1]
	v_pk_fma_f32 v[0:1], v[2:3], v[0:1], v[4:5] op_sel_hi:[1,0,1]
	global_store_dwordx2 v[20:21], v[0:1], off offset:16
                                        ; implicit-def: $vgpr3
                                        ; implicit-def: $vgpr4
                                        ; implicit-def: $vgpr0
                                        ; implicit-def: $vgpr8
.LBB34_34:
	s_andn2_saveexec_b64 s[0:1], s[0:1]
	s_cbranch_execz .LBB34_14
; %bb.35:
	v_lshl_add_u64 v[6:7], v[6:7], 3, s[2:3]
	global_load_dwordx4 v[18:21], v[6:7], off
	global_load_dwordx2 v[22:23], v[6:7], off offset:16
	v_xor_b32_e32 v24, 0x80000000, v3
	v_mov_b32_e32 v25, v2
	v_pk_mul_f32 v[16:17], v[16:17], v[24:25] op_sel_hi:[0,1]
	v_pk_mul_f32 v[14:15], v[14:15], v[24:25] op_sel_hi:[0,1]
	;; [unrolled: 1-line block ×3, first 2 shown]
	v_pk_fma_f32 v[12:13], v[2:3], v[12:13], v[16:17] op_sel_hi:[1,0,1]
	v_pk_fma_f32 v[10:11], v[2:3], v[10:11], v[14:15] op_sel_hi:[1,0,1]
	v_xor_b32_e32 v26, 0x80000000, v5
	v_mov_b32_e32 v27, v4
	v_pk_fma_f32 v[0:1], v[2:3], v[0:1], v[8:9] op_sel_hi:[1,0,1]
	s_waitcnt vmcnt(1)
	v_pk_fma_f32 v[2:3], v[4:5], v[18:19], v[12:13] op_sel_hi:[1,0,1]
	v_pk_fma_f32 v[8:9], v[4:5], v[20:21], v[10:11] op_sel_hi:[1,0,1]
	v_mov_b32_e32 v10, v21
	s_waitcnt vmcnt(0)
	v_pk_fma_f32 v[4:5], v[4:5], v[22:23], v[0:1] op_sel_hi:[1,0,1]
	v_pk_fma_f32 v[0:1], v[26:27], v[18:19], v[2:3] op_sel:[0,1,0]
	v_pk_fma_f32 v[2:3], v[26:27], v[10:11], v[8:9] op_sel_hi:[1,0,1]
	v_pk_fma_f32 v[4:5], v[26:27], v[22:23], v[4:5] op_sel:[0,1,0]
	global_store_dwordx4 v[6:7], v[0:3], off
	global_store_dwordx2 v[6:7], v[4:5], off offset:16
	s_endpgm
	.section	.rodata,"a",@progbits
	.p2align	6, 0x0
	.amdhsa_kernel _ZN9rocsparseL18bsrxmvn_3x3_kernelILj256ELj64E21rocsparse_complex_numIfEliS2_S2_S2_EEvT3_20rocsparse_direction_NS_24const_host_device_scalarIT1_EES3_PKS3_PKT2_SC_S9_PKT4_PKT5_S7_PT6_21rocsparse_index_base_b
		.amdhsa_group_segment_fixed_size 0
		.amdhsa_private_segment_fixed_size 0
		.amdhsa_kernarg_size 96
		.amdhsa_user_sgpr_count 2
		.amdhsa_user_sgpr_dispatch_ptr 0
		.amdhsa_user_sgpr_queue_ptr 0
		.amdhsa_user_sgpr_kernarg_segment_ptr 1
		.amdhsa_user_sgpr_dispatch_id 0
		.amdhsa_user_sgpr_kernarg_preload_length 0
		.amdhsa_user_sgpr_kernarg_preload_offset 0
		.amdhsa_user_sgpr_private_segment_size 0
		.amdhsa_uses_dynamic_stack 0
		.amdhsa_enable_private_segment 0
		.amdhsa_system_sgpr_workgroup_id_x 1
		.amdhsa_system_sgpr_workgroup_id_y 0
		.amdhsa_system_sgpr_workgroup_id_z 0
		.amdhsa_system_sgpr_workgroup_info 0
		.amdhsa_system_vgpr_workitem_id 0
		.amdhsa_next_free_vgpr 60
		.amdhsa_next_free_sgpr 18
		.amdhsa_accum_offset 60
		.amdhsa_reserve_vcc 1
		.amdhsa_float_round_mode_32 0
		.amdhsa_float_round_mode_16_64 0
		.amdhsa_float_denorm_mode_32 3
		.amdhsa_float_denorm_mode_16_64 3
		.amdhsa_dx10_clamp 1
		.amdhsa_ieee_mode 1
		.amdhsa_fp16_overflow 0
		.amdhsa_tg_split 0
		.amdhsa_exception_fp_ieee_invalid_op 0
		.amdhsa_exception_fp_denorm_src 0
		.amdhsa_exception_fp_ieee_div_zero 0
		.amdhsa_exception_fp_ieee_overflow 0
		.amdhsa_exception_fp_ieee_underflow 0
		.amdhsa_exception_fp_ieee_inexact 0
		.amdhsa_exception_int_div_zero 0
	.end_amdhsa_kernel
	.section	.text._ZN9rocsparseL18bsrxmvn_3x3_kernelILj256ELj64E21rocsparse_complex_numIfEliS2_S2_S2_EEvT3_20rocsparse_direction_NS_24const_host_device_scalarIT1_EES3_PKS3_PKT2_SC_S9_PKT4_PKT5_S7_PT6_21rocsparse_index_base_b,"axG",@progbits,_ZN9rocsparseL18bsrxmvn_3x3_kernelILj256ELj64E21rocsparse_complex_numIfEliS2_S2_S2_EEvT3_20rocsparse_direction_NS_24const_host_device_scalarIT1_EES3_PKS3_PKT2_SC_S9_PKT4_PKT5_S7_PT6_21rocsparse_index_base_b,comdat
.Lfunc_end34:
	.size	_ZN9rocsparseL18bsrxmvn_3x3_kernelILj256ELj64E21rocsparse_complex_numIfEliS2_S2_S2_EEvT3_20rocsparse_direction_NS_24const_host_device_scalarIT1_EES3_PKS3_PKT2_SC_S9_PKT4_PKT5_S7_PT6_21rocsparse_index_base_b, .Lfunc_end34-_ZN9rocsparseL18bsrxmvn_3x3_kernelILj256ELj64E21rocsparse_complex_numIfEliS2_S2_S2_EEvT3_20rocsparse_direction_NS_24const_host_device_scalarIT1_EES3_PKS3_PKT2_SC_S9_PKT4_PKT5_S7_PT6_21rocsparse_index_base_b
                                        ; -- End function
	.section	.AMDGPU.csdata,"",@progbits
; Kernel info:
; codeLenInByte = 2344
; NumSgprs: 24
; NumVgprs: 60
; NumAgprs: 0
; TotalNumVgprs: 60
; ScratchSize: 0
; MemoryBound: 0
; FloatMode: 240
; IeeeMode: 1
; LDSByteSize: 0 bytes/workgroup (compile time only)
; SGPRBlocks: 2
; VGPRBlocks: 7
; NumSGPRsForWavesPerEU: 24
; NumVGPRsForWavesPerEU: 60
; AccumOffset: 60
; Occupancy: 8
; WaveLimiterHint : 1
; COMPUTE_PGM_RSRC2:SCRATCH_EN: 0
; COMPUTE_PGM_RSRC2:USER_SGPR: 2
; COMPUTE_PGM_RSRC2:TRAP_HANDLER: 0
; COMPUTE_PGM_RSRC2:TGID_X_EN: 1
; COMPUTE_PGM_RSRC2:TGID_Y_EN: 0
; COMPUTE_PGM_RSRC2:TGID_Z_EN: 0
; COMPUTE_PGM_RSRC2:TIDIG_COMP_CNT: 0
; COMPUTE_PGM_RSRC3_GFX90A:ACCUM_OFFSET: 14
; COMPUTE_PGM_RSRC3_GFX90A:TG_SPLIT: 0
	.section	.text._ZN9rocsparseL18bsrxmvn_3x3_kernelILj256ELj4E21rocsparse_complex_numIdEliS2_S2_S2_EEvT3_20rocsparse_direction_NS_24const_host_device_scalarIT1_EES3_PKS3_PKT2_SC_S9_PKT4_PKT5_S7_PT6_21rocsparse_index_base_b,"axG",@progbits,_ZN9rocsparseL18bsrxmvn_3x3_kernelILj256ELj4E21rocsparse_complex_numIdEliS2_S2_S2_EEvT3_20rocsparse_direction_NS_24const_host_device_scalarIT1_EES3_PKS3_PKT2_SC_S9_PKT4_PKT5_S7_PT6_21rocsparse_index_base_b,comdat
	.globl	_ZN9rocsparseL18bsrxmvn_3x3_kernelILj256ELj4E21rocsparse_complex_numIdEliS2_S2_S2_EEvT3_20rocsparse_direction_NS_24const_host_device_scalarIT1_EES3_PKS3_PKT2_SC_S9_PKT4_PKT5_S7_PT6_21rocsparse_index_base_b ; -- Begin function _ZN9rocsparseL18bsrxmvn_3x3_kernelILj256ELj4E21rocsparse_complex_numIdEliS2_S2_S2_EEvT3_20rocsparse_direction_NS_24const_host_device_scalarIT1_EES3_PKS3_PKT2_SC_S9_PKT4_PKT5_S7_PT6_21rocsparse_index_base_b
	.p2align	8
	.type	_ZN9rocsparseL18bsrxmvn_3x3_kernelILj256ELj4E21rocsparse_complex_numIdEliS2_S2_S2_EEvT3_20rocsparse_direction_NS_24const_host_device_scalarIT1_EES3_PKS3_PKT2_SC_S9_PKT4_PKT5_S7_PT6_21rocsparse_index_base_b,@function
_ZN9rocsparseL18bsrxmvn_3x3_kernelILj256ELj4E21rocsparse_complex_numIdEliS2_S2_S2_EEvT3_20rocsparse_direction_NS_24const_host_device_scalarIT1_EES3_PKS3_PKT2_SC_S9_PKT4_PKT5_S7_PT6_21rocsparse_index_base_b: ; @_ZN9rocsparseL18bsrxmvn_3x3_kernelILj256ELj4E21rocsparse_complex_numIdEliS2_S2_S2_EEvT3_20rocsparse_direction_NS_24const_host_device_scalarIT1_EES3_PKS3_PKT2_SC_S9_PKT4_PKT5_S7_PT6_21rocsparse_index_base_b
; %bb.0:
	s_load_dwordx2 s[16:17], s[2:3], 0x68
	s_load_dwordx4 s[8:11], s[2:3], 0x8
	s_load_dwordx2 s[18:19], s[0:1], 0x4
	s_load_dwordx4 s[12:15], s[2:3], 0x50
	s_mov_b64 s[6:7], src_shared_base
	v_and_b32_e32 v2, 0x3ff, v0
	s_waitcnt lgkmcnt(0)
	s_bitcmp1_b32 s17, 0
	s_cselect_b64 s[0:1], -1, 0
	s_and_b64 vcc, s[0:1], exec
	s_cselect_b32 s5, s7, s9
	s_lshr_b32 s6, s18, 16
	s_mul_i32 s6, s6, s19
	v_mul_lo_u32 v3, s6, v2
	v_bfe_u32 v4, v0, 10, 10
	v_mad_u32_u24 v3, v4, s19, v3
	v_bfe_u32 v0, v0, 20, 10
	v_add_lshl_u32 v0, v3, v0, 3
	v_mov_b32_e32 v1, s8
	v_add_u32_e32 v3, 0x800, v0
	v_mov_b64_e32 v[4:5], s[8:9]
	v_mov_b64_e32 v[6:7], s[12:13]
	ds_write2st64_b64 v0, v[6:7], v[4:5] offset1:4
	v_cndmask_b32_e64 v4, v1, v3, s[0:1]
	v_mov_b32_e32 v5, s5
	flat_load_dwordx2 v[16:17], v[4:5]
	s_xor_b64 s[18:19], s[0:1], -1
	v_mov_b64_e32 v[18:19], s[10:11]
	s_cbranch_vccnz .LBB35_2
; %bb.1:
	v_mov_b64_e32 v[4:5], s[8:9]
	flat_load_dwordx2 v[18:19], v[4:5] offset:8
.LBB35_2:
	s_and_b64 s[8:9], s[0:1], exec
	s_cselect_b32 s5, s7, s13
	v_mov_b32_e32 v1, s12
	v_cndmask_b32_e64 v0, v1, v0, s[0:1]
	v_mov_b32_e32 v1, s5
	flat_load_dwordx2 v[12:13], v[0:1]
	s_andn2_b64 vcc, exec, s[18:19]
	v_mov_b64_e32 v[14:15], s[14:15]
	s_cbranch_vccnz .LBB35_4
; %bb.3:
	v_mov_b64_e32 v[0:1], s[12:13]
	flat_load_dwordx2 v[14:15], v[0:1] offset:8
.LBB35_4:
	s_waitcnt vmcnt(0) lgkmcnt(0)
	v_cmp_eq_f64_e32 vcc, 0, v[16:17]
	v_cmp_eq_f64_e64 s[0:1], 0, v[18:19]
	s_and_b64 s[8:9], vcc, s[0:1]
	s_mov_b64 s[0:1], -1
	s_and_saveexec_b64 s[6:7], s[8:9]
; %bb.5:
	v_cmp_neq_f64_e32 vcc, 1.0, v[12:13]
	v_cmp_neq_f64_e64 s[0:1], 0, v[14:15]
	s_or_b64 s[0:1], vcc, s[0:1]
	s_orn2_b64 s[0:1], s[0:1], exec
; %bb.6:
	s_or_b64 exec, exec, s[6:7]
	s_and_saveexec_b64 s[6:7], s[0:1]
	s_cbranch_execz .LBB35_12
; %bb.7:
	s_load_dwordx2 s[6:7], s[2:3], 0x20
	s_load_dwordx2 s[0:1], s[2:3], 0x0
	v_lshrrev_b32_e32 v0, 2, v2
	v_lshl_or_b32 v0, s4, 6, v0
	s_mov_b64 s[4:5], 0
	s_waitcnt lgkmcnt(0)
	s_cmp_lg_u64 s[6:7], 0
	s_cbranch_scc0 .LBB35_13
; %bb.8:
	s_load_dword s8, s[2:3], 0x18
                                        ; implicit-def: $vgpr1
	s_waitcnt lgkmcnt(0)
	v_cmp_gt_i32_e32 vcc, s8, v0
	s_and_saveexec_b64 s[8:9], vcc
	s_xor_b64 s[8:9], exec, s[8:9]
	s_cbranch_execz .LBB35_10
; %bb.9:
	v_ashrrev_i32_e32 v1, 31, v0
	v_lshl_add_u64 v[4:5], v[0:1], 2, s[6:7]
	global_load_dword v1, v[4:5], off
	s_mov_b64 s[4:5], exec
	s_waitcnt vmcnt(0)
	v_subrev_u32_e32 v1, s16, v1
.LBB35_10:
	s_or_b64 exec, exec, s[8:9]
	s_branch .LBB35_14
.LBB35_11:
	v_cmp_gt_i32_e32 vcc, s0, v0
	s_andn2_b64 s[4:5], s[4:5], exec
	s_and_b64 s[6:7], vcc, exec
	s_or_b64 s[4:5], s[4:5], s[6:7]
	s_and_b64 exec, exec, s[4:5]
	s_cbranch_execnz .LBB35_15
.LBB35_12:
	s_endpgm
.LBB35_13:
                                        ; implicit-def: $vgpr1
	s_cbranch_execnz .LBB35_11
.LBB35_14:
	v_mov_b32_e32 v0, v1
	s_and_b64 exec, exec, s[4:5]
	s_cbranch_execz .LBB35_12
.LBB35_15:
	s_load_dwordx8 s[4:11], s[2:3], 0x28
	v_ashrrev_i32_e32 v1, 31, v0
	v_lshlrev_b64 v[4:5], 3, v[0:1]
	v_and_b32_e32 v2, 3, v2
	v_mov_b32_e32 v3, 0
	s_waitcnt lgkmcnt(0)
	v_lshl_add_u64 v[6:7], s[4:5], 0, v[4:5]
	global_load_dwordx2 v[8:9], v[6:7], off
	s_cmp_eq_u64 s[6:7], 0
	v_lshl_add_u64 v[4:5], s[6:7], 0, v[4:5]
	v_lshl_add_u64 v[6:7], v[6:7], 0, 8
	s_cselect_b64 vcc, -1, 0
	v_cndmask_b32_e32 v5, v5, v7, vcc
	v_cndmask_b32_e32 v4, v4, v6, vcc
	global_load_dwordx2 v[4:5], v[4:5], off
	s_load_dwordx2 s[4:5], s[2:3], 0x48
	s_movk_i32 s6, 0x90
	v_mov_b64_e32 v[6:7], s[10:11]
	s_cmp_eq_u32 s1, 1
	s_waitcnt vmcnt(1)
	v_subrev_co_u32_e32 v8, vcc, s16, v8
	s_nop 1
	v_subbrev_co_u32_e32 v9, vcc, 0, v9, vcc
	v_lshl_add_u64 v[8:9], v[8:9], 0, v[2:3]
	v_mad_u64_u32 v[20:21], s[0:1], v8, s6, v[6:7]
	s_waitcnt vmcnt(0)
	v_subrev_co_u32_e32 v10, vcc, s16, v4
	v_mov_b32_e32 v4, v21
	s_nop 0
	v_subbrev_co_u32_e32 v11, vcc, 0, v5, vcc
	v_mad_u64_u32 v[4:5], s[0:1], v9, s6, v[4:5]
	v_mov_b32_e32 v21, v4
	v_cmp_lt_i64_e64 s[0:1], v[8:9], v[10:11]
	s_cbranch_scc1 .LBB35_21
; %bb.16:
	v_mov_b64_e32 v[4:5], 0
	s_mov_b64 s[6:7], 0
	v_mov_b64_e32 v[26:27], v[4:5]
	v_mov_b64_e32 v[24:25], v[4:5]
	;; [unrolled: 1-line block ×5, first 2 shown]
	s_and_saveexec_b64 s[10:11], s[0:1]
	s_cbranch_execz .LBB35_20
; %bb.17:
	v_mov_b64_e32 v[4:5], 0
	v_lshl_add_u64 v[30:31], v[8:9], 2, s[8:9]
	s_mov_b64 s[12:13], 0
	s_mov_b64 s[14:15], 0x240
	v_mov_b64_e32 v[32:33], v[8:9]
	v_mov_b64_e32 v[34:35], v[20:21]
	;; [unrolled: 1-line block ×7, first 2 shown]
.LBB35_18:                              ; =>This Inner Loop Header: Depth=1
	global_load_dword v1, v[30:31], off
	global_load_dwordx4 v[36:39], v[34:35], off offset:48
	global_load_dwordx4 v[40:43], v[34:35], off offset:32
	;; [unrolled: 1-line block ×3, first 2 shown]
	global_load_dwordx4 v[48:51], v[34:35], off
	global_load_dwordx4 v[52:55], v[34:35], off offset:112
	global_load_dwordx4 v[56:59], v[34:35], off offset:96
	;; [unrolled: 1-line block ×5, first 2 shown]
	v_lshl_add_u64 v[32:33], v[32:33], 0, 4
	v_cmp_ge_i64_e32 vcc, v[32:33], v[10:11]
	v_lshl_add_u64 v[34:35], v[34:35], 0, s[14:15]
	v_lshl_add_u64 v[30:31], v[30:31], 0, 16
	s_or_b64 s[12:13], vcc, s[12:13]
	s_waitcnt vmcnt(9)
	v_subrev_u32_e32 v1, s16, v1
	v_lshl_add_u32 v72, v1, 1, v1
	v_ashrrev_i32_e32 v73, 31, v72
	s_waitcnt lgkmcnt(0)
	v_lshl_add_u64 v[84:85], v[72:73], 4, s[4:5]
	global_load_dwordx4 v[72:75], v[84:85], off
	global_load_dwordx4 v[76:79], v[84:85], off offset:16
	global_load_dwordx4 v[80:83], v[84:85], off offset:32
	s_waitcnt vmcnt(2)
	v_fmac_f64_e32 v[26:27], v[48:49], v[72:73]
	v_fmac_f64_e32 v[4:5], v[50:51], v[72:73]
	v_fmac_f64_e32 v[28:29], v[36:37], v[72:73]
	v_fmac_f64_e32 v[22:23], v[38:39], v[72:73]
	v_fmac_f64_e32 v[24:25], v[56:57], v[72:73]
	v_fmac_f64_e32 v[6:7], v[58:59], v[72:73]
	v_fma_f64 v[26:27], -v[50:51], v[74:75], v[26:27]
	v_fmac_f64_e32 v[4:5], v[48:49], v[74:75]
	v_fma_f64 v[28:29], -v[38:39], v[74:75], v[28:29]
	v_fmac_f64_e32 v[22:23], v[36:37], v[74:75]
	v_fma_f64 v[24:25], -v[58:59], v[74:75], v[24:25]
	v_fmac_f64_e32 v[6:7], v[56:57], v[74:75]
	s_waitcnt vmcnt(1)
	v_fmac_f64_e32 v[26:27], v[44:45], v[76:77]
	v_fmac_f64_e32 v[4:5], v[46:47], v[76:77]
	v_fmac_f64_e32 v[28:29], v[64:65], v[76:77]
	v_fmac_f64_e32 v[22:23], v[66:67], v[76:77]
	v_fmac_f64_e32 v[24:25], v[52:53], v[76:77]
	v_fmac_f64_e32 v[6:7], v[54:55], v[76:77]
	v_fma_f64 v[26:27], -v[46:47], v[78:79], v[26:27]
	v_fmac_f64_e32 v[4:5], v[44:45], v[78:79]
	v_fma_f64 v[28:29], -v[66:67], v[78:79], v[28:29]
	v_fmac_f64_e32 v[22:23], v[64:65], v[78:79]
	v_fma_f64 v[24:25], -v[54:55], v[78:79], v[24:25]
	v_fmac_f64_e32 v[6:7], v[52:53], v[78:79]
	;; [unrolled: 13-line block ×3, first 2 shown]
	s_andn2_b64 exec, exec, s[12:13]
	s_cbranch_execnz .LBB35_18
; %bb.19:
	s_or_b64 exec, exec, s[12:13]
.LBB35_20:
	s_or_b64 exec, exec, s[10:11]
	s_andn2_b64 vcc, exec, s[6:7]
	s_cbranch_vccz .LBB35_22
	s_branch .LBB35_27
.LBB35_21:
                                        ; implicit-def: $vgpr4_vgpr5
                                        ; implicit-def: $vgpr26_vgpr27
                                        ; implicit-def: $vgpr24_vgpr25
                                        ; implicit-def: $vgpr6_vgpr7
                                        ; implicit-def: $vgpr28_vgpr29
                                        ; implicit-def: $vgpr22_vgpr23
.LBB35_22:
	v_mov_b64_e32 v[4:5], 0
	v_mov_b64_e32 v[26:27], v[4:5]
	v_mov_b64_e32 v[24:25], v[4:5]
	v_mov_b64_e32 v[6:7], v[4:5]
	v_mov_b64_e32 v[28:29], v[4:5]
	v_mov_b64_e32 v[22:23], v[4:5]
	s_and_saveexec_b64 s[6:7], s[0:1]
	s_cbranch_execz .LBB35_26
; %bb.23:
	v_mov_b64_e32 v[4:5], 0
	v_lshl_add_u64 v[30:31], v[8:9], 2, s[8:9]
	s_mov_b64 s[0:1], 0
	s_mov_b64 s[8:9], 0x240
	v_mov_b64_e32 v[26:27], v[4:5]
	v_mov_b64_e32 v[24:25], v[4:5]
	;; [unrolled: 1-line block ×5, first 2 shown]
.LBB35_24:                              ; =>This Inner Loop Header: Depth=1
	global_load_dword v1, v[30:31], off
	global_load_dwordx4 v[32:35], v[20:21], off offset:48
	global_load_dwordx4 v[36:39], v[20:21], off offset:32
	;; [unrolled: 1-line block ×3, first 2 shown]
	global_load_dwordx4 v[44:47], v[20:21], off
	global_load_dwordx4 v[48:51], v[20:21], off offset:112
	global_load_dwordx4 v[52:55], v[20:21], off offset:96
	;; [unrolled: 1-line block ×5, first 2 shown]
	v_lshl_add_u64 v[8:9], v[8:9], 0, 4
	v_cmp_ge_i64_e32 vcc, v[8:9], v[10:11]
	v_lshl_add_u64 v[20:21], v[20:21], 0, s[8:9]
	v_lshl_add_u64 v[30:31], v[30:31], 0, 16
	s_or_b64 s[0:1], vcc, s[0:1]
	s_waitcnt vmcnt(9)
	v_subrev_u32_e32 v1, s16, v1
	v_lshl_add_u32 v68, v1, 1, v1
	v_ashrrev_i32_e32 v69, 31, v68
	s_waitcnt lgkmcnt(0)
	v_lshl_add_u64 v[80:81], v[68:69], 4, s[4:5]
	global_load_dwordx4 v[68:71], v[80:81], off
	global_load_dwordx4 v[72:75], v[80:81], off offset:16
	global_load_dwordx4 v[76:79], v[80:81], off offset:32
	s_waitcnt vmcnt(2)
	v_fmac_f64_e32 v[26:27], v[44:45], v[68:69]
	v_fmac_f64_e32 v[4:5], v[46:47], v[68:69]
	v_fmac_f64_e32 v[28:29], v[40:41], v[68:69]
	v_fmac_f64_e32 v[22:23], v[42:43], v[68:69]
	v_fmac_f64_e32 v[24:25], v[36:37], v[68:69]
	v_fmac_f64_e32 v[6:7], v[38:39], v[68:69]
	v_fma_f64 v[26:27], -v[46:47], v[70:71], v[26:27]
	v_fmac_f64_e32 v[4:5], v[44:45], v[70:71]
	v_fma_f64 v[28:29], -v[42:43], v[70:71], v[28:29]
	v_fmac_f64_e32 v[22:23], v[40:41], v[70:71]
	v_fma_f64 v[24:25], -v[38:39], v[70:71], v[24:25]
	v_fmac_f64_e32 v[6:7], v[36:37], v[70:71]
	s_waitcnt vmcnt(1)
	v_fmac_f64_e32 v[26:27], v[32:33], v[72:73]
	v_fmac_f64_e32 v[4:5], v[34:35], v[72:73]
	v_fmac_f64_e32 v[28:29], v[60:61], v[72:73]
	v_fmac_f64_e32 v[22:23], v[62:63], v[72:73]
	v_fmac_f64_e32 v[24:25], v[56:57], v[72:73]
	v_fmac_f64_e32 v[6:7], v[58:59], v[72:73]
	v_fma_f64 v[26:27], -v[34:35], v[74:75], v[26:27]
	v_fmac_f64_e32 v[4:5], v[32:33], v[74:75]
	v_fma_f64 v[28:29], -v[62:63], v[74:75], v[28:29]
	v_fmac_f64_e32 v[22:23], v[60:61], v[74:75]
	v_fma_f64 v[24:25], -v[58:59], v[74:75], v[24:25]
	v_fmac_f64_e32 v[6:7], v[56:57], v[74:75]
	;; [unrolled: 13-line block ×3, first 2 shown]
	s_andn2_b64 exec, exec, s[0:1]
	s_cbranch_execnz .LBB35_24
; %bb.25:
	s_or_b64 exec, exec, s[0:1]
.LBB35_26:
	s_or_b64 exec, exec, s[6:7]
.LBB35_27:
	v_mov_b32_dpp v8, v26 row_shr:1 row_mask:0xf bank_mask:0xf
	v_mov_b32_dpp v9, v27 row_shr:1 row_mask:0xf bank_mask:0xf
	v_add_f64 v[8:9], v[26:27], v[8:9]
	v_mov_b32_dpp v20, v4 row_shr:1 row_mask:0xf bank_mask:0xf
	v_mov_b32_dpp v21, v5 row_shr:1 row_mask:0xf bank_mask:0xf
	;; [unrolled: 1-line block ×10, first 2 shown]
	v_add_f64 v[4:5], v[4:5], v[20:21]
	v_add_f64 v[26:27], v[28:29], v[26:27]
	;; [unrolled: 1-line block ×5, first 2 shown]
	v_mov_b32_dpp v10, v8 row_shr:2 row_mask:0xf bank_mask:0xf
	v_mov_b32_dpp v11, v9 row_shr:2 row_mask:0xf bank_mask:0xf
	;; [unrolled: 1-line block ×12, first 2 shown]
	v_cmp_eq_u32_e32 vcc, 3, v2
	s_and_b64 exec, exec, vcc
	s_cbranch_execz .LBB35_12
; %bb.28:
	s_load_dwordx2 s[2:3], s[2:3], 0x60
	v_add_f64 v[2:3], v[4:5], v[20:21]
	v_add_f64 v[26:27], v[26:27], v[28:29]
	;; [unrolled: 1-line block ×6, first 2 shown]
	v_cmp_eq_f64_e32 vcc, 0, v[12:13]
	v_cmp_eq_f64_e64 s[0:1], 0, v[14:15]
	v_mul_f64 v[8:9], v[2:3], -v[18:19]
	v_mul_f64 v[10:11], v[16:17], v[2:3]
	v_lshl_add_u32 v20, v0, 1, v0
	v_mul_f64 v[4:5], v[22:23], -v[18:19]
	v_mul_f64 v[6:7], v[16:17], v[22:23]
	v_mul_f64 v[0:1], v[28:29], -v[18:19]
	v_mul_f64 v[2:3], v[16:17], v[28:29]
	s_and_b64 s[0:1], vcc, s[0:1]
	v_fmac_f64_e32 v[8:9], v[16:17], v[36:37]
	v_fmac_f64_e32 v[10:11], v[18:19], v[36:37]
	v_ashrrev_i32_e32 v21, 31, v20
	v_fmac_f64_e32 v[4:5], v[16:17], v[26:27]
	v_fmac_f64_e32 v[6:7], v[18:19], v[26:27]
	;; [unrolled: 1-line block ×4, first 2 shown]
	s_waitcnt lgkmcnt(0)
	s_and_saveexec_b64 s[4:5], s[0:1]
	s_xor_b64 s[0:1], exec, s[4:5]
	s_cbranch_execz .LBB35_30
; %bb.29:
	v_lshl_add_u64 v[12:13], v[20:21], 4, s[2:3]
	global_store_dwordx4 v[12:13], v[8:11], off
	global_store_dwordx4 v[12:13], v[4:7], off offset:16
	global_store_dwordx4 v[12:13], v[0:3], off offset:32
                                        ; implicit-def: $vgpr12_vgpr13
                                        ; implicit-def: $vgpr14_vgpr15
                                        ; implicit-def: $vgpr20
                                        ; implicit-def: $vgpr8_vgpr9
                                        ; implicit-def: $vgpr4_vgpr5
                                        ; implicit-def: $vgpr0_vgpr1
.LBB35_30:
	s_andn2_saveexec_b64 s[0:1], s[0:1]
	s_cbranch_execz .LBB35_12
; %bb.31:
	v_lshl_add_u64 v[28:29], v[20:21], 4, s[2:3]
	global_load_dwordx4 v[16:19], v[28:29], off
	global_load_dwordx4 v[20:23], v[28:29], off offset:16
	global_load_dwordx4 v[24:27], v[28:29], off offset:32
	s_waitcnt vmcnt(2)
	v_fmac_f64_e32 v[8:9], v[12:13], v[16:17]
	v_fmac_f64_e32 v[10:11], v[14:15], v[16:17]
	s_waitcnt vmcnt(1)
	v_fmac_f64_e32 v[4:5], v[12:13], v[20:21]
	v_fmac_f64_e32 v[6:7], v[14:15], v[20:21]
	;; [unrolled: 3-line block ×3, first 2 shown]
	v_fma_f64 v[8:9], -v[14:15], v[18:19], v[8:9]
	v_fmac_f64_e32 v[10:11], v[12:13], v[18:19]
	v_fma_f64 v[4:5], -v[14:15], v[22:23], v[4:5]
	v_fmac_f64_e32 v[6:7], v[12:13], v[22:23]
	;; [unrolled: 2-line block ×3, first 2 shown]
	global_store_dwordx4 v[28:29], v[8:11], off
	global_store_dwordx4 v[28:29], v[4:7], off offset:16
	global_store_dwordx4 v[28:29], v[0:3], off offset:32
	s_endpgm
	.section	.rodata,"a",@progbits
	.p2align	6, 0x0
	.amdhsa_kernel _ZN9rocsparseL18bsrxmvn_3x3_kernelILj256ELj4E21rocsparse_complex_numIdEliS2_S2_S2_EEvT3_20rocsparse_direction_NS_24const_host_device_scalarIT1_EES3_PKS3_PKT2_SC_S9_PKT4_PKT5_S7_PT6_21rocsparse_index_base_b
		.amdhsa_group_segment_fixed_size 4096
		.amdhsa_private_segment_fixed_size 0
		.amdhsa_kernarg_size 112
		.amdhsa_user_sgpr_count 4
		.amdhsa_user_sgpr_dispatch_ptr 1
		.amdhsa_user_sgpr_queue_ptr 0
		.amdhsa_user_sgpr_kernarg_segment_ptr 1
		.amdhsa_user_sgpr_dispatch_id 0
		.amdhsa_user_sgpr_kernarg_preload_length 0
		.amdhsa_user_sgpr_kernarg_preload_offset 0
		.amdhsa_user_sgpr_private_segment_size 0
		.amdhsa_uses_dynamic_stack 0
		.amdhsa_enable_private_segment 0
		.amdhsa_system_sgpr_workgroup_id_x 1
		.amdhsa_system_sgpr_workgroup_id_y 0
		.amdhsa_system_sgpr_workgroup_id_z 0
		.amdhsa_system_sgpr_workgroup_info 0
		.amdhsa_system_vgpr_workitem_id 2
		.amdhsa_next_free_vgpr 86
		.amdhsa_next_free_sgpr 20
		.amdhsa_accum_offset 88
		.amdhsa_reserve_vcc 1
		.amdhsa_float_round_mode_32 0
		.amdhsa_float_round_mode_16_64 0
		.amdhsa_float_denorm_mode_32 3
		.amdhsa_float_denorm_mode_16_64 3
		.amdhsa_dx10_clamp 1
		.amdhsa_ieee_mode 1
		.amdhsa_fp16_overflow 0
		.amdhsa_tg_split 0
		.amdhsa_exception_fp_ieee_invalid_op 0
		.amdhsa_exception_fp_denorm_src 0
		.amdhsa_exception_fp_ieee_div_zero 0
		.amdhsa_exception_fp_ieee_overflow 0
		.amdhsa_exception_fp_ieee_underflow 0
		.amdhsa_exception_fp_ieee_inexact 0
		.amdhsa_exception_int_div_zero 0
	.end_amdhsa_kernel
	.section	.text._ZN9rocsparseL18bsrxmvn_3x3_kernelILj256ELj4E21rocsparse_complex_numIdEliS2_S2_S2_EEvT3_20rocsparse_direction_NS_24const_host_device_scalarIT1_EES3_PKS3_PKT2_SC_S9_PKT4_PKT5_S7_PT6_21rocsparse_index_base_b,"axG",@progbits,_ZN9rocsparseL18bsrxmvn_3x3_kernelILj256ELj4E21rocsparse_complex_numIdEliS2_S2_S2_EEvT3_20rocsparse_direction_NS_24const_host_device_scalarIT1_EES3_PKS3_PKT2_SC_S9_PKT4_PKT5_S7_PT6_21rocsparse_index_base_b,comdat
.Lfunc_end35:
	.size	_ZN9rocsparseL18bsrxmvn_3x3_kernelILj256ELj4E21rocsparse_complex_numIdEliS2_S2_S2_EEvT3_20rocsparse_direction_NS_24const_host_device_scalarIT1_EES3_PKS3_PKT2_SC_S9_PKT4_PKT5_S7_PT6_21rocsparse_index_base_b, .Lfunc_end35-_ZN9rocsparseL18bsrxmvn_3x3_kernelILj256ELj4E21rocsparse_complex_numIdEliS2_S2_S2_EEvT3_20rocsparse_direction_NS_24const_host_device_scalarIT1_EES3_PKS3_PKT2_SC_S9_PKT4_PKT5_S7_PT6_21rocsparse_index_base_b
                                        ; -- End function
	.section	.AMDGPU.csdata,"",@progbits
; Kernel info:
; codeLenInByte = 2164
; NumSgprs: 26
; NumVgprs: 86
; NumAgprs: 0
; TotalNumVgprs: 86
; ScratchSize: 0
; MemoryBound: 0
; FloatMode: 240
; IeeeMode: 1
; LDSByteSize: 4096 bytes/workgroup (compile time only)
; SGPRBlocks: 3
; VGPRBlocks: 10
; NumSGPRsForWavesPerEU: 26
; NumVGPRsForWavesPerEU: 86
; AccumOffset: 88
; Occupancy: 5
; WaveLimiterHint : 1
; COMPUTE_PGM_RSRC2:SCRATCH_EN: 0
; COMPUTE_PGM_RSRC2:USER_SGPR: 4
; COMPUTE_PGM_RSRC2:TRAP_HANDLER: 0
; COMPUTE_PGM_RSRC2:TGID_X_EN: 1
; COMPUTE_PGM_RSRC2:TGID_Y_EN: 0
; COMPUTE_PGM_RSRC2:TGID_Z_EN: 0
; COMPUTE_PGM_RSRC2:TIDIG_COMP_CNT: 2
; COMPUTE_PGM_RSRC3_GFX90A:ACCUM_OFFSET: 21
; COMPUTE_PGM_RSRC3_GFX90A:TG_SPLIT: 0
	.section	.text._ZN9rocsparseL18bsrxmvn_3x3_kernelILj256ELj8E21rocsparse_complex_numIdEliS2_S2_S2_EEvT3_20rocsparse_direction_NS_24const_host_device_scalarIT1_EES3_PKS3_PKT2_SC_S9_PKT4_PKT5_S7_PT6_21rocsparse_index_base_b,"axG",@progbits,_ZN9rocsparseL18bsrxmvn_3x3_kernelILj256ELj8E21rocsparse_complex_numIdEliS2_S2_S2_EEvT3_20rocsparse_direction_NS_24const_host_device_scalarIT1_EES3_PKS3_PKT2_SC_S9_PKT4_PKT5_S7_PT6_21rocsparse_index_base_b,comdat
	.globl	_ZN9rocsparseL18bsrxmvn_3x3_kernelILj256ELj8E21rocsparse_complex_numIdEliS2_S2_S2_EEvT3_20rocsparse_direction_NS_24const_host_device_scalarIT1_EES3_PKS3_PKT2_SC_S9_PKT4_PKT5_S7_PT6_21rocsparse_index_base_b ; -- Begin function _ZN9rocsparseL18bsrxmvn_3x3_kernelILj256ELj8E21rocsparse_complex_numIdEliS2_S2_S2_EEvT3_20rocsparse_direction_NS_24const_host_device_scalarIT1_EES3_PKS3_PKT2_SC_S9_PKT4_PKT5_S7_PT6_21rocsparse_index_base_b
	.p2align	8
	.type	_ZN9rocsparseL18bsrxmvn_3x3_kernelILj256ELj8E21rocsparse_complex_numIdEliS2_S2_S2_EEvT3_20rocsparse_direction_NS_24const_host_device_scalarIT1_EES3_PKS3_PKT2_SC_S9_PKT4_PKT5_S7_PT6_21rocsparse_index_base_b,@function
_ZN9rocsparseL18bsrxmvn_3x3_kernelILj256ELj8E21rocsparse_complex_numIdEliS2_S2_S2_EEvT3_20rocsparse_direction_NS_24const_host_device_scalarIT1_EES3_PKS3_PKT2_SC_S9_PKT4_PKT5_S7_PT6_21rocsparse_index_base_b: ; @_ZN9rocsparseL18bsrxmvn_3x3_kernelILj256ELj8E21rocsparse_complex_numIdEliS2_S2_S2_EEvT3_20rocsparse_direction_NS_24const_host_device_scalarIT1_EES3_PKS3_PKT2_SC_S9_PKT4_PKT5_S7_PT6_21rocsparse_index_base_b
; %bb.0:
	s_load_dwordx2 s[16:17], s[2:3], 0x68
	s_load_dwordx4 s[8:11], s[2:3], 0x8
	s_load_dwordx2 s[18:19], s[0:1], 0x4
	s_load_dwordx4 s[12:15], s[2:3], 0x50
	s_mov_b64 s[6:7], src_shared_base
	v_and_b32_e32 v2, 0x3ff, v0
	s_waitcnt lgkmcnt(0)
	s_bitcmp1_b32 s17, 0
	s_cselect_b64 s[0:1], -1, 0
	s_and_b64 vcc, s[0:1], exec
	s_cselect_b32 s5, s7, s9
	s_lshr_b32 s6, s18, 16
	s_mul_i32 s6, s6, s19
	v_mul_lo_u32 v3, s6, v2
	v_bfe_u32 v4, v0, 10, 10
	v_mad_u32_u24 v3, v4, s19, v3
	v_bfe_u32 v0, v0, 20, 10
	v_add_lshl_u32 v0, v3, v0, 3
	v_mov_b32_e32 v1, s8
	v_add_u32_e32 v3, 0x800, v0
	v_mov_b64_e32 v[4:5], s[8:9]
	v_mov_b64_e32 v[6:7], s[12:13]
	ds_write2st64_b64 v0, v[6:7], v[4:5] offset1:4
	v_cndmask_b32_e64 v4, v1, v3, s[0:1]
	v_mov_b32_e32 v5, s5
	flat_load_dwordx2 v[16:17], v[4:5]
	s_xor_b64 s[18:19], s[0:1], -1
	v_mov_b64_e32 v[18:19], s[10:11]
	s_cbranch_vccnz .LBB36_2
; %bb.1:
	v_mov_b64_e32 v[4:5], s[8:9]
	flat_load_dwordx2 v[18:19], v[4:5] offset:8
.LBB36_2:
	s_and_b64 s[8:9], s[0:1], exec
	s_cselect_b32 s5, s7, s13
	v_mov_b32_e32 v1, s12
	v_cndmask_b32_e64 v0, v1, v0, s[0:1]
	v_mov_b32_e32 v1, s5
	flat_load_dwordx2 v[12:13], v[0:1]
	s_andn2_b64 vcc, exec, s[18:19]
	v_mov_b64_e32 v[14:15], s[14:15]
	s_cbranch_vccnz .LBB36_4
; %bb.3:
	v_mov_b64_e32 v[0:1], s[12:13]
	flat_load_dwordx2 v[14:15], v[0:1] offset:8
.LBB36_4:
	s_waitcnt vmcnt(0) lgkmcnt(0)
	v_cmp_eq_f64_e32 vcc, 0, v[16:17]
	v_cmp_eq_f64_e64 s[0:1], 0, v[18:19]
	s_and_b64 s[8:9], vcc, s[0:1]
	s_mov_b64 s[0:1], -1
	s_and_saveexec_b64 s[6:7], s[8:9]
; %bb.5:
	v_cmp_neq_f64_e32 vcc, 1.0, v[12:13]
	v_cmp_neq_f64_e64 s[0:1], 0, v[14:15]
	s_or_b64 s[0:1], vcc, s[0:1]
	s_orn2_b64 s[0:1], s[0:1], exec
; %bb.6:
	s_or_b64 exec, exec, s[6:7]
	s_and_saveexec_b64 s[6:7], s[0:1]
	s_cbranch_execz .LBB36_12
; %bb.7:
	s_load_dwordx2 s[6:7], s[2:3], 0x20
	s_load_dwordx2 s[0:1], s[2:3], 0x0
	v_lshrrev_b32_e32 v0, 3, v2
	v_lshl_or_b32 v0, s4, 5, v0
	s_mov_b64 s[4:5], 0
	s_waitcnt lgkmcnt(0)
	s_cmp_lg_u64 s[6:7], 0
	s_cbranch_scc0 .LBB36_13
; %bb.8:
	s_load_dword s8, s[2:3], 0x18
                                        ; implicit-def: $vgpr1
	s_waitcnt lgkmcnt(0)
	v_cmp_gt_i32_e32 vcc, s8, v0
	s_and_saveexec_b64 s[8:9], vcc
	s_xor_b64 s[8:9], exec, s[8:9]
	s_cbranch_execz .LBB36_10
; %bb.9:
	v_ashrrev_i32_e32 v1, 31, v0
	v_lshl_add_u64 v[4:5], v[0:1], 2, s[6:7]
	global_load_dword v1, v[4:5], off
	s_mov_b64 s[4:5], exec
	s_waitcnt vmcnt(0)
	v_subrev_u32_e32 v1, s16, v1
.LBB36_10:
	s_or_b64 exec, exec, s[8:9]
	s_branch .LBB36_14
.LBB36_11:
	v_cmp_gt_i32_e32 vcc, s0, v0
	s_andn2_b64 s[4:5], s[4:5], exec
	s_and_b64 s[6:7], vcc, exec
	s_or_b64 s[4:5], s[4:5], s[6:7]
	s_and_b64 exec, exec, s[4:5]
	s_cbranch_execnz .LBB36_15
.LBB36_12:
	s_endpgm
.LBB36_13:
                                        ; implicit-def: $vgpr1
	s_cbranch_execnz .LBB36_11
.LBB36_14:
	v_mov_b32_e32 v0, v1
	s_and_b64 exec, exec, s[4:5]
	s_cbranch_execz .LBB36_12
.LBB36_15:
	s_load_dwordx8 s[4:11], s[2:3], 0x28
	v_ashrrev_i32_e32 v1, 31, v0
	v_lshlrev_b64 v[4:5], 3, v[0:1]
	v_and_b32_e32 v2, 7, v2
	v_mov_b32_e32 v3, 0
	s_waitcnt lgkmcnt(0)
	v_lshl_add_u64 v[6:7], s[4:5], 0, v[4:5]
	global_load_dwordx2 v[8:9], v[6:7], off
	s_cmp_eq_u64 s[6:7], 0
	v_lshl_add_u64 v[4:5], s[6:7], 0, v[4:5]
	v_lshl_add_u64 v[6:7], v[6:7], 0, 8
	s_cselect_b64 vcc, -1, 0
	v_cndmask_b32_e32 v5, v5, v7, vcc
	v_cndmask_b32_e32 v4, v4, v6, vcc
	global_load_dwordx2 v[4:5], v[4:5], off
	s_load_dwordx2 s[4:5], s[2:3], 0x48
	s_movk_i32 s6, 0x90
	v_mov_b64_e32 v[6:7], s[10:11]
	s_cmp_eq_u32 s1, 1
	s_waitcnt vmcnt(1)
	v_subrev_co_u32_e32 v8, vcc, s16, v8
	s_nop 1
	v_subbrev_co_u32_e32 v9, vcc, 0, v9, vcc
	v_lshl_add_u64 v[10:11], v[8:9], 0, v[2:3]
	v_mad_u64_u32 v[22:23], s[0:1], v10, s6, v[6:7]
	s_waitcnt vmcnt(0)
	v_subrev_co_u32_e32 v20, vcc, s16, v4
	v_mov_b32_e32 v4, v23
	s_nop 0
	v_subbrev_co_u32_e32 v21, vcc, 0, v5, vcc
	v_mad_u64_u32 v[4:5], s[0:1], v11, s6, v[4:5]
	v_mov_b32_e32 v23, v4
	v_cmp_lt_i64_e64 s[0:1], v[10:11], v[20:21]
	s_cbranch_scc1 .LBB36_21
; %bb.16:
	v_mov_b64_e32 v[6:7], 0
	s_mov_b64 s[6:7], 0
	v_mov_b64_e32 v[28:29], v[6:7]
	v_mov_b64_e32 v[24:25], v[6:7]
	;; [unrolled: 1-line block ×5, first 2 shown]
	s_and_saveexec_b64 s[10:11], s[0:1]
	s_cbranch_execz .LBB36_20
; %bb.17:
	v_mov_b64_e32 v[6:7], 0
	v_lshl_add_u64 v[30:31], v[10:11], 2, s[8:9]
	s_mov_b64 s[12:13], 0
	s_mov_b64 s[14:15], 0x480
	v_mov_b64_e32 v[32:33], v[10:11]
	v_mov_b64_e32 v[34:35], v[22:23]
	;; [unrolled: 1-line block ×7, first 2 shown]
.LBB36_18:                              ; =>This Inner Loop Header: Depth=1
	global_load_dword v1, v[30:31], off
	global_load_dwordx4 v[36:39], v[34:35], off offset:48
	global_load_dwordx4 v[40:43], v[34:35], off offset:32
	;; [unrolled: 1-line block ×3, first 2 shown]
	global_load_dwordx4 v[48:51], v[34:35], off
	global_load_dwordx4 v[52:55], v[34:35], off offset:112
	global_load_dwordx4 v[56:59], v[34:35], off offset:96
	;; [unrolled: 1-line block ×5, first 2 shown]
	v_lshl_add_u64 v[32:33], v[32:33], 0, 8
	v_cmp_ge_i64_e32 vcc, v[32:33], v[20:21]
	v_lshl_add_u64 v[34:35], v[34:35], 0, s[14:15]
	v_lshl_add_u64 v[30:31], v[30:31], 0, 32
	s_or_b64 s[12:13], vcc, s[12:13]
	s_waitcnt vmcnt(9)
	v_subrev_u32_e32 v1, s16, v1
	v_lshl_add_u32 v72, v1, 1, v1
	v_ashrrev_i32_e32 v73, 31, v72
	s_waitcnt lgkmcnt(0)
	v_lshl_add_u64 v[84:85], v[72:73], 4, s[4:5]
	global_load_dwordx4 v[72:75], v[84:85], off
	global_load_dwordx4 v[76:79], v[84:85], off offset:16
	global_load_dwordx4 v[80:83], v[84:85], off offset:32
	s_waitcnt vmcnt(2)
	v_fmac_f64_e32 v[28:29], v[48:49], v[72:73]
	v_fmac_f64_e32 v[6:7], v[50:51], v[72:73]
	v_fmac_f64_e32 v[26:27], v[36:37], v[72:73]
	v_fmac_f64_e32 v[8:9], v[38:39], v[72:73]
	v_fmac_f64_e32 v[24:25], v[56:57], v[72:73]
	v_fmac_f64_e32 v[4:5], v[58:59], v[72:73]
	v_fma_f64 v[28:29], -v[50:51], v[74:75], v[28:29]
	v_fmac_f64_e32 v[6:7], v[48:49], v[74:75]
	v_fma_f64 v[26:27], -v[38:39], v[74:75], v[26:27]
	v_fmac_f64_e32 v[8:9], v[36:37], v[74:75]
	v_fma_f64 v[24:25], -v[58:59], v[74:75], v[24:25]
	v_fmac_f64_e32 v[4:5], v[56:57], v[74:75]
	s_waitcnt vmcnt(1)
	v_fmac_f64_e32 v[28:29], v[44:45], v[76:77]
	v_fmac_f64_e32 v[6:7], v[46:47], v[76:77]
	v_fmac_f64_e32 v[26:27], v[64:65], v[76:77]
	v_fmac_f64_e32 v[8:9], v[66:67], v[76:77]
	v_fmac_f64_e32 v[24:25], v[52:53], v[76:77]
	v_fmac_f64_e32 v[4:5], v[54:55], v[76:77]
	v_fma_f64 v[28:29], -v[46:47], v[78:79], v[28:29]
	v_fmac_f64_e32 v[6:7], v[44:45], v[78:79]
	v_fma_f64 v[26:27], -v[66:67], v[78:79], v[26:27]
	v_fmac_f64_e32 v[8:9], v[64:65], v[78:79]
	v_fma_f64 v[24:25], -v[54:55], v[78:79], v[24:25]
	v_fmac_f64_e32 v[4:5], v[52:53], v[78:79]
	;; [unrolled: 13-line block ×3, first 2 shown]
	s_andn2_b64 exec, exec, s[12:13]
	s_cbranch_execnz .LBB36_18
; %bb.19:
	s_or_b64 exec, exec, s[12:13]
.LBB36_20:
	s_or_b64 exec, exec, s[10:11]
	s_andn2_b64 vcc, exec, s[6:7]
	s_cbranch_vccz .LBB36_22
	s_branch .LBB36_27
.LBB36_21:
                                        ; implicit-def: $vgpr6_vgpr7
                                        ; implicit-def: $vgpr28_vgpr29
                                        ; implicit-def: $vgpr24_vgpr25
                                        ; implicit-def: $vgpr4_vgpr5
                                        ; implicit-def: $vgpr26_vgpr27
                                        ; implicit-def: $vgpr8_vgpr9
.LBB36_22:
	v_mov_b64_e32 v[6:7], 0
	v_mov_b64_e32 v[28:29], v[6:7]
	;; [unrolled: 1-line block ×6, first 2 shown]
	s_and_saveexec_b64 s[6:7], s[0:1]
	s_cbranch_execz .LBB36_26
; %bb.23:
	v_mov_b64_e32 v[6:7], 0
	v_lshl_add_u64 v[30:31], v[10:11], 2, s[8:9]
	s_mov_b64 s[0:1], 0
	s_mov_b64 s[8:9], 0x480
	v_mov_b64_e32 v[28:29], v[6:7]
	v_mov_b64_e32 v[24:25], v[6:7]
	;; [unrolled: 1-line block ×5, first 2 shown]
.LBB36_24:                              ; =>This Inner Loop Header: Depth=1
	global_load_dword v1, v[30:31], off
	global_load_dwordx4 v[32:35], v[22:23], off offset:48
	global_load_dwordx4 v[36:39], v[22:23], off offset:32
	;; [unrolled: 1-line block ×3, first 2 shown]
	global_load_dwordx4 v[44:47], v[22:23], off
	global_load_dwordx4 v[48:51], v[22:23], off offset:112
	global_load_dwordx4 v[52:55], v[22:23], off offset:96
	;; [unrolled: 1-line block ×5, first 2 shown]
	v_lshl_add_u64 v[10:11], v[10:11], 0, 8
	v_cmp_ge_i64_e32 vcc, v[10:11], v[20:21]
	v_lshl_add_u64 v[22:23], v[22:23], 0, s[8:9]
	v_lshl_add_u64 v[30:31], v[30:31], 0, 32
	s_or_b64 s[0:1], vcc, s[0:1]
	s_waitcnt vmcnt(9)
	v_subrev_u32_e32 v1, s16, v1
	v_lshl_add_u32 v68, v1, 1, v1
	v_ashrrev_i32_e32 v69, 31, v68
	s_waitcnt lgkmcnt(0)
	v_lshl_add_u64 v[80:81], v[68:69], 4, s[4:5]
	global_load_dwordx4 v[68:71], v[80:81], off
	global_load_dwordx4 v[72:75], v[80:81], off offset:16
	global_load_dwordx4 v[76:79], v[80:81], off offset:32
	s_waitcnt vmcnt(2)
	v_fmac_f64_e32 v[28:29], v[44:45], v[68:69]
	v_fmac_f64_e32 v[6:7], v[46:47], v[68:69]
	v_fmac_f64_e32 v[26:27], v[40:41], v[68:69]
	v_fmac_f64_e32 v[8:9], v[42:43], v[68:69]
	v_fmac_f64_e32 v[24:25], v[36:37], v[68:69]
	v_fmac_f64_e32 v[4:5], v[38:39], v[68:69]
	v_fma_f64 v[28:29], -v[46:47], v[70:71], v[28:29]
	v_fmac_f64_e32 v[6:7], v[44:45], v[70:71]
	v_fma_f64 v[26:27], -v[42:43], v[70:71], v[26:27]
	v_fmac_f64_e32 v[8:9], v[40:41], v[70:71]
	v_fma_f64 v[24:25], -v[38:39], v[70:71], v[24:25]
	v_fmac_f64_e32 v[4:5], v[36:37], v[70:71]
	s_waitcnt vmcnt(1)
	v_fmac_f64_e32 v[28:29], v[32:33], v[72:73]
	v_fmac_f64_e32 v[6:7], v[34:35], v[72:73]
	v_fmac_f64_e32 v[26:27], v[60:61], v[72:73]
	v_fmac_f64_e32 v[8:9], v[62:63], v[72:73]
	v_fmac_f64_e32 v[24:25], v[56:57], v[72:73]
	v_fmac_f64_e32 v[4:5], v[58:59], v[72:73]
	v_fma_f64 v[28:29], -v[34:35], v[74:75], v[28:29]
	v_fmac_f64_e32 v[6:7], v[32:33], v[74:75]
	v_fma_f64 v[26:27], -v[62:63], v[74:75], v[26:27]
	v_fmac_f64_e32 v[8:9], v[60:61], v[74:75]
	v_fma_f64 v[24:25], -v[58:59], v[74:75], v[24:25]
	v_fmac_f64_e32 v[4:5], v[56:57], v[74:75]
	;; [unrolled: 13-line block ×3, first 2 shown]
	s_andn2_b64 exec, exec, s[0:1]
	s_cbranch_execnz .LBB36_24
; %bb.25:
	s_or_b64 exec, exec, s[0:1]
.LBB36_26:
	s_or_b64 exec, exec, s[6:7]
.LBB36_27:
	v_mov_b32_dpp v10, v28 row_shr:1 row_mask:0xf bank_mask:0xf
	v_mov_b32_dpp v11, v29 row_shr:1 row_mask:0xf bank_mask:0xf
	v_add_f64 v[10:11], v[28:29], v[10:11]
	v_mov_b32_dpp v22, v6 row_shr:1 row_mask:0xf bank_mask:0xf
	v_mov_b32_dpp v23, v7 row_shr:1 row_mask:0xf bank_mask:0xf
	;; [unrolled: 1-line block ×10, first 2 shown]
	v_add_f64 v[6:7], v[6:7], v[22:23]
	v_add_f64 v[26:27], v[26:27], v[28:29]
	;; [unrolled: 1-line block ×5, first 2 shown]
	v_mov_b32_dpp v20, v10 row_shr:2 row_mask:0xf bank_mask:0xf
	v_mov_b32_dpp v21, v11 row_shr:2 row_mask:0xf bank_mask:0xf
	;; [unrolled: 1-line block ×12, first 2 shown]
	v_add_f64 v[10:11], v[10:11], v[20:21]
	v_add_f64 v[6:7], v[6:7], v[22:23]
	;; [unrolled: 1-line block ×6, first 2 shown]
	v_mov_b32_dpp v20, v10 row_shr:4 row_mask:0xf bank_mask:0xe
	v_mov_b32_dpp v21, v11 row_shr:4 row_mask:0xf bank_mask:0xe
	;; [unrolled: 1-line block ×12, first 2 shown]
	v_cmp_eq_u32_e32 vcc, 7, v2
	s_and_b64 exec, exec, vcc
	s_cbranch_execz .LBB36_12
; %bb.28:
	s_load_dwordx2 s[2:3], s[2:3], 0x60
	v_add_f64 v[2:3], v[6:7], v[22:23]
	v_add_f64 v[22:23], v[26:27], v[28:29]
	;; [unrolled: 1-line block ×6, first 2 shown]
	v_cmp_eq_f64_e32 vcc, 0, v[12:13]
	v_cmp_eq_f64_e64 s[0:1], 0, v[14:15]
	v_mul_f64 v[8:9], v[2:3], -v[18:19]
	v_mul_f64 v[10:11], v[16:17], v[2:3]
	v_lshl_add_u32 v20, v0, 1, v0
	v_mul_f64 v[4:5], v[6:7], -v[18:19]
	v_mul_f64 v[6:7], v[16:17], v[6:7]
	v_mul_f64 v[0:1], v[26:27], -v[18:19]
	v_mul_f64 v[2:3], v[16:17], v[26:27]
	s_and_b64 s[0:1], vcc, s[0:1]
	v_fmac_f64_e32 v[8:9], v[16:17], v[36:37]
	v_fmac_f64_e32 v[10:11], v[18:19], v[36:37]
	v_ashrrev_i32_e32 v21, 31, v20
	v_fmac_f64_e32 v[4:5], v[16:17], v[22:23]
	v_fmac_f64_e32 v[6:7], v[18:19], v[22:23]
	;; [unrolled: 1-line block ×4, first 2 shown]
	s_waitcnt lgkmcnt(0)
	s_and_saveexec_b64 s[4:5], s[0:1]
	s_xor_b64 s[0:1], exec, s[4:5]
	s_cbranch_execz .LBB36_30
; %bb.29:
	v_lshl_add_u64 v[12:13], v[20:21], 4, s[2:3]
	global_store_dwordx4 v[12:13], v[8:11], off
	global_store_dwordx4 v[12:13], v[4:7], off offset:16
	global_store_dwordx4 v[12:13], v[0:3], off offset:32
                                        ; implicit-def: $vgpr12_vgpr13
                                        ; implicit-def: $vgpr14_vgpr15
                                        ; implicit-def: $vgpr20
                                        ; implicit-def: $vgpr8_vgpr9
                                        ; implicit-def: $vgpr4_vgpr5
                                        ; implicit-def: $vgpr0_vgpr1
.LBB36_30:
	s_andn2_saveexec_b64 s[0:1], s[0:1]
	s_cbranch_execz .LBB36_12
; %bb.31:
	v_lshl_add_u64 v[28:29], v[20:21], 4, s[2:3]
	global_load_dwordx4 v[16:19], v[28:29], off
	global_load_dwordx4 v[20:23], v[28:29], off offset:16
	global_load_dwordx4 v[24:27], v[28:29], off offset:32
	s_waitcnt vmcnt(2)
	v_fmac_f64_e32 v[8:9], v[12:13], v[16:17]
	v_fmac_f64_e32 v[10:11], v[14:15], v[16:17]
	s_waitcnt vmcnt(1)
	v_fmac_f64_e32 v[4:5], v[12:13], v[20:21]
	v_fmac_f64_e32 v[6:7], v[14:15], v[20:21]
	;; [unrolled: 3-line block ×3, first 2 shown]
	v_fma_f64 v[8:9], -v[14:15], v[18:19], v[8:9]
	v_fmac_f64_e32 v[10:11], v[12:13], v[18:19]
	v_fma_f64 v[4:5], -v[14:15], v[22:23], v[4:5]
	v_fmac_f64_e32 v[6:7], v[12:13], v[22:23]
	;; [unrolled: 2-line block ×3, first 2 shown]
	global_store_dwordx4 v[28:29], v[8:11], off
	global_store_dwordx4 v[28:29], v[4:7], off offset:16
	global_store_dwordx4 v[28:29], v[0:3], off offset:32
	s_endpgm
	.section	.rodata,"a",@progbits
	.p2align	6, 0x0
	.amdhsa_kernel _ZN9rocsparseL18bsrxmvn_3x3_kernelILj256ELj8E21rocsparse_complex_numIdEliS2_S2_S2_EEvT3_20rocsparse_direction_NS_24const_host_device_scalarIT1_EES3_PKS3_PKT2_SC_S9_PKT4_PKT5_S7_PT6_21rocsparse_index_base_b
		.amdhsa_group_segment_fixed_size 4096
		.amdhsa_private_segment_fixed_size 0
		.amdhsa_kernarg_size 112
		.amdhsa_user_sgpr_count 4
		.amdhsa_user_sgpr_dispatch_ptr 1
		.amdhsa_user_sgpr_queue_ptr 0
		.amdhsa_user_sgpr_kernarg_segment_ptr 1
		.amdhsa_user_sgpr_dispatch_id 0
		.amdhsa_user_sgpr_kernarg_preload_length 0
		.amdhsa_user_sgpr_kernarg_preload_offset 0
		.amdhsa_user_sgpr_private_segment_size 0
		.amdhsa_uses_dynamic_stack 0
		.amdhsa_enable_private_segment 0
		.amdhsa_system_sgpr_workgroup_id_x 1
		.amdhsa_system_sgpr_workgroup_id_y 0
		.amdhsa_system_sgpr_workgroup_id_z 0
		.amdhsa_system_sgpr_workgroup_info 0
		.amdhsa_system_vgpr_workitem_id 2
		.amdhsa_next_free_vgpr 86
		.amdhsa_next_free_sgpr 20
		.amdhsa_accum_offset 88
		.amdhsa_reserve_vcc 1
		.amdhsa_float_round_mode_32 0
		.amdhsa_float_round_mode_16_64 0
		.amdhsa_float_denorm_mode_32 3
		.amdhsa_float_denorm_mode_16_64 3
		.amdhsa_dx10_clamp 1
		.amdhsa_ieee_mode 1
		.amdhsa_fp16_overflow 0
		.amdhsa_tg_split 0
		.amdhsa_exception_fp_ieee_invalid_op 0
		.amdhsa_exception_fp_denorm_src 0
		.amdhsa_exception_fp_ieee_div_zero 0
		.amdhsa_exception_fp_ieee_overflow 0
		.amdhsa_exception_fp_ieee_underflow 0
		.amdhsa_exception_fp_ieee_inexact 0
		.amdhsa_exception_int_div_zero 0
	.end_amdhsa_kernel
	.section	.text._ZN9rocsparseL18bsrxmvn_3x3_kernelILj256ELj8E21rocsparse_complex_numIdEliS2_S2_S2_EEvT3_20rocsparse_direction_NS_24const_host_device_scalarIT1_EES3_PKS3_PKT2_SC_S9_PKT4_PKT5_S7_PT6_21rocsparse_index_base_b,"axG",@progbits,_ZN9rocsparseL18bsrxmvn_3x3_kernelILj256ELj8E21rocsparse_complex_numIdEliS2_S2_S2_EEvT3_20rocsparse_direction_NS_24const_host_device_scalarIT1_EES3_PKS3_PKT2_SC_S9_PKT4_PKT5_S7_PT6_21rocsparse_index_base_b,comdat
.Lfunc_end36:
	.size	_ZN9rocsparseL18bsrxmvn_3x3_kernelILj256ELj8E21rocsparse_complex_numIdEliS2_S2_S2_EEvT3_20rocsparse_direction_NS_24const_host_device_scalarIT1_EES3_PKS3_PKT2_SC_S9_PKT4_PKT5_S7_PT6_21rocsparse_index_base_b, .Lfunc_end36-_ZN9rocsparseL18bsrxmvn_3x3_kernelILj256ELj8E21rocsparse_complex_numIdEliS2_S2_S2_EEvT3_20rocsparse_direction_NS_24const_host_device_scalarIT1_EES3_PKS3_PKT2_SC_S9_PKT4_PKT5_S7_PT6_21rocsparse_index_base_b
                                        ; -- End function
	.section	.AMDGPU.csdata,"",@progbits
; Kernel info:
; codeLenInByte = 2308
; NumSgprs: 26
; NumVgprs: 86
; NumAgprs: 0
; TotalNumVgprs: 86
; ScratchSize: 0
; MemoryBound: 0
; FloatMode: 240
; IeeeMode: 1
; LDSByteSize: 4096 bytes/workgroup (compile time only)
; SGPRBlocks: 3
; VGPRBlocks: 10
; NumSGPRsForWavesPerEU: 26
; NumVGPRsForWavesPerEU: 86
; AccumOffset: 88
; Occupancy: 5
; WaveLimiterHint : 1
; COMPUTE_PGM_RSRC2:SCRATCH_EN: 0
; COMPUTE_PGM_RSRC2:USER_SGPR: 4
; COMPUTE_PGM_RSRC2:TRAP_HANDLER: 0
; COMPUTE_PGM_RSRC2:TGID_X_EN: 1
; COMPUTE_PGM_RSRC2:TGID_Y_EN: 0
; COMPUTE_PGM_RSRC2:TGID_Z_EN: 0
; COMPUTE_PGM_RSRC2:TIDIG_COMP_CNT: 2
; COMPUTE_PGM_RSRC3_GFX90A:ACCUM_OFFSET: 21
; COMPUTE_PGM_RSRC3_GFX90A:TG_SPLIT: 0
	.section	.text._ZN9rocsparseL18bsrxmvn_3x3_kernelILj256ELj16E21rocsparse_complex_numIdEliS2_S2_S2_EEvT3_20rocsparse_direction_NS_24const_host_device_scalarIT1_EES3_PKS3_PKT2_SC_S9_PKT4_PKT5_S7_PT6_21rocsparse_index_base_b,"axG",@progbits,_ZN9rocsparseL18bsrxmvn_3x3_kernelILj256ELj16E21rocsparse_complex_numIdEliS2_S2_S2_EEvT3_20rocsparse_direction_NS_24const_host_device_scalarIT1_EES3_PKS3_PKT2_SC_S9_PKT4_PKT5_S7_PT6_21rocsparse_index_base_b,comdat
	.globl	_ZN9rocsparseL18bsrxmvn_3x3_kernelILj256ELj16E21rocsparse_complex_numIdEliS2_S2_S2_EEvT3_20rocsparse_direction_NS_24const_host_device_scalarIT1_EES3_PKS3_PKT2_SC_S9_PKT4_PKT5_S7_PT6_21rocsparse_index_base_b ; -- Begin function _ZN9rocsparseL18bsrxmvn_3x3_kernelILj256ELj16E21rocsparse_complex_numIdEliS2_S2_S2_EEvT3_20rocsparse_direction_NS_24const_host_device_scalarIT1_EES3_PKS3_PKT2_SC_S9_PKT4_PKT5_S7_PT6_21rocsparse_index_base_b
	.p2align	8
	.type	_ZN9rocsparseL18bsrxmvn_3x3_kernelILj256ELj16E21rocsparse_complex_numIdEliS2_S2_S2_EEvT3_20rocsparse_direction_NS_24const_host_device_scalarIT1_EES3_PKS3_PKT2_SC_S9_PKT4_PKT5_S7_PT6_21rocsparse_index_base_b,@function
_ZN9rocsparseL18bsrxmvn_3x3_kernelILj256ELj16E21rocsparse_complex_numIdEliS2_S2_S2_EEvT3_20rocsparse_direction_NS_24const_host_device_scalarIT1_EES3_PKS3_PKT2_SC_S9_PKT4_PKT5_S7_PT6_21rocsparse_index_base_b: ; @_ZN9rocsparseL18bsrxmvn_3x3_kernelILj256ELj16E21rocsparse_complex_numIdEliS2_S2_S2_EEvT3_20rocsparse_direction_NS_24const_host_device_scalarIT1_EES3_PKS3_PKT2_SC_S9_PKT4_PKT5_S7_PT6_21rocsparse_index_base_b
; %bb.0:
	s_load_dwordx2 s[16:17], s[2:3], 0x68
	s_load_dwordx4 s[8:11], s[2:3], 0x8
	s_load_dwordx2 s[18:19], s[0:1], 0x4
	s_load_dwordx4 s[12:15], s[2:3], 0x50
	s_mov_b64 s[6:7], src_shared_base
	v_and_b32_e32 v2, 0x3ff, v0
	s_waitcnt lgkmcnt(0)
	s_bitcmp1_b32 s17, 0
	s_cselect_b64 s[0:1], -1, 0
	s_and_b64 vcc, s[0:1], exec
	s_cselect_b32 s5, s7, s9
	s_lshr_b32 s6, s18, 16
	s_mul_i32 s6, s6, s19
	v_mul_lo_u32 v3, s6, v2
	v_bfe_u32 v4, v0, 10, 10
	v_mad_u32_u24 v3, v4, s19, v3
	v_bfe_u32 v0, v0, 20, 10
	v_add_lshl_u32 v0, v3, v0, 3
	v_mov_b32_e32 v1, s8
	v_add_u32_e32 v3, 0x800, v0
	v_mov_b64_e32 v[4:5], s[8:9]
	v_mov_b64_e32 v[6:7], s[12:13]
	ds_write2st64_b64 v0, v[6:7], v[4:5] offset1:4
	v_cndmask_b32_e64 v4, v1, v3, s[0:1]
	v_mov_b32_e32 v5, s5
	flat_load_dwordx2 v[16:17], v[4:5]
	s_xor_b64 s[18:19], s[0:1], -1
	v_mov_b64_e32 v[18:19], s[10:11]
	s_cbranch_vccnz .LBB37_2
; %bb.1:
	v_mov_b64_e32 v[4:5], s[8:9]
	flat_load_dwordx2 v[18:19], v[4:5] offset:8
.LBB37_2:
	s_and_b64 s[8:9], s[0:1], exec
	s_cselect_b32 s5, s7, s13
	v_mov_b32_e32 v1, s12
	v_cndmask_b32_e64 v0, v1, v0, s[0:1]
	v_mov_b32_e32 v1, s5
	flat_load_dwordx2 v[12:13], v[0:1]
	s_andn2_b64 vcc, exec, s[18:19]
	v_mov_b64_e32 v[14:15], s[14:15]
	s_cbranch_vccnz .LBB37_4
; %bb.3:
	v_mov_b64_e32 v[0:1], s[12:13]
	flat_load_dwordx2 v[14:15], v[0:1] offset:8
.LBB37_4:
	s_waitcnt vmcnt(0) lgkmcnt(0)
	v_cmp_eq_f64_e32 vcc, 0, v[16:17]
	v_cmp_eq_f64_e64 s[0:1], 0, v[18:19]
	s_and_b64 s[8:9], vcc, s[0:1]
	s_mov_b64 s[0:1], -1
	s_and_saveexec_b64 s[6:7], s[8:9]
; %bb.5:
	v_cmp_neq_f64_e32 vcc, 1.0, v[12:13]
	v_cmp_neq_f64_e64 s[0:1], 0, v[14:15]
	s_or_b64 s[0:1], vcc, s[0:1]
	s_orn2_b64 s[0:1], s[0:1], exec
; %bb.6:
	s_or_b64 exec, exec, s[6:7]
	s_and_saveexec_b64 s[6:7], s[0:1]
	s_cbranch_execz .LBB37_12
; %bb.7:
	s_load_dwordx2 s[6:7], s[2:3], 0x20
	s_load_dwordx2 s[0:1], s[2:3], 0x0
	v_lshrrev_b32_e32 v0, 4, v2
	v_lshl_or_b32 v0, s4, 4, v0
	s_mov_b64 s[4:5], 0
	s_waitcnt lgkmcnt(0)
	s_cmp_lg_u64 s[6:7], 0
	s_cbranch_scc0 .LBB37_13
; %bb.8:
	s_load_dword s8, s[2:3], 0x18
                                        ; implicit-def: $vgpr1
	s_waitcnt lgkmcnt(0)
	v_cmp_gt_i32_e32 vcc, s8, v0
	s_and_saveexec_b64 s[8:9], vcc
	s_xor_b64 s[8:9], exec, s[8:9]
	s_cbranch_execz .LBB37_10
; %bb.9:
	v_ashrrev_i32_e32 v1, 31, v0
	v_lshl_add_u64 v[4:5], v[0:1], 2, s[6:7]
	global_load_dword v1, v[4:5], off
	s_mov_b64 s[4:5], exec
	s_waitcnt vmcnt(0)
	v_subrev_u32_e32 v1, s16, v1
.LBB37_10:
	s_or_b64 exec, exec, s[8:9]
	s_branch .LBB37_14
.LBB37_11:
	v_cmp_gt_i32_e32 vcc, s0, v0
	s_andn2_b64 s[4:5], s[4:5], exec
	s_and_b64 s[6:7], vcc, exec
	s_or_b64 s[4:5], s[4:5], s[6:7]
	s_and_b64 exec, exec, s[4:5]
	s_cbranch_execnz .LBB37_15
.LBB37_12:
	s_endpgm
.LBB37_13:
                                        ; implicit-def: $vgpr1
	s_cbranch_execnz .LBB37_11
.LBB37_14:
	v_mov_b32_e32 v0, v1
	s_and_b64 exec, exec, s[4:5]
	s_cbranch_execz .LBB37_12
.LBB37_15:
	s_load_dwordx8 s[4:11], s[2:3], 0x28
	v_ashrrev_i32_e32 v1, 31, v0
	v_lshlrev_b64 v[4:5], 3, v[0:1]
	v_and_b32_e32 v2, 15, v2
	v_mov_b32_e32 v3, 0
	s_waitcnt lgkmcnt(0)
	v_lshl_add_u64 v[6:7], s[4:5], 0, v[4:5]
	global_load_dwordx2 v[8:9], v[6:7], off
	s_cmp_eq_u64 s[6:7], 0
	v_lshl_add_u64 v[4:5], s[6:7], 0, v[4:5]
	v_lshl_add_u64 v[6:7], v[6:7], 0, 8
	s_cselect_b64 vcc, -1, 0
	v_cndmask_b32_e32 v5, v5, v7, vcc
	v_cndmask_b32_e32 v4, v4, v6, vcc
	global_load_dwordx2 v[4:5], v[4:5], off
	s_load_dwordx2 s[4:5], s[2:3], 0x48
	s_movk_i32 s6, 0x90
	v_mov_b64_e32 v[6:7], s[10:11]
	s_cmp_eq_u32 s1, 1
	s_waitcnt vmcnt(1)
	v_subrev_co_u32_e32 v8, vcc, s16, v8
	s_nop 1
	v_subbrev_co_u32_e32 v9, vcc, 0, v9, vcc
	v_lshl_add_u64 v[20:21], v[8:9], 0, v[2:3]
	v_mad_u64_u32 v[24:25], s[0:1], v20, s6, v[6:7]
	s_waitcnt vmcnt(0)
	v_subrev_co_u32_e32 v22, vcc, s16, v4
	v_mov_b32_e32 v4, v25
	s_nop 0
	v_subbrev_co_u32_e32 v23, vcc, 0, v5, vcc
	v_mad_u64_u32 v[4:5], s[0:1], v21, s6, v[4:5]
	v_mov_b32_e32 v25, v4
	v_cmp_lt_i64_e64 s[0:1], v[20:21], v[22:23]
	s_cbranch_scc1 .LBB37_21
; %bb.16:
	v_mov_b64_e32 v[6:7], 0
	s_mov_b64 s[6:7], 0
	v_mov_b64_e32 v[28:29], v[6:7]
	v_mov_b64_e32 v[10:11], v[6:7]
	;; [unrolled: 1-line block ×5, first 2 shown]
	s_and_saveexec_b64 s[10:11], s[0:1]
	s_cbranch_execz .LBB37_20
; %bb.17:
	v_mov_b64_e32 v[6:7], 0
	v_lshl_add_u64 v[30:31], v[20:21], 2, s[8:9]
	s_mov_b64 s[12:13], 0
	s_mov_b64 s[14:15], 0x900
	v_mov_b64_e32 v[32:33], v[20:21]
	v_mov_b64_e32 v[34:35], v[24:25]
	;; [unrolled: 1-line block ×7, first 2 shown]
.LBB37_18:                              ; =>This Inner Loop Header: Depth=1
	global_load_dword v1, v[30:31], off
	global_load_dwordx4 v[36:39], v[34:35], off offset:48
	global_load_dwordx4 v[40:43], v[34:35], off offset:32
	;; [unrolled: 1-line block ×3, first 2 shown]
	global_load_dwordx4 v[48:51], v[34:35], off
	global_load_dwordx4 v[52:55], v[34:35], off offset:112
	global_load_dwordx4 v[56:59], v[34:35], off offset:96
	global_load_dwordx4 v[60:63], v[34:35], off offset:80
	global_load_dwordx4 v[64:67], v[34:35], off offset:64
	global_load_dwordx4 v[68:71], v[34:35], off offset:128
	v_lshl_add_u64 v[32:33], v[32:33], 0, 16
	v_cmp_ge_i64_e32 vcc, v[32:33], v[22:23]
	v_lshl_add_u64 v[34:35], v[34:35], 0, s[14:15]
	v_lshl_add_u64 v[30:31], v[30:31], 0, 64
	s_or_b64 s[12:13], vcc, s[12:13]
	s_waitcnt vmcnt(9)
	v_subrev_u32_e32 v1, s16, v1
	v_lshl_add_u32 v72, v1, 1, v1
	v_ashrrev_i32_e32 v73, 31, v72
	s_waitcnt lgkmcnt(0)
	v_lshl_add_u64 v[84:85], v[72:73], 4, s[4:5]
	global_load_dwordx4 v[72:75], v[84:85], off
	global_load_dwordx4 v[76:79], v[84:85], off offset:16
	global_load_dwordx4 v[80:83], v[84:85], off offset:32
	s_waitcnt vmcnt(2)
	v_fmac_f64_e32 v[28:29], v[48:49], v[72:73]
	v_fmac_f64_e32 v[6:7], v[50:51], v[72:73]
	v_fmac_f64_e32 v[26:27], v[36:37], v[72:73]
	v_fmac_f64_e32 v[8:9], v[38:39], v[72:73]
	v_fmac_f64_e32 v[10:11], v[56:57], v[72:73]
	v_fmac_f64_e32 v[4:5], v[58:59], v[72:73]
	v_fma_f64 v[28:29], -v[50:51], v[74:75], v[28:29]
	v_fmac_f64_e32 v[6:7], v[48:49], v[74:75]
	v_fma_f64 v[26:27], -v[38:39], v[74:75], v[26:27]
	v_fmac_f64_e32 v[8:9], v[36:37], v[74:75]
	v_fma_f64 v[10:11], -v[58:59], v[74:75], v[10:11]
	v_fmac_f64_e32 v[4:5], v[56:57], v[74:75]
	s_waitcnt vmcnt(1)
	v_fmac_f64_e32 v[28:29], v[44:45], v[76:77]
	v_fmac_f64_e32 v[6:7], v[46:47], v[76:77]
	v_fmac_f64_e32 v[26:27], v[64:65], v[76:77]
	v_fmac_f64_e32 v[8:9], v[66:67], v[76:77]
	v_fmac_f64_e32 v[10:11], v[52:53], v[76:77]
	v_fmac_f64_e32 v[4:5], v[54:55], v[76:77]
	v_fma_f64 v[28:29], -v[46:47], v[78:79], v[28:29]
	v_fmac_f64_e32 v[6:7], v[44:45], v[78:79]
	v_fma_f64 v[26:27], -v[66:67], v[78:79], v[26:27]
	v_fmac_f64_e32 v[8:9], v[64:65], v[78:79]
	v_fma_f64 v[10:11], -v[54:55], v[78:79], v[10:11]
	v_fmac_f64_e32 v[4:5], v[52:53], v[78:79]
	;; [unrolled: 13-line block ×3, first 2 shown]
	s_andn2_b64 exec, exec, s[12:13]
	s_cbranch_execnz .LBB37_18
; %bb.19:
	s_or_b64 exec, exec, s[12:13]
.LBB37_20:
	s_or_b64 exec, exec, s[10:11]
	s_andn2_b64 vcc, exec, s[6:7]
	s_cbranch_vccz .LBB37_22
	s_branch .LBB37_27
.LBB37_21:
                                        ; implicit-def: $vgpr6_vgpr7
                                        ; implicit-def: $vgpr28_vgpr29
                                        ; implicit-def: $vgpr10_vgpr11
                                        ; implicit-def: $vgpr4_vgpr5
                                        ; implicit-def: $vgpr26_vgpr27
                                        ; implicit-def: $vgpr8_vgpr9
.LBB37_22:
	v_mov_b64_e32 v[6:7], 0
	v_mov_b64_e32 v[28:29], v[6:7]
	v_mov_b64_e32 v[10:11], v[6:7]
	v_mov_b64_e32 v[4:5], v[6:7]
	v_mov_b64_e32 v[26:27], v[6:7]
	v_mov_b64_e32 v[8:9], v[6:7]
	s_and_saveexec_b64 s[6:7], s[0:1]
	s_cbranch_execz .LBB37_26
; %bb.23:
	v_mov_b64_e32 v[6:7], 0
	v_lshl_add_u64 v[30:31], v[20:21], 2, s[8:9]
	s_mov_b64 s[0:1], 0
	s_mov_b64 s[8:9], 0x900
	v_mov_b64_e32 v[28:29], v[6:7]
	v_mov_b64_e32 v[10:11], v[6:7]
	;; [unrolled: 1-line block ×5, first 2 shown]
.LBB37_24:                              ; =>This Inner Loop Header: Depth=1
	global_load_dword v1, v[30:31], off
	global_load_dwordx4 v[32:35], v[24:25], off offset:48
	global_load_dwordx4 v[36:39], v[24:25], off offset:32
	;; [unrolled: 1-line block ×3, first 2 shown]
	global_load_dwordx4 v[44:47], v[24:25], off
	global_load_dwordx4 v[48:51], v[24:25], off offset:112
	global_load_dwordx4 v[52:55], v[24:25], off offset:96
	;; [unrolled: 1-line block ×5, first 2 shown]
	v_lshl_add_u64 v[20:21], v[20:21], 0, 16
	v_cmp_ge_i64_e32 vcc, v[20:21], v[22:23]
	v_lshl_add_u64 v[24:25], v[24:25], 0, s[8:9]
	v_lshl_add_u64 v[30:31], v[30:31], 0, 64
	s_or_b64 s[0:1], vcc, s[0:1]
	s_waitcnt vmcnt(9)
	v_subrev_u32_e32 v1, s16, v1
	v_lshl_add_u32 v68, v1, 1, v1
	v_ashrrev_i32_e32 v69, 31, v68
	s_waitcnt lgkmcnt(0)
	v_lshl_add_u64 v[80:81], v[68:69], 4, s[4:5]
	global_load_dwordx4 v[68:71], v[80:81], off
	global_load_dwordx4 v[72:75], v[80:81], off offset:16
	global_load_dwordx4 v[76:79], v[80:81], off offset:32
	s_waitcnt vmcnt(2)
	v_fmac_f64_e32 v[28:29], v[44:45], v[68:69]
	v_fmac_f64_e32 v[6:7], v[46:47], v[68:69]
	v_fmac_f64_e32 v[26:27], v[40:41], v[68:69]
	v_fmac_f64_e32 v[8:9], v[42:43], v[68:69]
	v_fmac_f64_e32 v[10:11], v[36:37], v[68:69]
	v_fmac_f64_e32 v[4:5], v[38:39], v[68:69]
	v_fma_f64 v[28:29], -v[46:47], v[70:71], v[28:29]
	v_fmac_f64_e32 v[6:7], v[44:45], v[70:71]
	v_fma_f64 v[26:27], -v[42:43], v[70:71], v[26:27]
	v_fmac_f64_e32 v[8:9], v[40:41], v[70:71]
	v_fma_f64 v[10:11], -v[38:39], v[70:71], v[10:11]
	v_fmac_f64_e32 v[4:5], v[36:37], v[70:71]
	s_waitcnt vmcnt(1)
	v_fmac_f64_e32 v[28:29], v[32:33], v[72:73]
	v_fmac_f64_e32 v[6:7], v[34:35], v[72:73]
	v_fmac_f64_e32 v[26:27], v[60:61], v[72:73]
	v_fmac_f64_e32 v[8:9], v[62:63], v[72:73]
	v_fmac_f64_e32 v[10:11], v[56:57], v[72:73]
	v_fmac_f64_e32 v[4:5], v[58:59], v[72:73]
	v_fma_f64 v[28:29], -v[34:35], v[74:75], v[28:29]
	v_fmac_f64_e32 v[6:7], v[32:33], v[74:75]
	v_fma_f64 v[26:27], -v[62:63], v[74:75], v[26:27]
	v_fmac_f64_e32 v[8:9], v[60:61], v[74:75]
	v_fma_f64 v[10:11], -v[58:59], v[74:75], v[10:11]
	v_fmac_f64_e32 v[4:5], v[56:57], v[74:75]
	;; [unrolled: 13-line block ×3, first 2 shown]
	s_andn2_b64 exec, exec, s[0:1]
	s_cbranch_execnz .LBB37_24
; %bb.25:
	s_or_b64 exec, exec, s[0:1]
.LBB37_26:
	s_or_b64 exec, exec, s[6:7]
.LBB37_27:
	v_mov_b32_dpp v20, v28 row_shr:1 row_mask:0xf bank_mask:0xf
	v_mov_b32_dpp v21, v29 row_shr:1 row_mask:0xf bank_mask:0xf
	v_add_f64 v[20:21], v[28:29], v[20:21]
	v_mov_b32_dpp v24, v6 row_shr:1 row_mask:0xf bank_mask:0xf
	v_mov_b32_dpp v25, v7 row_shr:1 row_mask:0xf bank_mask:0xf
	;; [unrolled: 1-line block ×10, first 2 shown]
	v_add_f64 v[6:7], v[6:7], v[24:25]
	v_add_f64 v[26:27], v[26:27], v[28:29]
	v_add_f64 v[8:9], v[8:9], v[30:31]
	v_add_f64 v[10:11], v[10:11], v[32:33]
	v_add_f64 v[4:5], v[4:5], v[34:35]
	v_mov_b32_dpp v22, v20 row_shr:2 row_mask:0xf bank_mask:0xf
	v_mov_b32_dpp v23, v21 row_shr:2 row_mask:0xf bank_mask:0xf
	;; [unrolled: 1-line block ×12, first 2 shown]
	v_add_f64 v[20:21], v[20:21], v[22:23]
	v_add_f64 v[6:7], v[6:7], v[24:25]
	;; [unrolled: 1-line block ×6, first 2 shown]
	v_mov_b32_dpp v22, v20 row_shr:4 row_mask:0xf bank_mask:0xe
	v_mov_b32_dpp v23, v21 row_shr:4 row_mask:0xf bank_mask:0xe
	;; [unrolled: 1-line block ×12, first 2 shown]
	v_add_f64 v[20:21], v[20:21], v[22:23]
	v_add_f64 v[6:7], v[6:7], v[24:25]
	;; [unrolled: 1-line block ×6, first 2 shown]
	v_mov_b32_dpp v22, v20 row_shr:8 row_mask:0xf bank_mask:0xc
	v_mov_b32_dpp v23, v21 row_shr:8 row_mask:0xf bank_mask:0xc
	;; [unrolled: 1-line block ×12, first 2 shown]
	v_cmp_eq_u32_e32 vcc, 15, v2
	s_and_b64 exec, exec, vcc
	s_cbranch_execz .LBB37_12
; %bb.28:
	s_load_dwordx2 s[2:3], s[2:3], 0x60
	v_add_f64 v[2:3], v[6:7], v[24:25]
	v_add_f64 v[24:25], v[26:27], v[28:29]
	;; [unrolled: 1-line block ×6, first 2 shown]
	v_cmp_eq_f64_e32 vcc, 0, v[12:13]
	v_cmp_eq_f64_e64 s[0:1], 0, v[14:15]
	v_mul_f64 v[8:9], v[2:3], -v[18:19]
	v_mul_f64 v[10:11], v[16:17], v[2:3]
	v_lshl_add_u32 v20, v0, 1, v0
	v_mul_f64 v[4:5], v[6:7], -v[18:19]
	v_mul_f64 v[6:7], v[16:17], v[6:7]
	v_mul_f64 v[0:1], v[28:29], -v[18:19]
	v_mul_f64 v[2:3], v[16:17], v[28:29]
	s_and_b64 s[0:1], vcc, s[0:1]
	v_fmac_f64_e32 v[8:9], v[16:17], v[22:23]
	v_fmac_f64_e32 v[10:11], v[18:19], v[22:23]
	v_ashrrev_i32_e32 v21, 31, v20
	v_fmac_f64_e32 v[4:5], v[16:17], v[24:25]
	v_fmac_f64_e32 v[6:7], v[18:19], v[24:25]
	;; [unrolled: 1-line block ×4, first 2 shown]
	s_waitcnt lgkmcnt(0)
	s_and_saveexec_b64 s[4:5], s[0:1]
	s_xor_b64 s[0:1], exec, s[4:5]
	s_cbranch_execz .LBB37_30
; %bb.29:
	v_lshl_add_u64 v[12:13], v[20:21], 4, s[2:3]
	global_store_dwordx4 v[12:13], v[8:11], off
	global_store_dwordx4 v[12:13], v[4:7], off offset:16
	global_store_dwordx4 v[12:13], v[0:3], off offset:32
                                        ; implicit-def: $vgpr12_vgpr13
                                        ; implicit-def: $vgpr14_vgpr15
                                        ; implicit-def: $vgpr20
                                        ; implicit-def: $vgpr8_vgpr9
                                        ; implicit-def: $vgpr4_vgpr5
                                        ; implicit-def: $vgpr0_vgpr1
.LBB37_30:
	s_andn2_saveexec_b64 s[0:1], s[0:1]
	s_cbranch_execz .LBB37_12
; %bb.31:
	v_lshl_add_u64 v[28:29], v[20:21], 4, s[2:3]
	global_load_dwordx4 v[16:19], v[28:29], off
	global_load_dwordx4 v[20:23], v[28:29], off offset:16
	global_load_dwordx4 v[24:27], v[28:29], off offset:32
	s_waitcnt vmcnt(2)
	v_fmac_f64_e32 v[8:9], v[12:13], v[16:17]
	v_fmac_f64_e32 v[10:11], v[14:15], v[16:17]
	s_waitcnt vmcnt(1)
	v_fmac_f64_e32 v[4:5], v[12:13], v[20:21]
	v_fmac_f64_e32 v[6:7], v[14:15], v[20:21]
	;; [unrolled: 3-line block ×3, first 2 shown]
	v_fma_f64 v[8:9], -v[14:15], v[18:19], v[8:9]
	v_fmac_f64_e32 v[10:11], v[12:13], v[18:19]
	v_fma_f64 v[4:5], -v[14:15], v[22:23], v[4:5]
	v_fmac_f64_e32 v[6:7], v[12:13], v[22:23]
	;; [unrolled: 2-line block ×3, first 2 shown]
	global_store_dwordx4 v[28:29], v[8:11], off
	global_store_dwordx4 v[28:29], v[4:7], off offset:16
	global_store_dwordx4 v[28:29], v[0:3], off offset:32
	s_endpgm
	.section	.rodata,"a",@progbits
	.p2align	6, 0x0
	.amdhsa_kernel _ZN9rocsparseL18bsrxmvn_3x3_kernelILj256ELj16E21rocsparse_complex_numIdEliS2_S2_S2_EEvT3_20rocsparse_direction_NS_24const_host_device_scalarIT1_EES3_PKS3_PKT2_SC_S9_PKT4_PKT5_S7_PT6_21rocsparse_index_base_b
		.amdhsa_group_segment_fixed_size 4096
		.amdhsa_private_segment_fixed_size 0
		.amdhsa_kernarg_size 112
		.amdhsa_user_sgpr_count 4
		.amdhsa_user_sgpr_dispatch_ptr 1
		.amdhsa_user_sgpr_queue_ptr 0
		.amdhsa_user_sgpr_kernarg_segment_ptr 1
		.amdhsa_user_sgpr_dispatch_id 0
		.amdhsa_user_sgpr_kernarg_preload_length 0
		.amdhsa_user_sgpr_kernarg_preload_offset 0
		.amdhsa_user_sgpr_private_segment_size 0
		.amdhsa_uses_dynamic_stack 0
		.amdhsa_enable_private_segment 0
		.amdhsa_system_sgpr_workgroup_id_x 1
		.amdhsa_system_sgpr_workgroup_id_y 0
		.amdhsa_system_sgpr_workgroup_id_z 0
		.amdhsa_system_sgpr_workgroup_info 0
		.amdhsa_system_vgpr_workitem_id 2
		.amdhsa_next_free_vgpr 86
		.amdhsa_next_free_sgpr 20
		.amdhsa_accum_offset 88
		.amdhsa_reserve_vcc 1
		.amdhsa_float_round_mode_32 0
		.amdhsa_float_round_mode_16_64 0
		.amdhsa_float_denorm_mode_32 3
		.amdhsa_float_denorm_mode_16_64 3
		.amdhsa_dx10_clamp 1
		.amdhsa_ieee_mode 1
		.amdhsa_fp16_overflow 0
		.amdhsa_tg_split 0
		.amdhsa_exception_fp_ieee_invalid_op 0
		.amdhsa_exception_fp_denorm_src 0
		.amdhsa_exception_fp_ieee_div_zero 0
		.amdhsa_exception_fp_ieee_overflow 0
		.amdhsa_exception_fp_ieee_underflow 0
		.amdhsa_exception_fp_ieee_inexact 0
		.amdhsa_exception_int_div_zero 0
	.end_amdhsa_kernel
	.section	.text._ZN9rocsparseL18bsrxmvn_3x3_kernelILj256ELj16E21rocsparse_complex_numIdEliS2_S2_S2_EEvT3_20rocsparse_direction_NS_24const_host_device_scalarIT1_EES3_PKS3_PKT2_SC_S9_PKT4_PKT5_S7_PT6_21rocsparse_index_base_b,"axG",@progbits,_ZN9rocsparseL18bsrxmvn_3x3_kernelILj256ELj16E21rocsparse_complex_numIdEliS2_S2_S2_EEvT3_20rocsparse_direction_NS_24const_host_device_scalarIT1_EES3_PKS3_PKT2_SC_S9_PKT4_PKT5_S7_PT6_21rocsparse_index_base_b,comdat
.Lfunc_end37:
	.size	_ZN9rocsparseL18bsrxmvn_3x3_kernelILj256ELj16E21rocsparse_complex_numIdEliS2_S2_S2_EEvT3_20rocsparse_direction_NS_24const_host_device_scalarIT1_EES3_PKS3_PKT2_SC_S9_PKT4_PKT5_S7_PT6_21rocsparse_index_base_b, .Lfunc_end37-_ZN9rocsparseL18bsrxmvn_3x3_kernelILj256ELj16E21rocsparse_complex_numIdEliS2_S2_S2_EEvT3_20rocsparse_direction_NS_24const_host_device_scalarIT1_EES3_PKS3_PKT2_SC_S9_PKT4_PKT5_S7_PT6_21rocsparse_index_base_b
                                        ; -- End function
	.section	.AMDGPU.csdata,"",@progbits
; Kernel info:
; codeLenInByte = 2452
; NumSgprs: 26
; NumVgprs: 86
; NumAgprs: 0
; TotalNumVgprs: 86
; ScratchSize: 0
; MemoryBound: 0
; FloatMode: 240
; IeeeMode: 1
; LDSByteSize: 4096 bytes/workgroup (compile time only)
; SGPRBlocks: 3
; VGPRBlocks: 10
; NumSGPRsForWavesPerEU: 26
; NumVGPRsForWavesPerEU: 86
; AccumOffset: 88
; Occupancy: 5
; WaveLimiterHint : 1
; COMPUTE_PGM_RSRC2:SCRATCH_EN: 0
; COMPUTE_PGM_RSRC2:USER_SGPR: 4
; COMPUTE_PGM_RSRC2:TRAP_HANDLER: 0
; COMPUTE_PGM_RSRC2:TGID_X_EN: 1
; COMPUTE_PGM_RSRC2:TGID_Y_EN: 0
; COMPUTE_PGM_RSRC2:TGID_Z_EN: 0
; COMPUTE_PGM_RSRC2:TIDIG_COMP_CNT: 2
; COMPUTE_PGM_RSRC3_GFX90A:ACCUM_OFFSET: 21
; COMPUTE_PGM_RSRC3_GFX90A:TG_SPLIT: 0
	.section	.text._ZN9rocsparseL18bsrxmvn_3x3_kernelILj256ELj32E21rocsparse_complex_numIdEliS2_S2_S2_EEvT3_20rocsparse_direction_NS_24const_host_device_scalarIT1_EES3_PKS3_PKT2_SC_S9_PKT4_PKT5_S7_PT6_21rocsparse_index_base_b,"axG",@progbits,_ZN9rocsparseL18bsrxmvn_3x3_kernelILj256ELj32E21rocsparse_complex_numIdEliS2_S2_S2_EEvT3_20rocsparse_direction_NS_24const_host_device_scalarIT1_EES3_PKS3_PKT2_SC_S9_PKT4_PKT5_S7_PT6_21rocsparse_index_base_b,comdat
	.globl	_ZN9rocsparseL18bsrxmvn_3x3_kernelILj256ELj32E21rocsparse_complex_numIdEliS2_S2_S2_EEvT3_20rocsparse_direction_NS_24const_host_device_scalarIT1_EES3_PKS3_PKT2_SC_S9_PKT4_PKT5_S7_PT6_21rocsparse_index_base_b ; -- Begin function _ZN9rocsparseL18bsrxmvn_3x3_kernelILj256ELj32E21rocsparse_complex_numIdEliS2_S2_S2_EEvT3_20rocsparse_direction_NS_24const_host_device_scalarIT1_EES3_PKS3_PKT2_SC_S9_PKT4_PKT5_S7_PT6_21rocsparse_index_base_b
	.p2align	8
	.type	_ZN9rocsparseL18bsrxmvn_3x3_kernelILj256ELj32E21rocsparse_complex_numIdEliS2_S2_S2_EEvT3_20rocsparse_direction_NS_24const_host_device_scalarIT1_EES3_PKS3_PKT2_SC_S9_PKT4_PKT5_S7_PT6_21rocsparse_index_base_b,@function
_ZN9rocsparseL18bsrxmvn_3x3_kernelILj256ELj32E21rocsparse_complex_numIdEliS2_S2_S2_EEvT3_20rocsparse_direction_NS_24const_host_device_scalarIT1_EES3_PKS3_PKT2_SC_S9_PKT4_PKT5_S7_PT6_21rocsparse_index_base_b: ; @_ZN9rocsparseL18bsrxmvn_3x3_kernelILj256ELj32E21rocsparse_complex_numIdEliS2_S2_S2_EEvT3_20rocsparse_direction_NS_24const_host_device_scalarIT1_EES3_PKS3_PKT2_SC_S9_PKT4_PKT5_S7_PT6_21rocsparse_index_base_b
; %bb.0:
	s_load_dwordx2 s[16:17], s[2:3], 0x68
	s_load_dwordx4 s[8:11], s[2:3], 0x8
	s_load_dwordx2 s[18:19], s[0:1], 0x4
	s_load_dwordx4 s[12:15], s[2:3], 0x50
	s_mov_b64 s[6:7], src_shared_base
	v_and_b32_e32 v2, 0x3ff, v0
	s_waitcnt lgkmcnt(0)
	s_bitcmp1_b32 s17, 0
	s_cselect_b64 s[0:1], -1, 0
	s_and_b64 vcc, s[0:1], exec
	s_cselect_b32 s5, s7, s9
	s_lshr_b32 s6, s18, 16
	s_mul_i32 s6, s6, s19
	v_mul_lo_u32 v3, s6, v2
	v_bfe_u32 v4, v0, 10, 10
	v_mad_u32_u24 v3, v4, s19, v3
	v_bfe_u32 v0, v0, 20, 10
	v_add_lshl_u32 v0, v3, v0, 3
	v_mov_b32_e32 v1, s8
	v_add_u32_e32 v3, 0x800, v0
	v_mov_b64_e32 v[4:5], s[8:9]
	v_mov_b64_e32 v[6:7], s[12:13]
	ds_write2st64_b64 v0, v[6:7], v[4:5] offset1:4
	v_cndmask_b32_e64 v4, v1, v3, s[0:1]
	v_mov_b32_e32 v5, s5
	flat_load_dwordx2 v[16:17], v[4:5]
	s_xor_b64 s[18:19], s[0:1], -1
	v_mov_b64_e32 v[18:19], s[10:11]
	s_cbranch_vccnz .LBB38_2
; %bb.1:
	v_mov_b64_e32 v[4:5], s[8:9]
	flat_load_dwordx2 v[18:19], v[4:5] offset:8
.LBB38_2:
	s_and_b64 s[8:9], s[0:1], exec
	s_cselect_b32 s5, s7, s13
	v_mov_b32_e32 v1, s12
	v_cndmask_b32_e64 v0, v1, v0, s[0:1]
	v_mov_b32_e32 v1, s5
	flat_load_dwordx2 v[12:13], v[0:1]
	s_andn2_b64 vcc, exec, s[18:19]
	v_mov_b64_e32 v[14:15], s[14:15]
	s_cbranch_vccnz .LBB38_4
; %bb.3:
	v_mov_b64_e32 v[0:1], s[12:13]
	flat_load_dwordx2 v[14:15], v[0:1] offset:8
.LBB38_4:
	s_waitcnt vmcnt(0) lgkmcnt(0)
	v_cmp_eq_f64_e32 vcc, 0, v[16:17]
	v_cmp_eq_f64_e64 s[0:1], 0, v[18:19]
	s_and_b64 s[8:9], vcc, s[0:1]
	s_mov_b64 s[0:1], -1
	s_and_saveexec_b64 s[6:7], s[8:9]
; %bb.5:
	v_cmp_neq_f64_e32 vcc, 1.0, v[12:13]
	v_cmp_neq_f64_e64 s[0:1], 0, v[14:15]
	s_or_b64 s[0:1], vcc, s[0:1]
	s_orn2_b64 s[0:1], s[0:1], exec
; %bb.6:
	s_or_b64 exec, exec, s[6:7]
	s_and_saveexec_b64 s[6:7], s[0:1]
	s_cbranch_execz .LBB38_12
; %bb.7:
	s_load_dwordx2 s[6:7], s[2:3], 0x20
	s_load_dwordx2 s[0:1], s[2:3], 0x0
	v_lshrrev_b32_e32 v0, 5, v2
	v_lshl_or_b32 v0, s4, 3, v0
	s_mov_b64 s[4:5], 0
	s_waitcnt lgkmcnt(0)
	s_cmp_lg_u64 s[6:7], 0
	s_cbranch_scc0 .LBB38_13
; %bb.8:
	s_load_dword s8, s[2:3], 0x18
                                        ; implicit-def: $vgpr1
	s_waitcnt lgkmcnt(0)
	v_cmp_gt_i32_e32 vcc, s8, v0
	s_and_saveexec_b64 s[8:9], vcc
	s_xor_b64 s[8:9], exec, s[8:9]
	s_cbranch_execz .LBB38_10
; %bb.9:
	v_ashrrev_i32_e32 v1, 31, v0
	v_lshl_add_u64 v[4:5], v[0:1], 2, s[6:7]
	global_load_dword v1, v[4:5], off
	s_mov_b64 s[4:5], exec
	s_waitcnt vmcnt(0)
	v_subrev_u32_e32 v1, s16, v1
.LBB38_10:
	s_or_b64 exec, exec, s[8:9]
	s_branch .LBB38_14
.LBB38_11:
	v_cmp_gt_i32_e32 vcc, s0, v0
	s_andn2_b64 s[4:5], s[4:5], exec
	s_and_b64 s[6:7], vcc, exec
	s_or_b64 s[4:5], s[4:5], s[6:7]
	s_and_b64 exec, exec, s[4:5]
	s_cbranch_execnz .LBB38_15
.LBB38_12:
	s_endpgm
.LBB38_13:
                                        ; implicit-def: $vgpr1
	s_cbranch_execnz .LBB38_11
.LBB38_14:
	v_mov_b32_e32 v0, v1
	s_and_b64 exec, exec, s[4:5]
	s_cbranch_execz .LBB38_12
.LBB38_15:
	s_load_dwordx8 s[4:11], s[2:3], 0x28
	v_ashrrev_i32_e32 v1, 31, v0
	v_lshlrev_b64 v[4:5], 3, v[0:1]
	v_and_b32_e32 v2, 31, v2
	v_mov_b32_e32 v3, 0
	s_waitcnt lgkmcnt(0)
	v_lshl_add_u64 v[6:7], s[4:5], 0, v[4:5]
	global_load_dwordx2 v[8:9], v[6:7], off
	s_cmp_eq_u64 s[6:7], 0
	v_lshl_add_u64 v[4:5], s[6:7], 0, v[4:5]
	v_lshl_add_u64 v[6:7], v[6:7], 0, 8
	s_cselect_b64 vcc, -1, 0
	v_cndmask_b32_e32 v5, v5, v7, vcc
	v_cndmask_b32_e32 v4, v4, v6, vcc
	global_load_dwordx2 v[4:5], v[4:5], off
	s_load_dwordx2 s[4:5], s[2:3], 0x48
	s_movk_i32 s6, 0x90
	v_mov_b64_e32 v[6:7], s[10:11]
	s_cmp_eq_u32 s1, 1
	s_waitcnt vmcnt(1)
	v_subrev_co_u32_e32 v8, vcc, s16, v8
	s_nop 1
	v_subbrev_co_u32_e32 v9, vcc, 0, v9, vcc
	v_lshl_add_u64 v[20:21], v[8:9], 0, v[2:3]
	v_mad_u64_u32 v[24:25], s[0:1], v20, s6, v[6:7]
	s_waitcnt vmcnt(0)
	v_subrev_co_u32_e32 v22, vcc, s16, v4
	v_mov_b32_e32 v4, v25
	s_nop 0
	v_subbrev_co_u32_e32 v23, vcc, 0, v5, vcc
	v_mad_u64_u32 v[4:5], s[0:1], v21, s6, v[4:5]
	v_mov_b32_e32 v25, v4
	v_cmp_lt_i64_e64 s[0:1], v[20:21], v[22:23]
	s_cbranch_scc1 .LBB38_21
; %bb.16:
	v_mov_b64_e32 v[8:9], 0
	s_mov_b64 s[6:7], 0
	v_mov_b64_e32 v[28:29], v[8:9]
	v_mov_b64_e32 v[10:11], v[8:9]
	;; [unrolled: 1-line block ×5, first 2 shown]
	s_and_saveexec_b64 s[10:11], s[0:1]
	s_cbranch_execz .LBB38_20
; %bb.17:
	v_mov_b64_e32 v[8:9], 0
	v_lshl_add_u64 v[30:31], v[20:21], 2, s[8:9]
	s_mov_b64 s[12:13], 0
	s_mov_b64 s[14:15], 0x1200
	;; [unrolled: 1-line block ×3, first 2 shown]
	v_mov_b64_e32 v[32:33], v[20:21]
	v_mov_b64_e32 v[34:35], v[24:25]
	v_mov_b64_e32 v[28:29], v[8:9]
	v_mov_b64_e32 v[10:11], v[8:9]
	v_mov_b64_e32 v[4:5], v[8:9]
	v_mov_b64_e32 v[26:27], v[8:9]
	v_mov_b64_e32 v[6:7], v[8:9]
.LBB38_18:                              ; =>This Inner Loop Header: Depth=1
	global_load_dword v1, v[30:31], off
	global_load_dwordx4 v[36:39], v[34:35], off offset:48
	global_load_dwordx4 v[40:43], v[34:35], off offset:32
	;; [unrolled: 1-line block ×3, first 2 shown]
	global_load_dwordx4 v[48:51], v[34:35], off
	global_load_dwordx4 v[52:55], v[34:35], off offset:112
	global_load_dwordx4 v[56:59], v[34:35], off offset:96
	;; [unrolled: 1-line block ×5, first 2 shown]
	v_lshl_add_u64 v[32:33], v[32:33], 0, 32
	v_cmp_ge_i64_e32 vcc, v[32:33], v[22:23]
	v_lshl_add_u64 v[34:35], v[34:35], 0, s[14:15]
	v_lshl_add_u64 v[30:31], v[30:31], 0, s[18:19]
	s_or_b64 s[12:13], vcc, s[12:13]
	s_waitcnt vmcnt(9)
	v_subrev_u32_e32 v1, s16, v1
	v_lshl_add_u32 v72, v1, 1, v1
	v_ashrrev_i32_e32 v73, 31, v72
	s_waitcnt lgkmcnt(0)
	v_lshl_add_u64 v[84:85], v[72:73], 4, s[4:5]
	global_load_dwordx4 v[72:75], v[84:85], off
	global_load_dwordx4 v[76:79], v[84:85], off offset:16
	global_load_dwordx4 v[80:83], v[84:85], off offset:32
	s_waitcnt vmcnt(2)
	v_fmac_f64_e32 v[28:29], v[48:49], v[72:73]
	v_fmac_f64_e32 v[8:9], v[50:51], v[72:73]
	v_fmac_f64_e32 v[26:27], v[36:37], v[72:73]
	v_fmac_f64_e32 v[6:7], v[38:39], v[72:73]
	v_fmac_f64_e32 v[10:11], v[56:57], v[72:73]
	v_fmac_f64_e32 v[4:5], v[58:59], v[72:73]
	v_fma_f64 v[28:29], -v[50:51], v[74:75], v[28:29]
	v_fmac_f64_e32 v[8:9], v[48:49], v[74:75]
	v_fma_f64 v[26:27], -v[38:39], v[74:75], v[26:27]
	v_fmac_f64_e32 v[6:7], v[36:37], v[74:75]
	v_fma_f64 v[10:11], -v[58:59], v[74:75], v[10:11]
	v_fmac_f64_e32 v[4:5], v[56:57], v[74:75]
	s_waitcnt vmcnt(1)
	v_fmac_f64_e32 v[28:29], v[44:45], v[76:77]
	v_fmac_f64_e32 v[8:9], v[46:47], v[76:77]
	v_fmac_f64_e32 v[26:27], v[64:65], v[76:77]
	v_fmac_f64_e32 v[6:7], v[66:67], v[76:77]
	v_fmac_f64_e32 v[10:11], v[52:53], v[76:77]
	v_fmac_f64_e32 v[4:5], v[54:55], v[76:77]
	v_fma_f64 v[28:29], -v[46:47], v[78:79], v[28:29]
	v_fmac_f64_e32 v[8:9], v[44:45], v[78:79]
	v_fma_f64 v[26:27], -v[66:67], v[78:79], v[26:27]
	v_fmac_f64_e32 v[6:7], v[64:65], v[78:79]
	v_fma_f64 v[10:11], -v[54:55], v[78:79], v[10:11]
	v_fmac_f64_e32 v[4:5], v[52:53], v[78:79]
	;; [unrolled: 13-line block ×3, first 2 shown]
	s_andn2_b64 exec, exec, s[12:13]
	s_cbranch_execnz .LBB38_18
; %bb.19:
	s_or_b64 exec, exec, s[12:13]
.LBB38_20:
	s_or_b64 exec, exec, s[10:11]
	s_andn2_b64 vcc, exec, s[6:7]
	s_cbranch_vccz .LBB38_22
	s_branch .LBB38_27
.LBB38_21:
                                        ; implicit-def: $vgpr8_vgpr9
                                        ; implicit-def: $vgpr28_vgpr29
                                        ; implicit-def: $vgpr10_vgpr11
                                        ; implicit-def: $vgpr4_vgpr5
                                        ; implicit-def: $vgpr26_vgpr27
                                        ; implicit-def: $vgpr6_vgpr7
.LBB38_22:
	v_mov_b64_e32 v[8:9], 0
	v_mov_b64_e32 v[28:29], v[8:9]
	;; [unrolled: 1-line block ×6, first 2 shown]
	s_and_saveexec_b64 s[6:7], s[0:1]
	s_cbranch_execz .LBB38_26
; %bb.23:
	v_mov_b64_e32 v[8:9], 0
	v_lshl_add_u64 v[30:31], v[20:21], 2, s[8:9]
	s_mov_b64 s[0:1], 0
	s_mov_b64 s[8:9], 0x1200
	;; [unrolled: 1-line block ×3, first 2 shown]
	v_mov_b64_e32 v[28:29], v[8:9]
	v_mov_b64_e32 v[10:11], v[8:9]
	;; [unrolled: 1-line block ×5, first 2 shown]
.LBB38_24:                              ; =>This Inner Loop Header: Depth=1
	global_load_dword v1, v[30:31], off
	global_load_dwordx4 v[32:35], v[24:25], off offset:48
	global_load_dwordx4 v[36:39], v[24:25], off offset:32
	;; [unrolled: 1-line block ×3, first 2 shown]
	global_load_dwordx4 v[44:47], v[24:25], off
	global_load_dwordx4 v[48:51], v[24:25], off offset:112
	global_load_dwordx4 v[52:55], v[24:25], off offset:96
	;; [unrolled: 1-line block ×5, first 2 shown]
	v_lshl_add_u64 v[20:21], v[20:21], 0, 32
	v_cmp_ge_i64_e32 vcc, v[20:21], v[22:23]
	v_lshl_add_u64 v[24:25], v[24:25], 0, s[8:9]
	v_lshl_add_u64 v[30:31], v[30:31], 0, s[10:11]
	s_or_b64 s[0:1], vcc, s[0:1]
	s_waitcnt vmcnt(9)
	v_subrev_u32_e32 v1, s16, v1
	v_lshl_add_u32 v68, v1, 1, v1
	v_ashrrev_i32_e32 v69, 31, v68
	s_waitcnt lgkmcnt(0)
	v_lshl_add_u64 v[80:81], v[68:69], 4, s[4:5]
	global_load_dwordx4 v[68:71], v[80:81], off
	global_load_dwordx4 v[72:75], v[80:81], off offset:16
	global_load_dwordx4 v[76:79], v[80:81], off offset:32
	s_waitcnt vmcnt(2)
	v_fmac_f64_e32 v[28:29], v[44:45], v[68:69]
	v_fmac_f64_e32 v[8:9], v[46:47], v[68:69]
	v_fmac_f64_e32 v[26:27], v[40:41], v[68:69]
	v_fmac_f64_e32 v[6:7], v[42:43], v[68:69]
	v_fmac_f64_e32 v[10:11], v[36:37], v[68:69]
	v_fmac_f64_e32 v[4:5], v[38:39], v[68:69]
	v_fma_f64 v[28:29], -v[46:47], v[70:71], v[28:29]
	v_fmac_f64_e32 v[8:9], v[44:45], v[70:71]
	v_fma_f64 v[26:27], -v[42:43], v[70:71], v[26:27]
	v_fmac_f64_e32 v[6:7], v[40:41], v[70:71]
	v_fma_f64 v[10:11], -v[38:39], v[70:71], v[10:11]
	v_fmac_f64_e32 v[4:5], v[36:37], v[70:71]
	s_waitcnt vmcnt(1)
	v_fmac_f64_e32 v[28:29], v[32:33], v[72:73]
	v_fmac_f64_e32 v[8:9], v[34:35], v[72:73]
	v_fmac_f64_e32 v[26:27], v[60:61], v[72:73]
	v_fmac_f64_e32 v[6:7], v[62:63], v[72:73]
	v_fmac_f64_e32 v[10:11], v[56:57], v[72:73]
	v_fmac_f64_e32 v[4:5], v[58:59], v[72:73]
	v_fma_f64 v[28:29], -v[34:35], v[74:75], v[28:29]
	v_fmac_f64_e32 v[8:9], v[32:33], v[74:75]
	v_fma_f64 v[26:27], -v[62:63], v[74:75], v[26:27]
	v_fmac_f64_e32 v[6:7], v[60:61], v[74:75]
	v_fma_f64 v[10:11], -v[58:59], v[74:75], v[10:11]
	v_fmac_f64_e32 v[4:5], v[56:57], v[74:75]
	;; [unrolled: 13-line block ×3, first 2 shown]
	s_andn2_b64 exec, exec, s[0:1]
	s_cbranch_execnz .LBB38_24
; %bb.25:
	s_or_b64 exec, exec, s[0:1]
.LBB38_26:
	s_or_b64 exec, exec, s[6:7]
.LBB38_27:
	v_mov_b32_dpp v20, v28 row_shr:1 row_mask:0xf bank_mask:0xf
	v_mov_b32_dpp v21, v29 row_shr:1 row_mask:0xf bank_mask:0xf
	v_add_f64 v[20:21], v[28:29], v[20:21]
	v_mov_b32_dpp v24, v8 row_shr:1 row_mask:0xf bank_mask:0xf
	v_mov_b32_dpp v25, v9 row_shr:1 row_mask:0xf bank_mask:0xf
	v_mov_b32_dpp v28, v26 row_shr:1 row_mask:0xf bank_mask:0xf
	v_mov_b32_dpp v29, v27 row_shr:1 row_mask:0xf bank_mask:0xf
	v_mov_b32_dpp v30, v6 row_shr:1 row_mask:0xf bank_mask:0xf
	v_mov_b32_dpp v31, v7 row_shr:1 row_mask:0xf bank_mask:0xf
	v_mov_b32_dpp v32, v10 row_shr:1 row_mask:0xf bank_mask:0xf
	v_mov_b32_dpp v33, v11 row_shr:1 row_mask:0xf bank_mask:0xf
	v_mov_b32_dpp v34, v4 row_shr:1 row_mask:0xf bank_mask:0xf
	v_mov_b32_dpp v35, v5 row_shr:1 row_mask:0xf bank_mask:0xf
	v_add_f64 v[8:9], v[8:9], v[24:25]
	v_add_f64 v[26:27], v[26:27], v[28:29]
	v_add_f64 v[6:7], v[6:7], v[30:31]
	v_add_f64 v[10:11], v[10:11], v[32:33]
	v_add_f64 v[4:5], v[4:5], v[34:35]
	v_mov_b32_dpp v22, v20 row_shr:2 row_mask:0xf bank_mask:0xf
	v_mov_b32_dpp v23, v21 row_shr:2 row_mask:0xf bank_mask:0xf
	v_mov_b32_dpp v24, v8 row_shr:2 row_mask:0xf bank_mask:0xf
	v_mov_b32_dpp v25, v9 row_shr:2 row_mask:0xf bank_mask:0xf
	v_mov_b32_dpp v28, v26 row_shr:2 row_mask:0xf bank_mask:0xf
	v_mov_b32_dpp v29, v27 row_shr:2 row_mask:0xf bank_mask:0xf
	v_mov_b32_dpp v30, v6 row_shr:2 row_mask:0xf bank_mask:0xf
	v_mov_b32_dpp v31, v7 row_shr:2 row_mask:0xf bank_mask:0xf
	v_mov_b32_dpp v32, v10 row_shr:2 row_mask:0xf bank_mask:0xf
	v_mov_b32_dpp v33, v11 row_shr:2 row_mask:0xf bank_mask:0xf
	v_mov_b32_dpp v34, v4 row_shr:2 row_mask:0xf bank_mask:0xf
	v_mov_b32_dpp v35, v5 row_shr:2 row_mask:0xf bank_mask:0xf
	v_add_f64 v[20:21], v[20:21], v[22:23]
	v_add_f64 v[8:9], v[8:9], v[24:25]
	v_add_f64 v[26:27], v[26:27], v[28:29]
	v_add_f64 v[6:7], v[6:7], v[30:31]
	v_add_f64 v[10:11], v[10:11], v[32:33]
	v_add_f64 v[4:5], v[4:5], v[34:35]
	v_mov_b32_dpp v22, v20 row_shr:4 row_mask:0xf bank_mask:0xe
	v_mov_b32_dpp v23, v21 row_shr:4 row_mask:0xf bank_mask:0xe
	v_mov_b32_dpp v24, v8 row_shr:4 row_mask:0xf bank_mask:0xe
	v_mov_b32_dpp v25, v9 row_shr:4 row_mask:0xf bank_mask:0xe
	v_mov_b32_dpp v28, v26 row_shr:4 row_mask:0xf bank_mask:0xe
	v_mov_b32_dpp v29, v27 row_shr:4 row_mask:0xf bank_mask:0xe
	v_mov_b32_dpp v30, v6 row_shr:4 row_mask:0xf bank_mask:0xe
	v_mov_b32_dpp v31, v7 row_shr:4 row_mask:0xf bank_mask:0xe
	v_mov_b32_dpp v32, v10 row_shr:4 row_mask:0xf bank_mask:0xe
	v_mov_b32_dpp v33, v11 row_shr:4 row_mask:0xf bank_mask:0xe
	v_mov_b32_dpp v34, v4 row_shr:4 row_mask:0xf bank_mask:0xe
	v_mov_b32_dpp v35, v5 row_shr:4 row_mask:0xf bank_mask:0xe
	v_add_f64 v[20:21], v[20:21], v[22:23]
	;; [unrolled: 18-line block ×3, first 2 shown]
	v_add_f64 v[8:9], v[8:9], v[24:25]
	v_add_f64 v[26:27], v[26:27], v[28:29]
	v_add_f64 v[6:7], v[6:7], v[30:31]
	v_add_f64 v[10:11], v[10:11], v[32:33]
	v_add_f64 v[4:5], v[4:5], v[34:35]
	v_mov_b32_dpp v22, v20 row_bcast:15 row_mask:0xa bank_mask:0xf
	v_mov_b32_dpp v23, v21 row_bcast:15 row_mask:0xa bank_mask:0xf
	v_mov_b32_dpp v24, v8 row_bcast:15 row_mask:0xa bank_mask:0xf
	v_mov_b32_dpp v25, v9 row_bcast:15 row_mask:0xa bank_mask:0xf
	v_mov_b32_dpp v28, v26 row_bcast:15 row_mask:0xa bank_mask:0xf
	v_mov_b32_dpp v29, v27 row_bcast:15 row_mask:0xa bank_mask:0xf
	v_mov_b32_dpp v30, v6 row_bcast:15 row_mask:0xa bank_mask:0xf
	v_mov_b32_dpp v31, v7 row_bcast:15 row_mask:0xa bank_mask:0xf
	v_mov_b32_dpp v32, v10 row_bcast:15 row_mask:0xa bank_mask:0xf
	v_mov_b32_dpp v33, v11 row_bcast:15 row_mask:0xa bank_mask:0xf
	v_mov_b32_dpp v34, v4 row_bcast:15 row_mask:0xa bank_mask:0xf
	v_mov_b32_dpp v35, v5 row_bcast:15 row_mask:0xa bank_mask:0xf
	v_cmp_eq_u32_e32 vcc, 31, v2
	s_and_b64 exec, exec, vcc
	s_cbranch_execz .LBB38_12
; %bb.28:
	s_load_dwordx2 s[2:3], s[2:3], 0x60
	v_add_f64 v[2:3], v[8:9], v[24:25]
	v_add_f64 v[24:25], v[26:27], v[28:29]
	;; [unrolled: 1-line block ×6, first 2 shown]
	v_cmp_eq_f64_e32 vcc, 0, v[12:13]
	v_cmp_eq_f64_e64 s[0:1], 0, v[14:15]
	v_mul_f64 v[8:9], v[2:3], -v[18:19]
	v_mul_f64 v[10:11], v[16:17], v[2:3]
	v_lshl_add_u32 v20, v0, 1, v0
	v_mul_f64 v[4:5], v[6:7], -v[18:19]
	v_mul_f64 v[6:7], v[16:17], v[6:7]
	v_mul_f64 v[0:1], v[28:29], -v[18:19]
	v_mul_f64 v[2:3], v[16:17], v[28:29]
	s_and_b64 s[0:1], vcc, s[0:1]
	v_fmac_f64_e32 v[8:9], v[16:17], v[22:23]
	v_fmac_f64_e32 v[10:11], v[18:19], v[22:23]
	v_ashrrev_i32_e32 v21, 31, v20
	v_fmac_f64_e32 v[4:5], v[16:17], v[24:25]
	v_fmac_f64_e32 v[6:7], v[18:19], v[24:25]
	;; [unrolled: 1-line block ×4, first 2 shown]
	s_waitcnt lgkmcnt(0)
	s_and_saveexec_b64 s[4:5], s[0:1]
	s_xor_b64 s[0:1], exec, s[4:5]
	s_cbranch_execz .LBB38_30
; %bb.29:
	v_lshl_add_u64 v[12:13], v[20:21], 4, s[2:3]
	global_store_dwordx4 v[12:13], v[8:11], off
	global_store_dwordx4 v[12:13], v[4:7], off offset:16
	global_store_dwordx4 v[12:13], v[0:3], off offset:32
                                        ; implicit-def: $vgpr12_vgpr13
                                        ; implicit-def: $vgpr14_vgpr15
                                        ; implicit-def: $vgpr20
                                        ; implicit-def: $vgpr8_vgpr9
                                        ; implicit-def: $vgpr4_vgpr5
                                        ; implicit-def: $vgpr0_vgpr1
.LBB38_30:
	s_andn2_saveexec_b64 s[0:1], s[0:1]
	s_cbranch_execz .LBB38_12
; %bb.31:
	v_lshl_add_u64 v[28:29], v[20:21], 4, s[2:3]
	global_load_dwordx4 v[16:19], v[28:29], off
	global_load_dwordx4 v[20:23], v[28:29], off offset:16
	global_load_dwordx4 v[24:27], v[28:29], off offset:32
	s_waitcnt vmcnt(2)
	v_fmac_f64_e32 v[8:9], v[12:13], v[16:17]
	v_fmac_f64_e32 v[10:11], v[14:15], v[16:17]
	s_waitcnt vmcnt(1)
	v_fmac_f64_e32 v[4:5], v[12:13], v[20:21]
	v_fmac_f64_e32 v[6:7], v[14:15], v[20:21]
	;; [unrolled: 3-line block ×3, first 2 shown]
	v_fma_f64 v[8:9], -v[14:15], v[18:19], v[8:9]
	v_fmac_f64_e32 v[10:11], v[12:13], v[18:19]
	v_fma_f64 v[4:5], -v[14:15], v[22:23], v[4:5]
	v_fmac_f64_e32 v[6:7], v[12:13], v[22:23]
	;; [unrolled: 2-line block ×3, first 2 shown]
	global_store_dwordx4 v[28:29], v[8:11], off
	global_store_dwordx4 v[28:29], v[4:7], off offset:16
	global_store_dwordx4 v[28:29], v[0:3], off offset:32
	s_endpgm
	.section	.rodata,"a",@progbits
	.p2align	6, 0x0
	.amdhsa_kernel _ZN9rocsparseL18bsrxmvn_3x3_kernelILj256ELj32E21rocsparse_complex_numIdEliS2_S2_S2_EEvT3_20rocsparse_direction_NS_24const_host_device_scalarIT1_EES3_PKS3_PKT2_SC_S9_PKT4_PKT5_S7_PT6_21rocsparse_index_base_b
		.amdhsa_group_segment_fixed_size 4096
		.amdhsa_private_segment_fixed_size 0
		.amdhsa_kernarg_size 112
		.amdhsa_user_sgpr_count 4
		.amdhsa_user_sgpr_dispatch_ptr 1
		.amdhsa_user_sgpr_queue_ptr 0
		.amdhsa_user_sgpr_kernarg_segment_ptr 1
		.amdhsa_user_sgpr_dispatch_id 0
		.amdhsa_user_sgpr_kernarg_preload_length 0
		.amdhsa_user_sgpr_kernarg_preload_offset 0
		.amdhsa_user_sgpr_private_segment_size 0
		.amdhsa_uses_dynamic_stack 0
		.amdhsa_enable_private_segment 0
		.amdhsa_system_sgpr_workgroup_id_x 1
		.amdhsa_system_sgpr_workgroup_id_y 0
		.amdhsa_system_sgpr_workgroup_id_z 0
		.amdhsa_system_sgpr_workgroup_info 0
		.amdhsa_system_vgpr_workitem_id 2
		.amdhsa_next_free_vgpr 86
		.amdhsa_next_free_sgpr 20
		.amdhsa_accum_offset 88
		.amdhsa_reserve_vcc 1
		.amdhsa_float_round_mode_32 0
		.amdhsa_float_round_mode_16_64 0
		.amdhsa_float_denorm_mode_32 3
		.amdhsa_float_denorm_mode_16_64 3
		.amdhsa_dx10_clamp 1
		.amdhsa_ieee_mode 1
		.amdhsa_fp16_overflow 0
		.amdhsa_tg_split 0
		.amdhsa_exception_fp_ieee_invalid_op 0
		.amdhsa_exception_fp_denorm_src 0
		.amdhsa_exception_fp_ieee_div_zero 0
		.amdhsa_exception_fp_ieee_overflow 0
		.amdhsa_exception_fp_ieee_underflow 0
		.amdhsa_exception_fp_ieee_inexact 0
		.amdhsa_exception_int_div_zero 0
	.end_amdhsa_kernel
	.section	.text._ZN9rocsparseL18bsrxmvn_3x3_kernelILj256ELj32E21rocsparse_complex_numIdEliS2_S2_S2_EEvT3_20rocsparse_direction_NS_24const_host_device_scalarIT1_EES3_PKS3_PKT2_SC_S9_PKT4_PKT5_S7_PT6_21rocsparse_index_base_b,"axG",@progbits,_ZN9rocsparseL18bsrxmvn_3x3_kernelILj256ELj32E21rocsparse_complex_numIdEliS2_S2_S2_EEvT3_20rocsparse_direction_NS_24const_host_device_scalarIT1_EES3_PKS3_PKT2_SC_S9_PKT4_PKT5_S7_PT6_21rocsparse_index_base_b,comdat
.Lfunc_end38:
	.size	_ZN9rocsparseL18bsrxmvn_3x3_kernelILj256ELj32E21rocsparse_complex_numIdEliS2_S2_S2_EEvT3_20rocsparse_direction_NS_24const_host_device_scalarIT1_EES3_PKS3_PKT2_SC_S9_PKT4_PKT5_S7_PT6_21rocsparse_index_base_b, .Lfunc_end38-_ZN9rocsparseL18bsrxmvn_3x3_kernelILj256ELj32E21rocsparse_complex_numIdEliS2_S2_S2_EEvT3_20rocsparse_direction_NS_24const_host_device_scalarIT1_EES3_PKS3_PKT2_SC_S9_PKT4_PKT5_S7_PT6_21rocsparse_index_base_b
                                        ; -- End function
	.section	.AMDGPU.csdata,"",@progbits
; Kernel info:
; codeLenInByte = 2612
; NumSgprs: 26
; NumVgprs: 86
; NumAgprs: 0
; TotalNumVgprs: 86
; ScratchSize: 0
; MemoryBound: 0
; FloatMode: 240
; IeeeMode: 1
; LDSByteSize: 4096 bytes/workgroup (compile time only)
; SGPRBlocks: 3
; VGPRBlocks: 10
; NumSGPRsForWavesPerEU: 26
; NumVGPRsForWavesPerEU: 86
; AccumOffset: 88
; Occupancy: 5
; WaveLimiterHint : 1
; COMPUTE_PGM_RSRC2:SCRATCH_EN: 0
; COMPUTE_PGM_RSRC2:USER_SGPR: 4
; COMPUTE_PGM_RSRC2:TRAP_HANDLER: 0
; COMPUTE_PGM_RSRC2:TGID_X_EN: 1
; COMPUTE_PGM_RSRC2:TGID_Y_EN: 0
; COMPUTE_PGM_RSRC2:TGID_Z_EN: 0
; COMPUTE_PGM_RSRC2:TIDIG_COMP_CNT: 2
; COMPUTE_PGM_RSRC3_GFX90A:ACCUM_OFFSET: 21
; COMPUTE_PGM_RSRC3_GFX90A:TG_SPLIT: 0
	.section	.text._ZN9rocsparseL18bsrxmvn_3x3_kernelILj256ELj64E21rocsparse_complex_numIdEliS2_S2_S2_EEvT3_20rocsparse_direction_NS_24const_host_device_scalarIT1_EES3_PKS3_PKT2_SC_S9_PKT4_PKT5_S7_PT6_21rocsparse_index_base_b,"axG",@progbits,_ZN9rocsparseL18bsrxmvn_3x3_kernelILj256ELj64E21rocsparse_complex_numIdEliS2_S2_S2_EEvT3_20rocsparse_direction_NS_24const_host_device_scalarIT1_EES3_PKS3_PKT2_SC_S9_PKT4_PKT5_S7_PT6_21rocsparse_index_base_b,comdat
	.globl	_ZN9rocsparseL18bsrxmvn_3x3_kernelILj256ELj64E21rocsparse_complex_numIdEliS2_S2_S2_EEvT3_20rocsparse_direction_NS_24const_host_device_scalarIT1_EES3_PKS3_PKT2_SC_S9_PKT4_PKT5_S7_PT6_21rocsparse_index_base_b ; -- Begin function _ZN9rocsparseL18bsrxmvn_3x3_kernelILj256ELj64E21rocsparse_complex_numIdEliS2_S2_S2_EEvT3_20rocsparse_direction_NS_24const_host_device_scalarIT1_EES3_PKS3_PKT2_SC_S9_PKT4_PKT5_S7_PT6_21rocsparse_index_base_b
	.p2align	8
	.type	_ZN9rocsparseL18bsrxmvn_3x3_kernelILj256ELj64E21rocsparse_complex_numIdEliS2_S2_S2_EEvT3_20rocsparse_direction_NS_24const_host_device_scalarIT1_EES3_PKS3_PKT2_SC_S9_PKT4_PKT5_S7_PT6_21rocsparse_index_base_b,@function
_ZN9rocsparseL18bsrxmvn_3x3_kernelILj256ELj64E21rocsparse_complex_numIdEliS2_S2_S2_EEvT3_20rocsparse_direction_NS_24const_host_device_scalarIT1_EES3_PKS3_PKT2_SC_S9_PKT4_PKT5_S7_PT6_21rocsparse_index_base_b: ; @_ZN9rocsparseL18bsrxmvn_3x3_kernelILj256ELj64E21rocsparse_complex_numIdEliS2_S2_S2_EEvT3_20rocsparse_direction_NS_24const_host_device_scalarIT1_EES3_PKS3_PKT2_SC_S9_PKT4_PKT5_S7_PT6_21rocsparse_index_base_b
; %bb.0:
	s_load_dwordx2 s[16:17], s[2:3], 0x68
	s_load_dwordx4 s[8:11], s[2:3], 0x8
	s_load_dwordx2 s[18:19], s[0:1], 0x4
	s_load_dwordx4 s[12:15], s[2:3], 0x50
	s_mov_b64 s[6:7], src_shared_base
	v_and_b32_e32 v2, 0x3ff, v0
	s_waitcnt lgkmcnt(0)
	s_bitcmp1_b32 s17, 0
	s_cselect_b64 s[0:1], -1, 0
	s_and_b64 vcc, s[0:1], exec
	s_cselect_b32 s5, s7, s9
	s_lshr_b32 s6, s18, 16
	s_mul_i32 s6, s6, s19
	v_mul_lo_u32 v3, s6, v2
	v_bfe_u32 v4, v0, 10, 10
	v_mad_u32_u24 v3, v4, s19, v3
	v_bfe_u32 v0, v0, 20, 10
	v_add_lshl_u32 v0, v3, v0, 3
	v_mov_b32_e32 v1, s8
	v_add_u32_e32 v3, 0x800, v0
	v_mov_b64_e32 v[4:5], s[8:9]
	v_mov_b64_e32 v[6:7], s[12:13]
	ds_write2st64_b64 v0, v[6:7], v[4:5] offset1:4
	v_cndmask_b32_e64 v4, v1, v3, s[0:1]
	v_mov_b32_e32 v5, s5
	flat_load_dwordx2 v[16:17], v[4:5]
	s_xor_b64 s[18:19], s[0:1], -1
	v_mov_b64_e32 v[18:19], s[10:11]
	s_cbranch_vccnz .LBB39_2
; %bb.1:
	v_mov_b64_e32 v[4:5], s[8:9]
	flat_load_dwordx2 v[18:19], v[4:5] offset:8
.LBB39_2:
	s_and_b64 s[8:9], s[0:1], exec
	s_cselect_b32 s5, s7, s13
	v_mov_b32_e32 v1, s12
	v_cndmask_b32_e64 v0, v1, v0, s[0:1]
	v_mov_b32_e32 v1, s5
	flat_load_dwordx2 v[12:13], v[0:1]
	s_andn2_b64 vcc, exec, s[18:19]
	v_mov_b64_e32 v[14:15], s[14:15]
	s_cbranch_vccnz .LBB39_4
; %bb.3:
	v_mov_b64_e32 v[0:1], s[12:13]
	flat_load_dwordx2 v[14:15], v[0:1] offset:8
.LBB39_4:
	s_waitcnt vmcnt(0) lgkmcnt(0)
	v_cmp_eq_f64_e32 vcc, 0, v[16:17]
	v_cmp_eq_f64_e64 s[0:1], 0, v[18:19]
	s_and_b64 s[8:9], vcc, s[0:1]
	s_mov_b64 s[0:1], -1
	s_and_saveexec_b64 s[6:7], s[8:9]
; %bb.5:
	v_cmp_neq_f64_e32 vcc, 1.0, v[12:13]
	v_cmp_neq_f64_e64 s[0:1], 0, v[14:15]
	s_or_b64 s[0:1], vcc, s[0:1]
	s_orn2_b64 s[0:1], s[0:1], exec
; %bb.6:
	s_or_b64 exec, exec, s[6:7]
	s_and_saveexec_b64 s[6:7], s[0:1]
	s_cbranch_execz .LBB39_12
; %bb.7:
	s_load_dwordx2 s[6:7], s[2:3], 0x20
	s_load_dwordx2 s[0:1], s[2:3], 0x0
	v_lshrrev_b32_e32 v0, 6, v2
	v_lshl_or_b32 v0, s4, 2, v0
	s_mov_b64 s[4:5], 0
	s_waitcnt lgkmcnt(0)
	s_cmp_lg_u64 s[6:7], 0
	s_cbranch_scc0 .LBB39_13
; %bb.8:
	s_load_dword s8, s[2:3], 0x18
                                        ; implicit-def: $vgpr1
	s_waitcnt lgkmcnt(0)
	v_cmp_gt_i32_e32 vcc, s8, v0
	s_and_saveexec_b64 s[8:9], vcc
	s_xor_b64 s[8:9], exec, s[8:9]
	s_cbranch_execz .LBB39_10
; %bb.9:
	v_ashrrev_i32_e32 v1, 31, v0
	v_lshl_add_u64 v[4:5], v[0:1], 2, s[6:7]
	global_load_dword v1, v[4:5], off
	s_mov_b64 s[4:5], exec
	s_waitcnt vmcnt(0)
	v_subrev_u32_e32 v1, s16, v1
.LBB39_10:
	s_or_b64 exec, exec, s[8:9]
	s_branch .LBB39_14
.LBB39_11:
	v_cmp_gt_i32_e32 vcc, s0, v0
	s_andn2_b64 s[4:5], s[4:5], exec
	s_and_b64 s[6:7], vcc, exec
	s_or_b64 s[4:5], s[4:5], s[6:7]
	s_and_b64 exec, exec, s[4:5]
	s_cbranch_execnz .LBB39_15
.LBB39_12:
	s_endpgm
.LBB39_13:
                                        ; implicit-def: $vgpr1
	s_cbranch_execnz .LBB39_11
.LBB39_14:
	v_mov_b32_e32 v0, v1
	s_and_b64 exec, exec, s[4:5]
	s_cbranch_execz .LBB39_12
.LBB39_15:
	s_load_dwordx8 s[4:11], s[2:3], 0x28
	v_ashrrev_i32_e32 v1, 31, v0
	v_lshlrev_b64 v[4:5], 3, v[0:1]
	v_and_b32_e32 v2, 63, v2
	v_mov_b32_e32 v3, 0
	s_waitcnt lgkmcnt(0)
	v_lshl_add_u64 v[6:7], s[4:5], 0, v[4:5]
	global_load_dwordx2 v[8:9], v[6:7], off
	s_cmp_eq_u64 s[6:7], 0
	v_lshl_add_u64 v[4:5], s[6:7], 0, v[4:5]
	v_lshl_add_u64 v[6:7], v[6:7], 0, 8
	s_cselect_b64 vcc, -1, 0
	v_cndmask_b32_e32 v5, v5, v7, vcc
	v_cndmask_b32_e32 v4, v4, v6, vcc
	global_load_dwordx2 v[4:5], v[4:5], off
	s_load_dwordx2 s[4:5], s[2:3], 0x48
	s_movk_i32 s6, 0x90
	v_mov_b64_e32 v[6:7], s[10:11]
	s_cmp_eq_u32 s1, 1
	s_waitcnt vmcnt(1)
	v_subrev_co_u32_e32 v8, vcc, s16, v8
	s_nop 1
	v_subbrev_co_u32_e32 v9, vcc, 0, v9, vcc
	v_lshl_add_u64 v[20:21], v[8:9], 0, v[2:3]
	v_mad_u64_u32 v[24:25], s[0:1], v20, s6, v[6:7]
	s_waitcnt vmcnt(0)
	v_subrev_co_u32_e32 v22, vcc, s16, v4
	v_mov_b32_e32 v4, v25
	s_nop 0
	v_subbrev_co_u32_e32 v23, vcc, 0, v5, vcc
	v_mad_u64_u32 v[4:5], s[0:1], v21, s6, v[4:5]
	v_mov_b32_e32 v25, v4
	v_cmp_lt_i64_e64 s[0:1], v[20:21], v[22:23]
	s_cbranch_scc1 .LBB39_21
; %bb.16:
	v_mov_b64_e32 v[10:11], 0
	s_mov_b64 s[6:7], 0
	v_mov_b64_e32 v[28:29], v[10:11]
	v_mov_b64_e32 v[8:9], v[10:11]
	;; [unrolled: 1-line block ×5, first 2 shown]
	s_and_saveexec_b64 s[10:11], s[0:1]
	s_cbranch_execz .LBB39_20
; %bb.17:
	v_mov_b64_e32 v[10:11], 0
	v_lshl_add_u64 v[30:31], v[20:21], 2, s[8:9]
	s_mov_b64 s[12:13], 0
	s_mov_b64 s[14:15], 0x2400
	s_mov_b64 s[18:19], 0x100
	v_mov_b64_e32 v[32:33], v[20:21]
	v_mov_b64_e32 v[34:35], v[24:25]
	;; [unrolled: 1-line block ×7, first 2 shown]
.LBB39_18:                              ; =>This Inner Loop Header: Depth=1
	global_load_dword v1, v[30:31], off
	global_load_dwordx4 v[36:39], v[34:35], off offset:48
	global_load_dwordx4 v[40:43], v[34:35], off offset:32
	;; [unrolled: 1-line block ×3, first 2 shown]
	global_load_dwordx4 v[48:51], v[34:35], off
	global_load_dwordx4 v[52:55], v[34:35], off offset:112
	global_load_dwordx4 v[56:59], v[34:35], off offset:96
	;; [unrolled: 1-line block ×5, first 2 shown]
	v_lshl_add_u64 v[32:33], v[32:33], 0, 64
	v_cmp_ge_i64_e32 vcc, v[32:33], v[22:23]
	v_lshl_add_u64 v[34:35], v[34:35], 0, s[14:15]
	v_lshl_add_u64 v[30:31], v[30:31], 0, s[18:19]
	s_or_b64 s[12:13], vcc, s[12:13]
	s_waitcnt vmcnt(9)
	v_subrev_u32_e32 v1, s16, v1
	v_lshl_add_u32 v72, v1, 1, v1
	v_ashrrev_i32_e32 v73, 31, v72
	s_waitcnt lgkmcnt(0)
	v_lshl_add_u64 v[84:85], v[72:73], 4, s[4:5]
	global_load_dwordx4 v[72:75], v[84:85], off
	global_load_dwordx4 v[76:79], v[84:85], off offset:16
	global_load_dwordx4 v[80:83], v[84:85], off offset:32
	s_waitcnt vmcnt(2)
	v_fmac_f64_e32 v[28:29], v[48:49], v[72:73]
	v_fmac_f64_e32 v[10:11], v[50:51], v[72:73]
	v_fmac_f64_e32 v[26:27], v[36:37], v[72:73]
	v_fmac_f64_e32 v[6:7], v[38:39], v[72:73]
	v_fmac_f64_e32 v[8:9], v[56:57], v[72:73]
	v_fmac_f64_e32 v[4:5], v[58:59], v[72:73]
	v_fma_f64 v[28:29], -v[50:51], v[74:75], v[28:29]
	v_fmac_f64_e32 v[10:11], v[48:49], v[74:75]
	v_fma_f64 v[26:27], -v[38:39], v[74:75], v[26:27]
	v_fmac_f64_e32 v[6:7], v[36:37], v[74:75]
	v_fma_f64 v[8:9], -v[58:59], v[74:75], v[8:9]
	v_fmac_f64_e32 v[4:5], v[56:57], v[74:75]
	s_waitcnt vmcnt(1)
	v_fmac_f64_e32 v[28:29], v[44:45], v[76:77]
	v_fmac_f64_e32 v[10:11], v[46:47], v[76:77]
	v_fmac_f64_e32 v[26:27], v[64:65], v[76:77]
	v_fmac_f64_e32 v[6:7], v[66:67], v[76:77]
	v_fmac_f64_e32 v[8:9], v[52:53], v[76:77]
	v_fmac_f64_e32 v[4:5], v[54:55], v[76:77]
	v_fma_f64 v[28:29], -v[46:47], v[78:79], v[28:29]
	v_fmac_f64_e32 v[10:11], v[44:45], v[78:79]
	v_fma_f64 v[26:27], -v[66:67], v[78:79], v[26:27]
	v_fmac_f64_e32 v[6:7], v[64:65], v[78:79]
	v_fma_f64 v[8:9], -v[54:55], v[78:79], v[8:9]
	v_fmac_f64_e32 v[4:5], v[52:53], v[78:79]
	s_waitcnt vmcnt(0)
	v_fmac_f64_e32 v[28:29], v[40:41], v[80:81]
	v_fmac_f64_e32 v[10:11], v[42:43], v[80:81]
	v_fmac_f64_e32 v[26:27], v[60:61], v[80:81]
	v_fmac_f64_e32 v[6:7], v[62:63], v[80:81]
	v_fmac_f64_e32 v[8:9], v[68:69], v[80:81]
	v_fmac_f64_e32 v[4:5], v[70:71], v[80:81]
	v_fma_f64 v[28:29], -v[42:43], v[82:83], v[28:29]
	v_fmac_f64_e32 v[10:11], v[40:41], v[82:83]
	v_fma_f64 v[26:27], -v[62:63], v[82:83], v[26:27]
	v_fmac_f64_e32 v[6:7], v[60:61], v[82:83]
	v_fma_f64 v[8:9], -v[70:71], v[82:83], v[8:9]
	v_fmac_f64_e32 v[4:5], v[68:69], v[82:83]
	s_andn2_b64 exec, exec, s[12:13]
	s_cbranch_execnz .LBB39_18
; %bb.19:
	s_or_b64 exec, exec, s[12:13]
.LBB39_20:
	s_or_b64 exec, exec, s[10:11]
	s_andn2_b64 vcc, exec, s[6:7]
	s_cbranch_vccz .LBB39_22
	s_branch .LBB39_27
.LBB39_21:
                                        ; implicit-def: $vgpr10_vgpr11
                                        ; implicit-def: $vgpr28_vgpr29
                                        ; implicit-def: $vgpr8_vgpr9
                                        ; implicit-def: $vgpr4_vgpr5
                                        ; implicit-def: $vgpr26_vgpr27
                                        ; implicit-def: $vgpr6_vgpr7
.LBB39_22:
	v_mov_b64_e32 v[10:11], 0
	v_mov_b64_e32 v[28:29], v[10:11]
	v_mov_b64_e32 v[8:9], v[10:11]
	v_mov_b64_e32 v[4:5], v[10:11]
	v_mov_b64_e32 v[26:27], v[10:11]
	v_mov_b64_e32 v[6:7], v[10:11]
	s_and_saveexec_b64 s[6:7], s[0:1]
	s_cbranch_execz .LBB39_26
; %bb.23:
	v_mov_b64_e32 v[10:11], 0
	v_lshl_add_u64 v[30:31], v[20:21], 2, s[8:9]
	s_mov_b64 s[0:1], 0
	s_mov_b64 s[8:9], 0x2400
	;; [unrolled: 1-line block ×3, first 2 shown]
	v_mov_b64_e32 v[28:29], v[10:11]
	v_mov_b64_e32 v[8:9], v[10:11]
	;; [unrolled: 1-line block ×5, first 2 shown]
.LBB39_24:                              ; =>This Inner Loop Header: Depth=1
	global_load_dword v1, v[30:31], off
	global_load_dwordx4 v[32:35], v[24:25], off offset:48
	global_load_dwordx4 v[36:39], v[24:25], off offset:32
	;; [unrolled: 1-line block ×3, first 2 shown]
	global_load_dwordx4 v[44:47], v[24:25], off
	global_load_dwordx4 v[48:51], v[24:25], off offset:112
	global_load_dwordx4 v[52:55], v[24:25], off offset:96
	;; [unrolled: 1-line block ×5, first 2 shown]
	v_lshl_add_u64 v[20:21], v[20:21], 0, 64
	v_cmp_ge_i64_e32 vcc, v[20:21], v[22:23]
	v_lshl_add_u64 v[24:25], v[24:25], 0, s[8:9]
	v_lshl_add_u64 v[30:31], v[30:31], 0, s[10:11]
	s_or_b64 s[0:1], vcc, s[0:1]
	s_waitcnt vmcnt(9)
	v_subrev_u32_e32 v1, s16, v1
	v_lshl_add_u32 v68, v1, 1, v1
	v_ashrrev_i32_e32 v69, 31, v68
	s_waitcnt lgkmcnt(0)
	v_lshl_add_u64 v[80:81], v[68:69], 4, s[4:5]
	global_load_dwordx4 v[68:71], v[80:81], off
	global_load_dwordx4 v[72:75], v[80:81], off offset:16
	global_load_dwordx4 v[76:79], v[80:81], off offset:32
	s_waitcnt vmcnt(2)
	v_fmac_f64_e32 v[28:29], v[44:45], v[68:69]
	v_fmac_f64_e32 v[10:11], v[46:47], v[68:69]
	v_fmac_f64_e32 v[26:27], v[40:41], v[68:69]
	v_fmac_f64_e32 v[6:7], v[42:43], v[68:69]
	v_fmac_f64_e32 v[8:9], v[36:37], v[68:69]
	v_fmac_f64_e32 v[4:5], v[38:39], v[68:69]
	v_fma_f64 v[28:29], -v[46:47], v[70:71], v[28:29]
	v_fmac_f64_e32 v[10:11], v[44:45], v[70:71]
	v_fma_f64 v[26:27], -v[42:43], v[70:71], v[26:27]
	v_fmac_f64_e32 v[6:7], v[40:41], v[70:71]
	v_fma_f64 v[8:9], -v[38:39], v[70:71], v[8:9]
	v_fmac_f64_e32 v[4:5], v[36:37], v[70:71]
	s_waitcnt vmcnt(1)
	v_fmac_f64_e32 v[28:29], v[32:33], v[72:73]
	v_fmac_f64_e32 v[10:11], v[34:35], v[72:73]
	v_fmac_f64_e32 v[26:27], v[60:61], v[72:73]
	v_fmac_f64_e32 v[6:7], v[62:63], v[72:73]
	v_fmac_f64_e32 v[8:9], v[56:57], v[72:73]
	v_fmac_f64_e32 v[4:5], v[58:59], v[72:73]
	v_fma_f64 v[28:29], -v[34:35], v[74:75], v[28:29]
	v_fmac_f64_e32 v[10:11], v[32:33], v[74:75]
	v_fma_f64 v[26:27], -v[62:63], v[74:75], v[26:27]
	v_fmac_f64_e32 v[6:7], v[60:61], v[74:75]
	v_fma_f64 v[8:9], -v[58:59], v[74:75], v[8:9]
	v_fmac_f64_e32 v[4:5], v[56:57], v[74:75]
	;; [unrolled: 13-line block ×3, first 2 shown]
	s_andn2_b64 exec, exec, s[0:1]
	s_cbranch_execnz .LBB39_24
; %bb.25:
	s_or_b64 exec, exec, s[0:1]
.LBB39_26:
	s_or_b64 exec, exec, s[6:7]
.LBB39_27:
	v_mov_b32_dpp v20, v28 row_shr:1 row_mask:0xf bank_mask:0xf
	v_mov_b32_dpp v21, v29 row_shr:1 row_mask:0xf bank_mask:0xf
	v_add_f64 v[20:21], v[28:29], v[20:21]
	v_mov_b32_dpp v24, v10 row_shr:1 row_mask:0xf bank_mask:0xf
	v_mov_b32_dpp v25, v11 row_shr:1 row_mask:0xf bank_mask:0xf
	;; [unrolled: 1-line block ×10, first 2 shown]
	v_add_f64 v[10:11], v[10:11], v[24:25]
	v_add_f64 v[26:27], v[26:27], v[28:29]
	v_add_f64 v[6:7], v[6:7], v[30:31]
	v_add_f64 v[8:9], v[8:9], v[32:33]
	v_add_f64 v[4:5], v[4:5], v[34:35]
	v_mov_b32_dpp v22, v20 row_shr:2 row_mask:0xf bank_mask:0xf
	v_mov_b32_dpp v23, v21 row_shr:2 row_mask:0xf bank_mask:0xf
	v_mov_b32_dpp v24, v10 row_shr:2 row_mask:0xf bank_mask:0xf
	v_mov_b32_dpp v25, v11 row_shr:2 row_mask:0xf bank_mask:0xf
	v_mov_b32_dpp v28, v26 row_shr:2 row_mask:0xf bank_mask:0xf
	v_mov_b32_dpp v29, v27 row_shr:2 row_mask:0xf bank_mask:0xf
	v_mov_b32_dpp v30, v6 row_shr:2 row_mask:0xf bank_mask:0xf
	v_mov_b32_dpp v31, v7 row_shr:2 row_mask:0xf bank_mask:0xf
	v_mov_b32_dpp v32, v8 row_shr:2 row_mask:0xf bank_mask:0xf
	v_mov_b32_dpp v33, v9 row_shr:2 row_mask:0xf bank_mask:0xf
	v_mov_b32_dpp v34, v4 row_shr:2 row_mask:0xf bank_mask:0xf
	v_mov_b32_dpp v35, v5 row_shr:2 row_mask:0xf bank_mask:0xf
	v_add_f64 v[20:21], v[20:21], v[22:23]
	v_add_f64 v[10:11], v[10:11], v[24:25]
	v_add_f64 v[26:27], v[26:27], v[28:29]
	v_add_f64 v[6:7], v[6:7], v[30:31]
	v_add_f64 v[8:9], v[8:9], v[32:33]
	v_add_f64 v[4:5], v[4:5], v[34:35]
	v_mov_b32_dpp v22, v20 row_shr:4 row_mask:0xf bank_mask:0xe
	v_mov_b32_dpp v23, v21 row_shr:4 row_mask:0xf bank_mask:0xe
	v_mov_b32_dpp v24, v10 row_shr:4 row_mask:0xf bank_mask:0xe
	v_mov_b32_dpp v25, v11 row_shr:4 row_mask:0xf bank_mask:0xe
	v_mov_b32_dpp v28, v26 row_shr:4 row_mask:0xf bank_mask:0xe
	v_mov_b32_dpp v29, v27 row_shr:4 row_mask:0xf bank_mask:0xe
	v_mov_b32_dpp v30, v6 row_shr:4 row_mask:0xf bank_mask:0xe
	v_mov_b32_dpp v31, v7 row_shr:4 row_mask:0xf bank_mask:0xe
	v_mov_b32_dpp v32, v8 row_shr:4 row_mask:0xf bank_mask:0xe
	v_mov_b32_dpp v33, v9 row_shr:4 row_mask:0xf bank_mask:0xe
	v_mov_b32_dpp v34, v4 row_shr:4 row_mask:0xf bank_mask:0xe
	v_mov_b32_dpp v35, v5 row_shr:4 row_mask:0xf bank_mask:0xe
	v_add_f64 v[20:21], v[20:21], v[22:23]
	;; [unrolled: 18-line block ×3, first 2 shown]
	v_add_f64 v[10:11], v[10:11], v[24:25]
	v_add_f64 v[26:27], v[26:27], v[28:29]
	v_add_f64 v[6:7], v[6:7], v[30:31]
	v_add_f64 v[8:9], v[8:9], v[32:33]
	v_add_f64 v[4:5], v[4:5], v[34:35]
	v_mov_b32_dpp v22, v20 row_bcast:15 row_mask:0xa bank_mask:0xf
	v_mov_b32_dpp v23, v21 row_bcast:15 row_mask:0xa bank_mask:0xf
	;; [unrolled: 1-line block ×12, first 2 shown]
	v_add_f64 v[20:21], v[20:21], v[22:23]
	v_add_f64 v[10:11], v[10:11], v[24:25]
	v_add_f64 v[26:27], v[26:27], v[28:29]
	v_add_f64 v[6:7], v[6:7], v[30:31]
	v_add_f64 v[8:9], v[8:9], v[32:33]
	v_add_f64 v[4:5], v[4:5], v[34:35]
	v_mov_b32_dpp v22, v20 row_bcast:31 row_mask:0xc bank_mask:0xf
	v_mov_b32_dpp v23, v21 row_bcast:31 row_mask:0xc bank_mask:0xf
	v_mov_b32_dpp v24, v10 row_bcast:31 row_mask:0xc bank_mask:0xf
	v_mov_b32_dpp v25, v11 row_bcast:31 row_mask:0xc bank_mask:0xf
	v_mov_b32_dpp v28, v26 row_bcast:31 row_mask:0xc bank_mask:0xf
	v_mov_b32_dpp v29, v27 row_bcast:31 row_mask:0xc bank_mask:0xf
	v_mov_b32_dpp v30, v6 row_bcast:31 row_mask:0xc bank_mask:0xf
	v_mov_b32_dpp v31, v7 row_bcast:31 row_mask:0xc bank_mask:0xf
	v_mov_b32_dpp v32, v8 row_bcast:31 row_mask:0xc bank_mask:0xf
	v_mov_b32_dpp v33, v9 row_bcast:31 row_mask:0xc bank_mask:0xf
	v_mov_b32_dpp v34, v4 row_bcast:31 row_mask:0xc bank_mask:0xf
	v_mov_b32_dpp v35, v5 row_bcast:31 row_mask:0xc bank_mask:0xf
	v_cmp_eq_u32_e32 vcc, 63, v2
	s_and_b64 exec, exec, vcc
	s_cbranch_execz .LBB39_12
; %bb.28:
	s_load_dwordx2 s[2:3], s[2:3], 0x60
	v_add_f64 v[2:3], v[10:11], v[24:25]
	v_add_f64 v[24:25], v[26:27], v[28:29]
	;; [unrolled: 1-line block ×6, first 2 shown]
	v_cmp_eq_f64_e32 vcc, 0, v[12:13]
	v_cmp_eq_f64_e64 s[0:1], 0, v[14:15]
	v_mul_f64 v[8:9], v[2:3], -v[18:19]
	v_mul_f64 v[10:11], v[16:17], v[2:3]
	v_lshl_add_u32 v20, v0, 1, v0
	v_mul_f64 v[4:5], v[6:7], -v[18:19]
	v_mul_f64 v[6:7], v[16:17], v[6:7]
	v_mul_f64 v[0:1], v[28:29], -v[18:19]
	v_mul_f64 v[2:3], v[16:17], v[28:29]
	s_and_b64 s[0:1], vcc, s[0:1]
	v_fmac_f64_e32 v[8:9], v[16:17], v[22:23]
	v_fmac_f64_e32 v[10:11], v[18:19], v[22:23]
	v_ashrrev_i32_e32 v21, 31, v20
	v_fmac_f64_e32 v[4:5], v[16:17], v[24:25]
	v_fmac_f64_e32 v[6:7], v[18:19], v[24:25]
	;; [unrolled: 1-line block ×4, first 2 shown]
	s_waitcnt lgkmcnt(0)
	s_and_saveexec_b64 s[4:5], s[0:1]
	s_xor_b64 s[0:1], exec, s[4:5]
	s_cbranch_execz .LBB39_30
; %bb.29:
	v_lshl_add_u64 v[12:13], v[20:21], 4, s[2:3]
	global_store_dwordx4 v[12:13], v[8:11], off
	global_store_dwordx4 v[12:13], v[4:7], off offset:16
	global_store_dwordx4 v[12:13], v[0:3], off offset:32
                                        ; implicit-def: $vgpr12_vgpr13
                                        ; implicit-def: $vgpr14_vgpr15
                                        ; implicit-def: $vgpr20
                                        ; implicit-def: $vgpr8_vgpr9
                                        ; implicit-def: $vgpr4_vgpr5
                                        ; implicit-def: $vgpr0_vgpr1
.LBB39_30:
	s_andn2_saveexec_b64 s[0:1], s[0:1]
	s_cbranch_execz .LBB39_12
; %bb.31:
	v_lshl_add_u64 v[28:29], v[20:21], 4, s[2:3]
	global_load_dwordx4 v[16:19], v[28:29], off
	global_load_dwordx4 v[20:23], v[28:29], off offset:16
	global_load_dwordx4 v[24:27], v[28:29], off offset:32
	s_waitcnt vmcnt(2)
	v_fmac_f64_e32 v[8:9], v[12:13], v[16:17]
	v_fmac_f64_e32 v[10:11], v[14:15], v[16:17]
	s_waitcnt vmcnt(1)
	v_fmac_f64_e32 v[4:5], v[12:13], v[20:21]
	v_fmac_f64_e32 v[6:7], v[14:15], v[20:21]
	;; [unrolled: 3-line block ×3, first 2 shown]
	v_fma_f64 v[8:9], -v[14:15], v[18:19], v[8:9]
	v_fmac_f64_e32 v[10:11], v[12:13], v[18:19]
	v_fma_f64 v[4:5], -v[14:15], v[22:23], v[4:5]
	v_fmac_f64_e32 v[6:7], v[12:13], v[22:23]
	;; [unrolled: 2-line block ×3, first 2 shown]
	global_store_dwordx4 v[28:29], v[8:11], off
	global_store_dwordx4 v[28:29], v[4:7], off offset:16
	global_store_dwordx4 v[28:29], v[0:3], off offset:32
	s_endpgm
	.section	.rodata,"a",@progbits
	.p2align	6, 0x0
	.amdhsa_kernel _ZN9rocsparseL18bsrxmvn_3x3_kernelILj256ELj64E21rocsparse_complex_numIdEliS2_S2_S2_EEvT3_20rocsparse_direction_NS_24const_host_device_scalarIT1_EES3_PKS3_PKT2_SC_S9_PKT4_PKT5_S7_PT6_21rocsparse_index_base_b
		.amdhsa_group_segment_fixed_size 4096
		.amdhsa_private_segment_fixed_size 0
		.amdhsa_kernarg_size 112
		.amdhsa_user_sgpr_count 4
		.amdhsa_user_sgpr_dispatch_ptr 1
		.amdhsa_user_sgpr_queue_ptr 0
		.amdhsa_user_sgpr_kernarg_segment_ptr 1
		.amdhsa_user_sgpr_dispatch_id 0
		.amdhsa_user_sgpr_kernarg_preload_length 0
		.amdhsa_user_sgpr_kernarg_preload_offset 0
		.amdhsa_user_sgpr_private_segment_size 0
		.amdhsa_uses_dynamic_stack 0
		.amdhsa_enable_private_segment 0
		.amdhsa_system_sgpr_workgroup_id_x 1
		.amdhsa_system_sgpr_workgroup_id_y 0
		.amdhsa_system_sgpr_workgroup_id_z 0
		.amdhsa_system_sgpr_workgroup_info 0
		.amdhsa_system_vgpr_workitem_id 2
		.amdhsa_next_free_vgpr 86
		.amdhsa_next_free_sgpr 20
		.amdhsa_accum_offset 88
		.amdhsa_reserve_vcc 1
		.amdhsa_float_round_mode_32 0
		.amdhsa_float_round_mode_16_64 0
		.amdhsa_float_denorm_mode_32 3
		.amdhsa_float_denorm_mode_16_64 3
		.amdhsa_dx10_clamp 1
		.amdhsa_ieee_mode 1
		.amdhsa_fp16_overflow 0
		.amdhsa_tg_split 0
		.amdhsa_exception_fp_ieee_invalid_op 0
		.amdhsa_exception_fp_denorm_src 0
		.amdhsa_exception_fp_ieee_div_zero 0
		.amdhsa_exception_fp_ieee_overflow 0
		.amdhsa_exception_fp_ieee_underflow 0
		.amdhsa_exception_fp_ieee_inexact 0
		.amdhsa_exception_int_div_zero 0
	.end_amdhsa_kernel
	.section	.text._ZN9rocsparseL18bsrxmvn_3x3_kernelILj256ELj64E21rocsparse_complex_numIdEliS2_S2_S2_EEvT3_20rocsparse_direction_NS_24const_host_device_scalarIT1_EES3_PKS3_PKT2_SC_S9_PKT4_PKT5_S7_PT6_21rocsparse_index_base_b,"axG",@progbits,_ZN9rocsparseL18bsrxmvn_3x3_kernelILj256ELj64E21rocsparse_complex_numIdEliS2_S2_S2_EEvT3_20rocsparse_direction_NS_24const_host_device_scalarIT1_EES3_PKS3_PKT2_SC_S9_PKT4_PKT5_S7_PT6_21rocsparse_index_base_b,comdat
.Lfunc_end39:
	.size	_ZN9rocsparseL18bsrxmvn_3x3_kernelILj256ELj64E21rocsparse_complex_numIdEliS2_S2_S2_EEvT3_20rocsparse_direction_NS_24const_host_device_scalarIT1_EES3_PKS3_PKT2_SC_S9_PKT4_PKT5_S7_PT6_21rocsparse_index_base_b, .Lfunc_end39-_ZN9rocsparseL18bsrxmvn_3x3_kernelILj256ELj64E21rocsparse_complex_numIdEliS2_S2_S2_EEvT3_20rocsparse_direction_NS_24const_host_device_scalarIT1_EES3_PKS3_PKT2_SC_S9_PKT4_PKT5_S7_PT6_21rocsparse_index_base_b
                                        ; -- End function
	.section	.AMDGPU.csdata,"",@progbits
; Kernel info:
; codeLenInByte = 2756
; NumSgprs: 26
; NumVgprs: 86
; NumAgprs: 0
; TotalNumVgprs: 86
; ScratchSize: 0
; MemoryBound: 0
; FloatMode: 240
; IeeeMode: 1
; LDSByteSize: 4096 bytes/workgroup (compile time only)
; SGPRBlocks: 3
; VGPRBlocks: 10
; NumSGPRsForWavesPerEU: 26
; NumVGPRsForWavesPerEU: 86
; AccumOffset: 88
; Occupancy: 5
; WaveLimiterHint : 1
; COMPUTE_PGM_RSRC2:SCRATCH_EN: 0
; COMPUTE_PGM_RSRC2:USER_SGPR: 4
; COMPUTE_PGM_RSRC2:TRAP_HANDLER: 0
; COMPUTE_PGM_RSRC2:TGID_X_EN: 1
; COMPUTE_PGM_RSRC2:TGID_Y_EN: 0
; COMPUTE_PGM_RSRC2:TGID_Z_EN: 0
; COMPUTE_PGM_RSRC2:TIDIG_COMP_CNT: 2
; COMPUTE_PGM_RSRC3_GFX90A:ACCUM_OFFSET: 21
; COMPUTE_PGM_RSRC3_GFX90A:TG_SPLIT: 0
	.section	.text._ZN9rocsparseL18bsrxmvn_3x3_kernelILj256ELj4EfllfffEEvT3_20rocsparse_direction_NS_24const_host_device_scalarIT1_EES1_PKS1_PKT2_SA_S7_PKT4_PKT5_S5_PT6_21rocsparse_index_base_b,"axG",@progbits,_ZN9rocsparseL18bsrxmvn_3x3_kernelILj256ELj4EfllfffEEvT3_20rocsparse_direction_NS_24const_host_device_scalarIT1_EES1_PKS1_PKT2_SA_S7_PKT4_PKT5_S5_PT6_21rocsparse_index_base_b,comdat
	.globl	_ZN9rocsparseL18bsrxmvn_3x3_kernelILj256ELj4EfllfffEEvT3_20rocsparse_direction_NS_24const_host_device_scalarIT1_EES1_PKS1_PKT2_SA_S7_PKT4_PKT5_S5_PT6_21rocsparse_index_base_b ; -- Begin function _ZN9rocsparseL18bsrxmvn_3x3_kernelILj256ELj4EfllfffEEvT3_20rocsparse_direction_NS_24const_host_device_scalarIT1_EES1_PKS1_PKT2_SA_S7_PKT4_PKT5_S5_PT6_21rocsparse_index_base_b
	.p2align	8
	.type	_ZN9rocsparseL18bsrxmvn_3x3_kernelILj256ELj4EfllfffEEvT3_20rocsparse_direction_NS_24const_host_device_scalarIT1_EES1_PKS1_PKT2_SA_S7_PKT4_PKT5_S5_PT6_21rocsparse_index_base_b,@function
_ZN9rocsparseL18bsrxmvn_3x3_kernelILj256ELj4EfllfffEEvT3_20rocsparse_direction_NS_24const_host_device_scalarIT1_EES1_PKS1_PKT2_SA_S7_PKT4_PKT5_S5_PT6_21rocsparse_index_base_b: ; @_ZN9rocsparseL18bsrxmvn_3x3_kernelILj256ELj4EfllfffEEvT3_20rocsparse_direction_NS_24const_host_device_scalarIT1_EES1_PKS1_PKT2_SA_S7_PKT4_PKT5_S5_PT6_21rocsparse_index_base_b
; %bb.0:
	s_load_dwordx2 s[18:19], s[0:1], 0x60
	s_load_dwordx4 s[12:15], s[0:1], 0x10
	s_load_dwordx2 s[16:17], s[0:1], 0x50
	s_waitcnt lgkmcnt(0)
	s_bitcmp1_b32 s19, 0
	s_cselect_b64 s[6:7], -1, 0
	s_xor_b64 s[4:5], s[6:7], -1
	s_and_b64 vcc, exec, s[6:7]
	s_cbranch_vccnz .LBB40_2
; %bb.1:
	s_load_dword s12, s[12:13], 0x0
.LBB40_2:
	s_andn2_b64 vcc, exec, s[4:5]
	s_cbranch_vccnz .LBB40_4
; %bb.3:
	s_load_dword s16, s[16:17], 0x0
.LBB40_4:
	s_waitcnt lgkmcnt(0)
	v_cmp_neq_f32_e64 s[4:5], s12, 0
	v_cmp_neq_f32_e64 s[6:7], s16, 1.0
	s_or_b64 s[4:5], s[4:5], s[6:7]
	s_andn2_b64 vcc, exec, s[4:5]
	s_cbranch_vccnz .LBB40_10
; %bb.5:
	s_load_dwordx2 s[4:5], s[0:1], 0x20
	v_lshrrev_b32_e32 v1, 2, v0
	v_lshl_or_b32 v2, s2, 6, v1
	v_mov_b32_e32 v3, 0
	s_mov_b64 s[2:3], 0
	s_waitcnt lgkmcnt(0)
	s_cmp_lg_u64 s[4:5], 0
	s_cbranch_scc0 .LBB40_11
; %bb.6:
	v_cmp_gt_i64_e32 vcc, s[14:15], v[2:3]
                                        ; implicit-def: $vgpr4_vgpr5
	s_and_saveexec_b64 s[6:7], vcc
	s_xor_b64 s[6:7], exec, s[6:7]
                                        ; implicit-def: $sgpr14_sgpr15
	s_cbranch_execz .LBB40_8
; %bb.7:
	v_lshl_add_u64 v[4:5], v[2:3], 3, s[4:5]
	global_load_dwordx2 v[4:5], v[4:5], off
	s_mov_b64 s[2:3], exec
	s_mov_b32 s15, 0
	s_waitcnt vmcnt(0)
	v_subrev_co_u32_e32 v4, vcc, s18, v4
	s_nop 1
	v_subbrev_co_u32_e32 v5, vcc, 0, v5, vcc
.LBB40_8:
	s_or_b64 exec, exec, s[6:7]
.LBB40_9:
	s_and_saveexec_b64 s[4:5], s[2:3]
	s_cbranch_execnz .LBB40_15
.LBB40_10:
	s_endpgm
.LBB40_11:
                                        ; implicit-def: $vgpr4_vgpr5
                                        ; implicit-def: $sgpr14_sgpr15
	s_cbranch_execz .LBB40_9
; %bb.12:
	s_load_dwordx2 s[4:5], s[0:1], 0x0
                                        ; implicit-def: $vgpr4_vgpr5
	s_waitcnt lgkmcnt(0)
	v_cmp_gt_i64_e32 vcc, s[4:5], v[2:3]
	s_and_saveexec_b64 s[4:5], vcc
                                        ; implicit-def: $sgpr14_sgpr15
; %bb.13:
	s_mov_b32 s15, 0
	s_or_b64 s[2:3], s[2:3], exec
	v_mov_b64_e32 v[4:5], v[2:3]
; %bb.14:
	s_or_b64 exec, exec, s[4:5]
	s_and_saveexec_b64 s[4:5], s[2:3]
	s_cbranch_execz .LBB40_10
.LBB40_15:
	s_load_dwordx8 s[4:11], s[0:1], 0x28
	v_lshlrev_b64 v[2:3], 3, v[4:5]
	v_mov_b32_e32 v10, s15
	v_and_b32_e32 v0, 3, v0
	v_mov_b32_e32 v1, 0
	s_waitcnt lgkmcnt(0)
	v_lshl_add_u64 v[6:7], s[4:5], 0, v[2:3]
	s_cmp_eq_u64 s[6:7], 0
	v_lshl_add_u64 v[2:3], s[6:7], 0, v[2:3]
	global_load_dwordx2 v[8:9], v[6:7], off
	v_lshl_add_u64 v[6:7], v[6:7], 0, 8
	s_cselect_b64 vcc, -1, 0
	v_cndmask_b32_e32 v3, v3, v7, vcc
	v_cndmask_b32_e32 v2, v2, v6, vcc
	global_load_dwordx2 v[6:7], v[2:3], off
	s_load_dword s2, s[0:1], 0x8
	s_load_dwordx2 s[4:5], s[0:1], 0x48
	s_waitcnt lgkmcnt(0)
	s_cmp_eq_u32 s2, 1
	s_waitcnt vmcnt(1)
	v_subrev_co_u32_e32 v2, vcc, s18, v8
	s_nop 1
	v_subb_co_u32_e32 v3, vcc, v9, v10, vcc
	v_lshl_add_u64 v[2:3], v[2:3], 0, v[0:1]
	s_waitcnt vmcnt(0)
	v_subrev_co_u32_e32 v6, vcc, s18, v6
	s_nop 1
	v_subb_co_u32_e32 v7, vcc, v7, v10, vcc
	v_mad_u64_u32 v[10:11], s[2:3], v2, 36, 0
	v_mov_b32_e32 v8, v11
	v_mad_u64_u32 v[8:9], s[2:3], v3, 36, v[8:9]
	v_mov_b32_e32 v11, v8
	v_cmp_lt_i64_e64 s[2:3], v[2:3], v[6:7]
	s_cbranch_scc1 .LBB40_21
; %bb.16:
	v_mov_b32_e32 v8, v1
	v_mov_b32_e32 v18, v1
	s_and_saveexec_b64 s[6:7], s[2:3]
	s_cbranch_execz .LBB40_20
; %bb.17:
	v_mov_b32_e32 v18, 0
	v_lshl_add_u64 v[12:13], s[10:11], 0, v[10:11]
	v_lshl_add_u64 v[14:15], v[2:3], 3, s[8:9]
	s_mov_b64 s[20:21], 0
	v_mov_b32_e32 v1, s15
	s_mov_b64 s[22:23], 0x90
	v_mov_b64_e32 v[16:17], v[2:3]
	v_mov_b32_e32 v8, 0
	v_mov_b32_e32 v9, v18
.LBB40_18:                              ; =>This Inner Loop Header: Depth=1
	global_load_dwordx2 v[28:29], v[14:15], off
	global_load_dwordx4 v[20:23], v[12:13], off offset:16
	global_load_dwordx4 v[24:27], v[12:13], off
	v_lshl_add_u64 v[16:17], v[16:17], 0, 4
	v_lshl_add_u64 v[14:15], v[14:15], 0, 32
	s_waitcnt vmcnt(2)
	v_subrev_co_u32_e32 v19, vcc, s18, v28
	v_mad_u64_u32 v[32:33], s[24:25], v19, 12, s[4:5]
	s_nop 0
	v_subb_co_u32_e32 v29, vcc, v29, v1, vcc
	v_mov_b32_e32 v28, v33
	v_mad_u64_u32 v[28:29], s[24:25], v29, 12, v[28:29]
	v_mov_b32_e32 v33, v28
	global_load_dwordx3 v[28:30], v[32:33], off
	global_load_dword v19, v[12:13], off offset:32
	s_waitcnt vmcnt(2)
	v_mov_b32_e32 v32, v24
	v_mov_b32_e32 v33, v27
	;; [unrolled: 1-line block ×4, first 2 shown]
	v_cmp_ge_i64_e32 vcc, v[16:17], v[6:7]
	v_mov_b32_e32 v27, v21
	v_lshl_add_u64 v[12:13], v[12:13], 0, s[22:23]
	s_or_b64 s[20:21], vcc, s[20:21]
	s_waitcnt vmcnt(1)
	v_pk_fma_f32 v[8:9], v[32:33], v[28:29], v[8:9] op_sel_hi:[1,0,1]
	v_fmac_f32_e32 v18, v22, v28
	v_mov_b32_e32 v20, v30
	v_pk_fma_f32 v[8:9], v[24:25], v[28:29], v[8:9] op_sel:[0,1,0]
	v_fmac_f32_e32 v18, v23, v29
	v_pk_fma_f32 v[8:9], v[26:27], v[20:21], v[8:9] op_sel_hi:[1,0,1]
	s_waitcnt vmcnt(0)
	v_fmac_f32_e32 v18, v19, v30
	s_andn2_b64 exec, exec, s[20:21]
	s_cbranch_execnz .LBB40_18
; %bb.19:
	s_or_b64 exec, exec, s[20:21]
	v_mov_b32_e32 v1, v9
.LBB40_20:
	s_or_b64 exec, exec, s[6:7]
	v_mov_b32_e32 v9, v1
	s_cbranch_execz .LBB40_22
	s_branch .LBB40_27
.LBB40_21:
                                        ; implicit-def: $vgpr9
                                        ; implicit-def: $vgpr18
.LBB40_22:
	v_mov_b32_e32 v9, 0
	v_mov_b32_e32 v8, v9
	;; [unrolled: 1-line block ×3, first 2 shown]
	s_and_saveexec_b64 s[6:7], s[2:3]
	s_cbranch_execz .LBB40_26
; %bb.23:
	v_lshl_add_u64 v[8:9], v[10:11], 0, s[10:11]
	v_mov_b32_e32 v18, 0
	v_lshl_add_u64 v[10:11], v[8:9], 0, 20
	v_lshl_add_u64 v[12:13], v[2:3], 3, s[8:9]
	s_mov_b64 s[2:3], 0
	v_mov_b32_e32 v1, s15
	s_mov_b64 s[8:9], 0x90
	v_mov_b32_e32 v8, 0
	v_mov_b32_e32 v9, v18
.LBB40_24:                              ; =>This Inner Loop Header: Depth=1
	global_load_dwordx2 v[24:25], v[12:13], off
	global_load_dwordx4 v[14:17], v[10:11], off offset:-4
	global_load_dwordx4 v[20:23], v[10:11], off offset:-20
	v_lshl_add_u64 v[2:3], v[2:3], 0, 4
	v_lshl_add_u64 v[12:13], v[12:13], 0, 32
	s_waitcnt vmcnt(2)
	v_subrev_co_u32_e32 v19, vcc, s18, v24
	v_mad_u64_u32 v[28:29], s[10:11], v19, 12, s[4:5]
	s_nop 0
	v_subb_co_u32_e32 v25, vcc, v25, v1, vcc
	v_mov_b32_e32 v24, v29
	v_mad_u64_u32 v[24:25], s[10:11], v25, 12, v[24:25]
	v_mov_b32_e32 v29, v24
	global_load_dwordx3 v[24:26], v[28:29], off
	global_load_dword v19, v[10:11], off offset:12
	s_waitcnt vmcnt(2)
	v_mov_b32_e32 v28, v23
	v_mov_b32_e32 v29, v14
	v_cmp_ge_i64_e32 vcc, v[2:3], v[6:7]
	v_lshl_add_u64 v[10:11], v[10:11], 0, s[8:9]
	s_or_b64 s[2:3], vcc, s[2:3]
	s_waitcnt vmcnt(1)
	v_fmac_f32_e32 v18, v22, v24
	v_pk_fma_f32 v[8:9], v[20:21], v[24:25], v[8:9] op_sel_hi:[1,0,1]
	v_mov_b32_e32 v14, v26
	v_fmac_f32_e32 v18, v15, v25
	v_pk_fma_f32 v[8:9], v[28:29], v[24:25], v[8:9] op_sel:[0,1,0]
	s_waitcnt vmcnt(0)
	v_fmac_f32_e32 v18, v19, v26
	v_pk_fma_f32 v[8:9], v[16:17], v[14:15], v[8:9] op_sel_hi:[1,0,1]
	s_andn2_b64 exec, exec, s[2:3]
	s_cbranch_execnz .LBB40_24
; %bb.25:
	s_or_b64 exec, exec, s[2:3]
.LBB40_26:
	s_or_b64 exec, exec, s[6:7]
.LBB40_27:
	v_mov_b32_dpp v2, v8 row_shr:1 row_mask:0xf bank_mask:0xf
	v_mov_b32_dpp v3, v9 row_shr:1 row_mask:0xf bank_mask:0xf
	;; [unrolled: 1-line block ×3, first 2 shown]
	v_pk_add_f32 v[2:3], v[8:9], v[2:3]
	v_add_f32_e32 v1, v18, v1
	v_cmp_eq_u32_e32 vcc, 3, v0
	v_mov_b32_dpp v6, v2 row_shr:2 row_mask:0xf bank_mask:0xf
	v_mov_b32_dpp v7, v3 row_shr:2 row_mask:0xf bank_mask:0xf
	;; [unrolled: 1-line block ×3, first 2 shown]
	s_and_b64 exec, exec, vcc
	s_cbranch_execz .LBB40_10
; %bb.28:
	s_load_dwordx2 s[0:1], s[0:1], 0x58
	v_add_f32_e32 v0, v1, v8
	v_cmp_eq_f32_e64 s[2:3], s16, 0
	v_pk_add_f32 v[6:7], v[2:3], v[6:7]
	s_and_b64 vcc, exec, s[2:3]
	v_mul_f32_e32 v2, s12, v0
	s_cbranch_vccz .LBB40_30
; %bb.29:
	s_waitcnt lgkmcnt(0)
	v_mad_u64_u32 v[8:9], s[2:3], v4, 12, s[0:1]
	v_mov_b32_e32 v0, v9
	v_mad_u64_u32 v[0:1], s[2:3], v5, 12, v[0:1]
	v_mov_b32_e32 v9, v0
	v_pk_mul_f32 v[0:1], s[12:13], v[6:7] op_sel_hi:[0,1]
	global_store_dwordx3 v[8:9], v[0:2], off
	s_cbranch_execnz .LBB40_10
	s_branch .LBB40_31
.LBB40_30:
.LBB40_31:
	s_waitcnt lgkmcnt(0)
	v_mad_u64_u32 v[12:13], s[0:1], v4, 12, s[0:1]
	v_mov_b32_e32 v0, v13
	v_mad_u64_u32 v[0:1], s[0:1], v5, 12, v[0:1]
	v_mov_b32_e32 v13, v0
	global_load_dwordx3 v[8:10], v[12:13], off
	v_pk_mul_f32 v[0:1], s[12:13], v[6:7] op_sel_hi:[0,1]
	s_waitcnt vmcnt(0)
	v_pk_fma_f32 v[0:1], s[16:17], v[8:9], v[0:1] op_sel_hi:[0,1,1]
	v_fmac_f32_e32 v2, s16, v10
	global_store_dwordx3 v[12:13], v[0:2], off
	s_endpgm
	.section	.rodata,"a",@progbits
	.p2align	6, 0x0
	.amdhsa_kernel _ZN9rocsparseL18bsrxmvn_3x3_kernelILj256ELj4EfllfffEEvT3_20rocsparse_direction_NS_24const_host_device_scalarIT1_EES1_PKS1_PKT2_SA_S7_PKT4_PKT5_S5_PT6_21rocsparse_index_base_b
		.amdhsa_group_segment_fixed_size 0
		.amdhsa_private_segment_fixed_size 0
		.amdhsa_kernarg_size 104
		.amdhsa_user_sgpr_count 2
		.amdhsa_user_sgpr_dispatch_ptr 0
		.amdhsa_user_sgpr_queue_ptr 0
		.amdhsa_user_sgpr_kernarg_segment_ptr 1
		.amdhsa_user_sgpr_dispatch_id 0
		.amdhsa_user_sgpr_kernarg_preload_length 0
		.amdhsa_user_sgpr_kernarg_preload_offset 0
		.amdhsa_user_sgpr_private_segment_size 0
		.amdhsa_uses_dynamic_stack 0
		.amdhsa_enable_private_segment 0
		.amdhsa_system_sgpr_workgroup_id_x 1
		.amdhsa_system_sgpr_workgroup_id_y 0
		.amdhsa_system_sgpr_workgroup_id_z 0
		.amdhsa_system_sgpr_workgroup_info 0
		.amdhsa_system_vgpr_workitem_id 0
		.amdhsa_next_free_vgpr 34
		.amdhsa_next_free_sgpr 26
		.amdhsa_accum_offset 36
		.amdhsa_reserve_vcc 1
		.amdhsa_float_round_mode_32 0
		.amdhsa_float_round_mode_16_64 0
		.amdhsa_float_denorm_mode_32 3
		.amdhsa_float_denorm_mode_16_64 3
		.amdhsa_dx10_clamp 1
		.amdhsa_ieee_mode 1
		.amdhsa_fp16_overflow 0
		.amdhsa_tg_split 0
		.amdhsa_exception_fp_ieee_invalid_op 0
		.amdhsa_exception_fp_denorm_src 0
		.amdhsa_exception_fp_ieee_div_zero 0
		.amdhsa_exception_fp_ieee_overflow 0
		.amdhsa_exception_fp_ieee_underflow 0
		.amdhsa_exception_fp_ieee_inexact 0
		.amdhsa_exception_int_div_zero 0
	.end_amdhsa_kernel
	.section	.text._ZN9rocsparseL18bsrxmvn_3x3_kernelILj256ELj4EfllfffEEvT3_20rocsparse_direction_NS_24const_host_device_scalarIT1_EES1_PKS1_PKT2_SA_S7_PKT4_PKT5_S5_PT6_21rocsparse_index_base_b,"axG",@progbits,_ZN9rocsparseL18bsrxmvn_3x3_kernelILj256ELj4EfllfffEEvT3_20rocsparse_direction_NS_24const_host_device_scalarIT1_EES1_PKS1_PKT2_SA_S7_PKT4_PKT5_S5_PT6_21rocsparse_index_base_b,comdat
.Lfunc_end40:
	.size	_ZN9rocsparseL18bsrxmvn_3x3_kernelILj256ELj4EfllfffEEvT3_20rocsparse_direction_NS_24const_host_device_scalarIT1_EES1_PKS1_PKT2_SA_S7_PKT4_PKT5_S5_PT6_21rocsparse_index_base_b, .Lfunc_end40-_ZN9rocsparseL18bsrxmvn_3x3_kernelILj256ELj4EfllfffEEvT3_20rocsparse_direction_NS_24const_host_device_scalarIT1_EES1_PKS1_PKT2_SA_S7_PKT4_PKT5_S5_PT6_21rocsparse_index_base_b
                                        ; -- End function
	.section	.AMDGPU.csdata,"",@progbits
; Kernel info:
; codeLenInByte = 1228
; NumSgprs: 32
; NumVgprs: 34
; NumAgprs: 0
; TotalNumVgprs: 34
; ScratchSize: 0
; MemoryBound: 0
; FloatMode: 240
; IeeeMode: 1
; LDSByteSize: 0 bytes/workgroup (compile time only)
; SGPRBlocks: 3
; VGPRBlocks: 4
; NumSGPRsForWavesPerEU: 32
; NumVGPRsForWavesPerEU: 34
; AccumOffset: 36
; Occupancy: 8
; WaveLimiterHint : 1
; COMPUTE_PGM_RSRC2:SCRATCH_EN: 0
; COMPUTE_PGM_RSRC2:USER_SGPR: 2
; COMPUTE_PGM_RSRC2:TRAP_HANDLER: 0
; COMPUTE_PGM_RSRC2:TGID_X_EN: 1
; COMPUTE_PGM_RSRC2:TGID_Y_EN: 0
; COMPUTE_PGM_RSRC2:TGID_Z_EN: 0
; COMPUTE_PGM_RSRC2:TIDIG_COMP_CNT: 0
; COMPUTE_PGM_RSRC3_GFX90A:ACCUM_OFFSET: 8
; COMPUTE_PGM_RSRC3_GFX90A:TG_SPLIT: 0
	.section	.text._ZN9rocsparseL18bsrxmvn_3x3_kernelILj256ELj8EfllfffEEvT3_20rocsparse_direction_NS_24const_host_device_scalarIT1_EES1_PKS1_PKT2_SA_S7_PKT4_PKT5_S5_PT6_21rocsparse_index_base_b,"axG",@progbits,_ZN9rocsparseL18bsrxmvn_3x3_kernelILj256ELj8EfllfffEEvT3_20rocsparse_direction_NS_24const_host_device_scalarIT1_EES1_PKS1_PKT2_SA_S7_PKT4_PKT5_S5_PT6_21rocsparse_index_base_b,comdat
	.globl	_ZN9rocsparseL18bsrxmvn_3x3_kernelILj256ELj8EfllfffEEvT3_20rocsparse_direction_NS_24const_host_device_scalarIT1_EES1_PKS1_PKT2_SA_S7_PKT4_PKT5_S5_PT6_21rocsparse_index_base_b ; -- Begin function _ZN9rocsparseL18bsrxmvn_3x3_kernelILj256ELj8EfllfffEEvT3_20rocsparse_direction_NS_24const_host_device_scalarIT1_EES1_PKS1_PKT2_SA_S7_PKT4_PKT5_S5_PT6_21rocsparse_index_base_b
	.p2align	8
	.type	_ZN9rocsparseL18bsrxmvn_3x3_kernelILj256ELj8EfllfffEEvT3_20rocsparse_direction_NS_24const_host_device_scalarIT1_EES1_PKS1_PKT2_SA_S7_PKT4_PKT5_S5_PT6_21rocsparse_index_base_b,@function
_ZN9rocsparseL18bsrxmvn_3x3_kernelILj256ELj8EfllfffEEvT3_20rocsparse_direction_NS_24const_host_device_scalarIT1_EES1_PKS1_PKT2_SA_S7_PKT4_PKT5_S5_PT6_21rocsparse_index_base_b: ; @_ZN9rocsparseL18bsrxmvn_3x3_kernelILj256ELj8EfllfffEEvT3_20rocsparse_direction_NS_24const_host_device_scalarIT1_EES1_PKS1_PKT2_SA_S7_PKT4_PKT5_S5_PT6_21rocsparse_index_base_b
; %bb.0:
	s_load_dwordx2 s[18:19], s[0:1], 0x60
	s_load_dwordx4 s[12:15], s[0:1], 0x10
	s_load_dwordx2 s[16:17], s[0:1], 0x50
	s_waitcnt lgkmcnt(0)
	s_bitcmp1_b32 s19, 0
	s_cselect_b64 s[6:7], -1, 0
	s_xor_b64 s[4:5], s[6:7], -1
	s_and_b64 vcc, exec, s[6:7]
	s_cbranch_vccnz .LBB41_2
; %bb.1:
	s_load_dword s12, s[12:13], 0x0
.LBB41_2:
	s_andn2_b64 vcc, exec, s[4:5]
	s_cbranch_vccnz .LBB41_4
; %bb.3:
	s_load_dword s16, s[16:17], 0x0
.LBB41_4:
	s_waitcnt lgkmcnt(0)
	v_cmp_neq_f32_e64 s[4:5], s12, 0
	v_cmp_neq_f32_e64 s[6:7], s16, 1.0
	s_or_b64 s[4:5], s[4:5], s[6:7]
	s_andn2_b64 vcc, exec, s[4:5]
	s_cbranch_vccnz .LBB41_10
; %bb.5:
	s_load_dwordx2 s[4:5], s[0:1], 0x20
	v_lshrrev_b32_e32 v1, 3, v0
	v_lshl_or_b32 v2, s2, 5, v1
	v_mov_b32_e32 v3, 0
	s_mov_b64 s[2:3], 0
	s_waitcnt lgkmcnt(0)
	s_cmp_lg_u64 s[4:5], 0
	s_cbranch_scc0 .LBB41_11
; %bb.6:
	v_cmp_gt_i64_e32 vcc, s[14:15], v[2:3]
                                        ; implicit-def: $vgpr4_vgpr5
	s_and_saveexec_b64 s[6:7], vcc
	s_xor_b64 s[6:7], exec, s[6:7]
                                        ; implicit-def: $sgpr14_sgpr15
	s_cbranch_execz .LBB41_8
; %bb.7:
	v_lshl_add_u64 v[4:5], v[2:3], 3, s[4:5]
	global_load_dwordx2 v[4:5], v[4:5], off
	s_mov_b64 s[2:3], exec
	s_mov_b32 s15, 0
	s_waitcnt vmcnt(0)
	v_subrev_co_u32_e32 v4, vcc, s18, v4
	s_nop 1
	v_subbrev_co_u32_e32 v5, vcc, 0, v5, vcc
.LBB41_8:
	s_or_b64 exec, exec, s[6:7]
.LBB41_9:
	s_and_saveexec_b64 s[4:5], s[2:3]
	s_cbranch_execnz .LBB41_15
.LBB41_10:
	s_endpgm
.LBB41_11:
                                        ; implicit-def: $vgpr4_vgpr5
                                        ; implicit-def: $sgpr14_sgpr15
	s_cbranch_execz .LBB41_9
; %bb.12:
	s_load_dwordx2 s[4:5], s[0:1], 0x0
                                        ; implicit-def: $vgpr4_vgpr5
	s_waitcnt lgkmcnt(0)
	v_cmp_gt_i64_e32 vcc, s[4:5], v[2:3]
	s_and_saveexec_b64 s[4:5], vcc
                                        ; implicit-def: $sgpr14_sgpr15
; %bb.13:
	s_mov_b32 s15, 0
	s_or_b64 s[2:3], s[2:3], exec
	v_mov_b64_e32 v[4:5], v[2:3]
; %bb.14:
	s_or_b64 exec, exec, s[4:5]
	s_and_saveexec_b64 s[4:5], s[2:3]
	s_cbranch_execz .LBB41_10
.LBB41_15:
	s_load_dwordx8 s[4:11], s[0:1], 0x28
	v_lshlrev_b64 v[2:3], 3, v[4:5]
	v_mov_b32_e32 v10, s15
	v_and_b32_e32 v0, 7, v0
	v_mov_b32_e32 v1, 0
	s_waitcnt lgkmcnt(0)
	v_lshl_add_u64 v[6:7], s[4:5], 0, v[2:3]
	s_cmp_eq_u64 s[6:7], 0
	v_lshl_add_u64 v[2:3], s[6:7], 0, v[2:3]
	global_load_dwordx2 v[8:9], v[6:7], off
	v_lshl_add_u64 v[6:7], v[6:7], 0, 8
	s_cselect_b64 vcc, -1, 0
	v_cndmask_b32_e32 v3, v3, v7, vcc
	v_cndmask_b32_e32 v2, v2, v6, vcc
	global_load_dwordx2 v[6:7], v[2:3], off
	s_load_dword s2, s[0:1], 0x8
	s_load_dwordx2 s[4:5], s[0:1], 0x48
	s_waitcnt lgkmcnt(0)
	s_cmp_eq_u32 s2, 1
	s_waitcnt vmcnt(1)
	v_subrev_co_u32_e32 v2, vcc, s18, v8
	s_nop 1
	v_subb_co_u32_e32 v3, vcc, v9, v10, vcc
	v_lshl_add_u64 v[2:3], v[2:3], 0, v[0:1]
	s_waitcnt vmcnt(0)
	v_subrev_co_u32_e32 v6, vcc, s18, v6
	s_nop 1
	v_subb_co_u32_e32 v7, vcc, v7, v10, vcc
	v_mad_u64_u32 v[10:11], s[2:3], v2, 36, 0
	v_mov_b32_e32 v8, v11
	v_mad_u64_u32 v[8:9], s[2:3], v3, 36, v[8:9]
	v_mov_b32_e32 v11, v8
	v_cmp_lt_i64_e64 s[2:3], v[2:3], v[6:7]
	s_cbranch_scc1 .LBB41_21
; %bb.16:
	v_mov_b32_e32 v8, v1
	v_mov_b32_e32 v18, v1
	s_and_saveexec_b64 s[6:7], s[2:3]
	s_cbranch_execz .LBB41_20
; %bb.17:
	v_mov_b32_e32 v18, 0
	v_lshl_add_u64 v[12:13], s[10:11], 0, v[10:11]
	v_lshl_add_u64 v[14:15], v[2:3], 3, s[8:9]
	s_mov_b64 s[20:21], 0
	v_mov_b32_e32 v1, s15
	s_mov_b64 s[22:23], 0x120
	v_mov_b64_e32 v[16:17], v[2:3]
	v_mov_b32_e32 v8, 0
	v_mov_b32_e32 v9, v18
.LBB41_18:                              ; =>This Inner Loop Header: Depth=1
	global_load_dwordx2 v[28:29], v[14:15], off
	global_load_dwordx4 v[20:23], v[12:13], off offset:16
	global_load_dwordx4 v[24:27], v[12:13], off
	v_lshl_add_u64 v[16:17], v[16:17], 0, 8
	v_lshl_add_u64 v[14:15], v[14:15], 0, 64
	s_waitcnt vmcnt(2)
	v_subrev_co_u32_e32 v19, vcc, s18, v28
	v_mad_u64_u32 v[32:33], s[24:25], v19, 12, s[4:5]
	s_nop 0
	v_subb_co_u32_e32 v29, vcc, v29, v1, vcc
	v_mov_b32_e32 v28, v33
	v_mad_u64_u32 v[28:29], s[24:25], v29, 12, v[28:29]
	v_mov_b32_e32 v33, v28
	global_load_dwordx3 v[28:30], v[32:33], off
	global_load_dword v19, v[12:13], off offset:32
	s_waitcnt vmcnt(2)
	v_mov_b32_e32 v32, v24
	v_mov_b32_e32 v33, v27
	;; [unrolled: 1-line block ×4, first 2 shown]
	v_cmp_ge_i64_e32 vcc, v[16:17], v[6:7]
	v_mov_b32_e32 v27, v21
	v_lshl_add_u64 v[12:13], v[12:13], 0, s[22:23]
	s_or_b64 s[20:21], vcc, s[20:21]
	s_waitcnt vmcnt(1)
	v_pk_fma_f32 v[8:9], v[32:33], v[28:29], v[8:9] op_sel_hi:[1,0,1]
	v_fmac_f32_e32 v18, v22, v28
	v_mov_b32_e32 v20, v30
	v_pk_fma_f32 v[8:9], v[24:25], v[28:29], v[8:9] op_sel:[0,1,0]
	v_fmac_f32_e32 v18, v23, v29
	v_pk_fma_f32 v[8:9], v[26:27], v[20:21], v[8:9] op_sel_hi:[1,0,1]
	s_waitcnt vmcnt(0)
	v_fmac_f32_e32 v18, v19, v30
	s_andn2_b64 exec, exec, s[20:21]
	s_cbranch_execnz .LBB41_18
; %bb.19:
	s_or_b64 exec, exec, s[20:21]
	v_mov_b32_e32 v1, v9
.LBB41_20:
	s_or_b64 exec, exec, s[6:7]
	v_mov_b32_e32 v9, v1
	s_cbranch_execz .LBB41_22
	s_branch .LBB41_27
.LBB41_21:
                                        ; implicit-def: $vgpr9
                                        ; implicit-def: $vgpr18
.LBB41_22:
	v_mov_b32_e32 v9, 0
	v_mov_b32_e32 v8, v9
	v_mov_b32_e32 v18, v9
	s_and_saveexec_b64 s[6:7], s[2:3]
	s_cbranch_execz .LBB41_26
; %bb.23:
	v_lshl_add_u64 v[8:9], v[10:11], 0, s[10:11]
	v_mov_b32_e32 v18, 0
	v_lshl_add_u64 v[10:11], v[8:9], 0, 20
	v_lshl_add_u64 v[12:13], v[2:3], 3, s[8:9]
	s_mov_b64 s[2:3], 0
	v_mov_b32_e32 v1, s15
	s_mov_b64 s[8:9], 0x120
	v_mov_b32_e32 v8, 0
	v_mov_b32_e32 v9, v18
.LBB41_24:                              ; =>This Inner Loop Header: Depth=1
	global_load_dwordx2 v[24:25], v[12:13], off
	global_load_dwordx4 v[14:17], v[10:11], off offset:-4
	global_load_dwordx4 v[20:23], v[10:11], off offset:-20
	v_lshl_add_u64 v[2:3], v[2:3], 0, 8
	v_lshl_add_u64 v[12:13], v[12:13], 0, 64
	s_waitcnt vmcnt(2)
	v_subrev_co_u32_e32 v19, vcc, s18, v24
	v_mad_u64_u32 v[28:29], s[10:11], v19, 12, s[4:5]
	s_nop 0
	v_subb_co_u32_e32 v25, vcc, v25, v1, vcc
	v_mov_b32_e32 v24, v29
	v_mad_u64_u32 v[24:25], s[10:11], v25, 12, v[24:25]
	v_mov_b32_e32 v29, v24
	global_load_dwordx3 v[24:26], v[28:29], off
	global_load_dword v19, v[10:11], off offset:12
	s_waitcnt vmcnt(2)
	v_mov_b32_e32 v28, v23
	v_mov_b32_e32 v29, v14
	v_cmp_ge_i64_e32 vcc, v[2:3], v[6:7]
	v_lshl_add_u64 v[10:11], v[10:11], 0, s[8:9]
	s_or_b64 s[2:3], vcc, s[2:3]
	s_waitcnt vmcnt(1)
	v_fmac_f32_e32 v18, v22, v24
	v_pk_fma_f32 v[8:9], v[20:21], v[24:25], v[8:9] op_sel_hi:[1,0,1]
	v_mov_b32_e32 v14, v26
	v_fmac_f32_e32 v18, v15, v25
	v_pk_fma_f32 v[8:9], v[28:29], v[24:25], v[8:9] op_sel:[0,1,0]
	s_waitcnt vmcnt(0)
	v_fmac_f32_e32 v18, v19, v26
	v_pk_fma_f32 v[8:9], v[16:17], v[14:15], v[8:9] op_sel_hi:[1,0,1]
	s_andn2_b64 exec, exec, s[2:3]
	s_cbranch_execnz .LBB41_24
; %bb.25:
	s_or_b64 exec, exec, s[2:3]
.LBB41_26:
	s_or_b64 exec, exec, s[6:7]
.LBB41_27:
	v_mov_b32_dpp v2, v8 row_shr:1 row_mask:0xf bank_mask:0xf
	v_mov_b32_dpp v3, v9 row_shr:1 row_mask:0xf bank_mask:0xf
	;; [unrolled: 1-line block ×3, first 2 shown]
	v_pk_add_f32 v[2:3], v[8:9], v[2:3]
	v_add_f32_e32 v1, v18, v1
	v_cmp_eq_u32_e32 vcc, 7, v0
	v_mov_b32_dpp v6, v2 row_shr:2 row_mask:0xf bank_mask:0xf
	v_mov_b32_dpp v7, v3 row_shr:2 row_mask:0xf bank_mask:0xf
	;; [unrolled: 1-line block ×3, first 2 shown]
	v_pk_add_f32 v[2:3], v[2:3], v[6:7]
	v_add_f32_e32 v1, v1, v8
	s_nop 0
	v_mov_b32_dpp v6, v2 row_shr:4 row_mask:0xf bank_mask:0xe
	v_mov_b32_dpp v7, v3 row_shr:4 row_mask:0xf bank_mask:0xe
	;; [unrolled: 1-line block ×3, first 2 shown]
	s_and_b64 exec, exec, vcc
	s_cbranch_execz .LBB41_10
; %bb.28:
	s_load_dwordx2 s[0:1], s[0:1], 0x58
	v_add_f32_e32 v0, v1, v8
	v_cmp_eq_f32_e64 s[2:3], s16, 0
	v_pk_add_f32 v[6:7], v[2:3], v[6:7]
	s_and_b64 vcc, exec, s[2:3]
	v_mul_f32_e32 v2, s12, v0
	s_cbranch_vccz .LBB41_30
; %bb.29:
	s_waitcnt lgkmcnt(0)
	v_mad_u64_u32 v[8:9], s[2:3], v4, 12, s[0:1]
	v_mov_b32_e32 v0, v9
	v_mad_u64_u32 v[0:1], s[2:3], v5, 12, v[0:1]
	v_mov_b32_e32 v9, v0
	v_pk_mul_f32 v[0:1], s[12:13], v[6:7] op_sel_hi:[0,1]
	global_store_dwordx3 v[8:9], v[0:2], off
	s_cbranch_execnz .LBB41_10
	s_branch .LBB41_31
.LBB41_30:
.LBB41_31:
	s_waitcnt lgkmcnt(0)
	v_mad_u64_u32 v[12:13], s[0:1], v4, 12, s[0:1]
	v_mov_b32_e32 v0, v13
	v_mad_u64_u32 v[0:1], s[0:1], v5, 12, v[0:1]
	v_mov_b32_e32 v13, v0
	global_load_dwordx3 v[8:10], v[12:13], off
	v_pk_mul_f32 v[0:1], s[12:13], v[6:7] op_sel_hi:[0,1]
	s_waitcnt vmcnt(0)
	v_pk_fma_f32 v[0:1], s[16:17], v[8:9], v[0:1] op_sel_hi:[0,1,1]
	v_fmac_f32_e32 v2, s16, v10
	global_store_dwordx3 v[12:13], v[0:2], off
	s_endpgm
	.section	.rodata,"a",@progbits
	.p2align	6, 0x0
	.amdhsa_kernel _ZN9rocsparseL18bsrxmvn_3x3_kernelILj256ELj8EfllfffEEvT3_20rocsparse_direction_NS_24const_host_device_scalarIT1_EES1_PKS1_PKT2_SA_S7_PKT4_PKT5_S5_PT6_21rocsparse_index_base_b
		.amdhsa_group_segment_fixed_size 0
		.amdhsa_private_segment_fixed_size 0
		.amdhsa_kernarg_size 104
		.amdhsa_user_sgpr_count 2
		.amdhsa_user_sgpr_dispatch_ptr 0
		.amdhsa_user_sgpr_queue_ptr 0
		.amdhsa_user_sgpr_kernarg_segment_ptr 1
		.amdhsa_user_sgpr_dispatch_id 0
		.amdhsa_user_sgpr_kernarg_preload_length 0
		.amdhsa_user_sgpr_kernarg_preload_offset 0
		.amdhsa_user_sgpr_private_segment_size 0
		.amdhsa_uses_dynamic_stack 0
		.amdhsa_enable_private_segment 0
		.amdhsa_system_sgpr_workgroup_id_x 1
		.amdhsa_system_sgpr_workgroup_id_y 0
		.amdhsa_system_sgpr_workgroup_id_z 0
		.amdhsa_system_sgpr_workgroup_info 0
		.amdhsa_system_vgpr_workitem_id 0
		.amdhsa_next_free_vgpr 34
		.amdhsa_next_free_sgpr 26
		.amdhsa_accum_offset 36
		.amdhsa_reserve_vcc 1
		.amdhsa_float_round_mode_32 0
		.amdhsa_float_round_mode_16_64 0
		.amdhsa_float_denorm_mode_32 3
		.amdhsa_float_denorm_mode_16_64 3
		.amdhsa_dx10_clamp 1
		.amdhsa_ieee_mode 1
		.amdhsa_fp16_overflow 0
		.amdhsa_tg_split 0
		.amdhsa_exception_fp_ieee_invalid_op 0
		.amdhsa_exception_fp_denorm_src 0
		.amdhsa_exception_fp_ieee_div_zero 0
		.amdhsa_exception_fp_ieee_overflow 0
		.amdhsa_exception_fp_ieee_underflow 0
		.amdhsa_exception_fp_ieee_inexact 0
		.amdhsa_exception_int_div_zero 0
	.end_amdhsa_kernel
	.section	.text._ZN9rocsparseL18bsrxmvn_3x3_kernelILj256ELj8EfllfffEEvT3_20rocsparse_direction_NS_24const_host_device_scalarIT1_EES1_PKS1_PKT2_SA_S7_PKT4_PKT5_S5_PT6_21rocsparse_index_base_b,"axG",@progbits,_ZN9rocsparseL18bsrxmvn_3x3_kernelILj256ELj8EfllfffEEvT3_20rocsparse_direction_NS_24const_host_device_scalarIT1_EES1_PKS1_PKT2_SA_S7_PKT4_PKT5_S5_PT6_21rocsparse_index_base_b,comdat
.Lfunc_end41:
	.size	_ZN9rocsparseL18bsrxmvn_3x3_kernelILj256ELj8EfllfffEEvT3_20rocsparse_direction_NS_24const_host_device_scalarIT1_EES1_PKS1_PKT2_SA_S7_PKT4_PKT5_S5_PT6_21rocsparse_index_base_b, .Lfunc_end41-_ZN9rocsparseL18bsrxmvn_3x3_kernelILj256ELj8EfllfffEEvT3_20rocsparse_direction_NS_24const_host_device_scalarIT1_EES1_PKS1_PKT2_SA_S7_PKT4_PKT5_S5_PT6_21rocsparse_index_base_b
                                        ; -- End function
	.section	.AMDGPU.csdata,"",@progbits
; Kernel info:
; codeLenInByte = 1268
; NumSgprs: 32
; NumVgprs: 34
; NumAgprs: 0
; TotalNumVgprs: 34
; ScratchSize: 0
; MemoryBound: 0
; FloatMode: 240
; IeeeMode: 1
; LDSByteSize: 0 bytes/workgroup (compile time only)
; SGPRBlocks: 3
; VGPRBlocks: 4
; NumSGPRsForWavesPerEU: 32
; NumVGPRsForWavesPerEU: 34
; AccumOffset: 36
; Occupancy: 8
; WaveLimiterHint : 1
; COMPUTE_PGM_RSRC2:SCRATCH_EN: 0
; COMPUTE_PGM_RSRC2:USER_SGPR: 2
; COMPUTE_PGM_RSRC2:TRAP_HANDLER: 0
; COMPUTE_PGM_RSRC2:TGID_X_EN: 1
; COMPUTE_PGM_RSRC2:TGID_Y_EN: 0
; COMPUTE_PGM_RSRC2:TGID_Z_EN: 0
; COMPUTE_PGM_RSRC2:TIDIG_COMP_CNT: 0
; COMPUTE_PGM_RSRC3_GFX90A:ACCUM_OFFSET: 8
; COMPUTE_PGM_RSRC3_GFX90A:TG_SPLIT: 0
	.section	.text._ZN9rocsparseL18bsrxmvn_3x3_kernelILj256ELj16EfllfffEEvT3_20rocsparse_direction_NS_24const_host_device_scalarIT1_EES1_PKS1_PKT2_SA_S7_PKT4_PKT5_S5_PT6_21rocsparse_index_base_b,"axG",@progbits,_ZN9rocsparseL18bsrxmvn_3x3_kernelILj256ELj16EfllfffEEvT3_20rocsparse_direction_NS_24const_host_device_scalarIT1_EES1_PKS1_PKT2_SA_S7_PKT4_PKT5_S5_PT6_21rocsparse_index_base_b,comdat
	.globl	_ZN9rocsparseL18bsrxmvn_3x3_kernelILj256ELj16EfllfffEEvT3_20rocsparse_direction_NS_24const_host_device_scalarIT1_EES1_PKS1_PKT2_SA_S7_PKT4_PKT5_S5_PT6_21rocsparse_index_base_b ; -- Begin function _ZN9rocsparseL18bsrxmvn_3x3_kernelILj256ELj16EfllfffEEvT3_20rocsparse_direction_NS_24const_host_device_scalarIT1_EES1_PKS1_PKT2_SA_S7_PKT4_PKT5_S5_PT6_21rocsparse_index_base_b
	.p2align	8
	.type	_ZN9rocsparseL18bsrxmvn_3x3_kernelILj256ELj16EfllfffEEvT3_20rocsparse_direction_NS_24const_host_device_scalarIT1_EES1_PKS1_PKT2_SA_S7_PKT4_PKT5_S5_PT6_21rocsparse_index_base_b,@function
_ZN9rocsparseL18bsrxmvn_3x3_kernelILj256ELj16EfllfffEEvT3_20rocsparse_direction_NS_24const_host_device_scalarIT1_EES1_PKS1_PKT2_SA_S7_PKT4_PKT5_S5_PT6_21rocsparse_index_base_b: ; @_ZN9rocsparseL18bsrxmvn_3x3_kernelILj256ELj16EfllfffEEvT3_20rocsparse_direction_NS_24const_host_device_scalarIT1_EES1_PKS1_PKT2_SA_S7_PKT4_PKT5_S5_PT6_21rocsparse_index_base_b
; %bb.0:
	s_load_dwordx2 s[18:19], s[0:1], 0x60
	s_load_dwordx4 s[12:15], s[0:1], 0x10
	s_load_dwordx2 s[16:17], s[0:1], 0x50
	s_waitcnt lgkmcnt(0)
	s_bitcmp1_b32 s19, 0
	s_cselect_b64 s[6:7], -1, 0
	s_xor_b64 s[4:5], s[6:7], -1
	s_and_b64 vcc, exec, s[6:7]
	s_cbranch_vccnz .LBB42_2
; %bb.1:
	s_load_dword s12, s[12:13], 0x0
.LBB42_2:
	s_andn2_b64 vcc, exec, s[4:5]
	s_cbranch_vccnz .LBB42_4
; %bb.3:
	s_load_dword s16, s[16:17], 0x0
.LBB42_4:
	s_waitcnt lgkmcnt(0)
	v_cmp_neq_f32_e64 s[4:5], s12, 0
	v_cmp_neq_f32_e64 s[6:7], s16, 1.0
	s_or_b64 s[4:5], s[4:5], s[6:7]
	s_andn2_b64 vcc, exec, s[4:5]
	s_cbranch_vccnz .LBB42_10
; %bb.5:
	s_load_dwordx2 s[4:5], s[0:1], 0x20
	v_lshrrev_b32_e32 v1, 4, v0
	v_lshl_or_b32 v2, s2, 4, v1
	v_mov_b32_e32 v3, 0
	s_mov_b64 s[2:3], 0
	s_waitcnt lgkmcnt(0)
	s_cmp_lg_u64 s[4:5], 0
	s_cbranch_scc0 .LBB42_11
; %bb.6:
	v_cmp_gt_i64_e32 vcc, s[14:15], v[2:3]
                                        ; implicit-def: $vgpr4_vgpr5
	s_and_saveexec_b64 s[6:7], vcc
	s_xor_b64 s[6:7], exec, s[6:7]
                                        ; implicit-def: $sgpr14_sgpr15
	s_cbranch_execz .LBB42_8
; %bb.7:
	v_lshl_add_u64 v[4:5], v[2:3], 3, s[4:5]
	global_load_dwordx2 v[4:5], v[4:5], off
	s_mov_b64 s[2:3], exec
	s_mov_b32 s15, 0
	s_waitcnt vmcnt(0)
	v_subrev_co_u32_e32 v4, vcc, s18, v4
	s_nop 1
	v_subbrev_co_u32_e32 v5, vcc, 0, v5, vcc
.LBB42_8:
	s_or_b64 exec, exec, s[6:7]
.LBB42_9:
	s_and_saveexec_b64 s[4:5], s[2:3]
	s_cbranch_execnz .LBB42_15
.LBB42_10:
	s_endpgm
.LBB42_11:
                                        ; implicit-def: $vgpr4_vgpr5
                                        ; implicit-def: $sgpr14_sgpr15
	s_cbranch_execz .LBB42_9
; %bb.12:
	s_load_dwordx2 s[4:5], s[0:1], 0x0
                                        ; implicit-def: $vgpr4_vgpr5
	s_waitcnt lgkmcnt(0)
	v_cmp_gt_i64_e32 vcc, s[4:5], v[2:3]
	s_and_saveexec_b64 s[4:5], vcc
                                        ; implicit-def: $sgpr14_sgpr15
; %bb.13:
	s_mov_b32 s15, 0
	s_or_b64 s[2:3], s[2:3], exec
	v_mov_b64_e32 v[4:5], v[2:3]
; %bb.14:
	s_or_b64 exec, exec, s[4:5]
	s_and_saveexec_b64 s[4:5], s[2:3]
	s_cbranch_execz .LBB42_10
.LBB42_15:
	s_load_dwordx8 s[4:11], s[0:1], 0x28
	v_lshlrev_b64 v[2:3], 3, v[4:5]
	v_mov_b32_e32 v10, s15
	v_and_b32_e32 v0, 15, v0
	v_mov_b32_e32 v1, 0
	s_waitcnt lgkmcnt(0)
	v_lshl_add_u64 v[6:7], s[4:5], 0, v[2:3]
	s_cmp_eq_u64 s[6:7], 0
	v_lshl_add_u64 v[2:3], s[6:7], 0, v[2:3]
	global_load_dwordx2 v[8:9], v[6:7], off
	v_lshl_add_u64 v[6:7], v[6:7], 0, 8
	s_cselect_b64 vcc, -1, 0
	v_cndmask_b32_e32 v3, v3, v7, vcc
	v_cndmask_b32_e32 v2, v2, v6, vcc
	global_load_dwordx2 v[6:7], v[2:3], off
	s_load_dword s2, s[0:1], 0x8
	s_load_dwordx2 s[4:5], s[0:1], 0x48
	s_waitcnt lgkmcnt(0)
	s_cmp_eq_u32 s2, 1
	s_waitcnt vmcnt(1)
	v_subrev_co_u32_e32 v2, vcc, s18, v8
	s_nop 1
	v_subb_co_u32_e32 v3, vcc, v9, v10, vcc
	v_lshl_add_u64 v[2:3], v[2:3], 0, v[0:1]
	s_waitcnt vmcnt(0)
	v_subrev_co_u32_e32 v6, vcc, s18, v6
	s_nop 1
	v_subb_co_u32_e32 v7, vcc, v7, v10, vcc
	v_mad_u64_u32 v[10:11], s[2:3], v2, 36, 0
	v_mov_b32_e32 v8, v11
	v_mad_u64_u32 v[8:9], s[2:3], v3, 36, v[8:9]
	v_mov_b32_e32 v11, v8
	v_cmp_lt_i64_e64 s[2:3], v[2:3], v[6:7]
	s_cbranch_scc1 .LBB42_21
; %bb.16:
	v_mov_b32_e32 v8, v1
	v_mov_b32_e32 v18, v1
	s_and_saveexec_b64 s[6:7], s[2:3]
	s_cbranch_execz .LBB42_20
; %bb.17:
	v_mov_b32_e32 v18, 0
	v_lshl_add_u64 v[12:13], s[10:11], 0, v[10:11]
	v_lshl_add_u64 v[14:15], v[2:3], 3, s[8:9]
	s_mov_b64 s[20:21], 0
	v_mov_b32_e32 v1, s15
	s_mov_b64 s[22:23], 0x240
	s_mov_b64 s[24:25], 0x80
	v_mov_b64_e32 v[16:17], v[2:3]
	v_mov_b32_e32 v8, 0
	v_mov_b32_e32 v9, v18
.LBB42_18:                              ; =>This Inner Loop Header: Depth=1
	global_load_dwordx2 v[28:29], v[14:15], off
	global_load_dwordx4 v[20:23], v[12:13], off offset:16
	global_load_dwordx4 v[24:27], v[12:13], off
	v_lshl_add_u64 v[16:17], v[16:17], 0, 16
	v_lshl_add_u64 v[14:15], v[14:15], 0, s[24:25]
	s_waitcnt vmcnt(2)
	v_subrev_co_u32_e32 v19, vcc, s18, v28
	v_mad_u64_u32 v[32:33], s[26:27], v19, 12, s[4:5]
	s_nop 0
	v_subb_co_u32_e32 v29, vcc, v29, v1, vcc
	v_mov_b32_e32 v28, v33
	v_mad_u64_u32 v[28:29], s[26:27], v29, 12, v[28:29]
	v_mov_b32_e32 v33, v28
	global_load_dwordx3 v[28:30], v[32:33], off
	global_load_dword v19, v[12:13], off offset:32
	s_waitcnt vmcnt(2)
	v_mov_b32_e32 v32, v24
	v_mov_b32_e32 v33, v27
	;; [unrolled: 1-line block ×4, first 2 shown]
	v_cmp_ge_i64_e32 vcc, v[16:17], v[6:7]
	v_mov_b32_e32 v27, v21
	v_lshl_add_u64 v[12:13], v[12:13], 0, s[22:23]
	s_or_b64 s[20:21], vcc, s[20:21]
	s_waitcnt vmcnt(1)
	v_pk_fma_f32 v[8:9], v[32:33], v[28:29], v[8:9] op_sel_hi:[1,0,1]
	v_fmac_f32_e32 v18, v22, v28
	v_mov_b32_e32 v20, v30
	v_pk_fma_f32 v[8:9], v[24:25], v[28:29], v[8:9] op_sel:[0,1,0]
	v_fmac_f32_e32 v18, v23, v29
	v_pk_fma_f32 v[8:9], v[26:27], v[20:21], v[8:9] op_sel_hi:[1,0,1]
	s_waitcnt vmcnt(0)
	v_fmac_f32_e32 v18, v19, v30
	s_andn2_b64 exec, exec, s[20:21]
	s_cbranch_execnz .LBB42_18
; %bb.19:
	s_or_b64 exec, exec, s[20:21]
	v_mov_b32_e32 v1, v9
.LBB42_20:
	s_or_b64 exec, exec, s[6:7]
	v_mov_b32_e32 v9, v1
	s_cbranch_execz .LBB42_22
	s_branch .LBB42_27
.LBB42_21:
                                        ; implicit-def: $vgpr9
                                        ; implicit-def: $vgpr18
.LBB42_22:
	v_mov_b32_e32 v9, 0
	v_mov_b32_e32 v8, v9
	;; [unrolled: 1-line block ×3, first 2 shown]
	s_and_saveexec_b64 s[6:7], s[2:3]
	s_cbranch_execz .LBB42_26
; %bb.23:
	v_lshl_add_u64 v[8:9], v[10:11], 0, s[10:11]
	v_mov_b32_e32 v18, 0
	v_lshl_add_u64 v[10:11], v[8:9], 0, 20
	v_lshl_add_u64 v[12:13], v[2:3], 3, s[8:9]
	s_mov_b64 s[2:3], 0
	v_mov_b32_e32 v1, s15
	s_mov_b64 s[8:9], 0x240
	s_mov_b64 s[10:11], 0x80
	v_mov_b32_e32 v8, 0
	v_mov_b32_e32 v9, v18
.LBB42_24:                              ; =>This Inner Loop Header: Depth=1
	global_load_dwordx2 v[24:25], v[12:13], off
	global_load_dwordx4 v[14:17], v[10:11], off offset:-4
	global_load_dwordx4 v[20:23], v[10:11], off offset:-20
	v_lshl_add_u64 v[2:3], v[2:3], 0, 16
	v_lshl_add_u64 v[12:13], v[12:13], 0, s[10:11]
	s_waitcnt vmcnt(2)
	v_subrev_co_u32_e32 v19, vcc, s18, v24
	v_mad_u64_u32 v[28:29], s[14:15], v19, 12, s[4:5]
	s_nop 0
	v_subb_co_u32_e32 v25, vcc, v25, v1, vcc
	v_mov_b32_e32 v24, v29
	v_mad_u64_u32 v[24:25], s[14:15], v25, 12, v[24:25]
	v_mov_b32_e32 v29, v24
	global_load_dwordx3 v[24:26], v[28:29], off
	global_load_dword v19, v[10:11], off offset:12
	s_waitcnt vmcnt(2)
	v_mov_b32_e32 v28, v23
	v_mov_b32_e32 v29, v14
	v_cmp_ge_i64_e32 vcc, v[2:3], v[6:7]
	v_lshl_add_u64 v[10:11], v[10:11], 0, s[8:9]
	s_or_b64 s[2:3], vcc, s[2:3]
	s_waitcnt vmcnt(1)
	v_fmac_f32_e32 v18, v22, v24
	v_pk_fma_f32 v[8:9], v[20:21], v[24:25], v[8:9] op_sel_hi:[1,0,1]
	v_mov_b32_e32 v14, v26
	v_fmac_f32_e32 v18, v15, v25
	v_pk_fma_f32 v[8:9], v[28:29], v[24:25], v[8:9] op_sel:[0,1,0]
	s_waitcnt vmcnt(0)
	v_fmac_f32_e32 v18, v19, v26
	v_pk_fma_f32 v[8:9], v[16:17], v[14:15], v[8:9] op_sel_hi:[1,0,1]
	s_andn2_b64 exec, exec, s[2:3]
	s_cbranch_execnz .LBB42_24
; %bb.25:
	s_or_b64 exec, exec, s[2:3]
.LBB42_26:
	s_or_b64 exec, exec, s[6:7]
.LBB42_27:
	v_mov_b32_dpp v2, v8 row_shr:1 row_mask:0xf bank_mask:0xf
	v_mov_b32_dpp v3, v9 row_shr:1 row_mask:0xf bank_mask:0xf
	;; [unrolled: 1-line block ×3, first 2 shown]
	v_pk_add_f32 v[2:3], v[8:9], v[2:3]
	v_add_f32_e32 v1, v18, v1
	v_cmp_eq_u32_e32 vcc, 15, v0
	v_mov_b32_dpp v6, v2 row_shr:2 row_mask:0xf bank_mask:0xf
	v_mov_b32_dpp v7, v3 row_shr:2 row_mask:0xf bank_mask:0xf
	;; [unrolled: 1-line block ×3, first 2 shown]
	v_pk_add_f32 v[2:3], v[2:3], v[6:7]
	v_add_f32_e32 v1, v1, v8
	s_nop 0
	v_mov_b32_dpp v6, v2 row_shr:4 row_mask:0xf bank_mask:0xe
	v_mov_b32_dpp v7, v3 row_shr:4 row_mask:0xf bank_mask:0xe
	;; [unrolled: 1-line block ×3, first 2 shown]
	v_pk_add_f32 v[2:3], v[2:3], v[6:7]
	v_add_f32_e32 v1, v1, v8
	s_nop 0
	v_mov_b32_dpp v6, v2 row_shr:8 row_mask:0xf bank_mask:0xc
	v_mov_b32_dpp v7, v3 row_shr:8 row_mask:0xf bank_mask:0xc
	;; [unrolled: 1-line block ×3, first 2 shown]
	s_and_b64 exec, exec, vcc
	s_cbranch_execz .LBB42_10
; %bb.28:
	s_load_dwordx2 s[0:1], s[0:1], 0x58
	v_add_f32_e32 v0, v1, v8
	v_cmp_eq_f32_e64 s[2:3], s16, 0
	v_pk_add_f32 v[6:7], v[2:3], v[6:7]
	s_and_b64 vcc, exec, s[2:3]
	v_mul_f32_e32 v2, s12, v0
	s_cbranch_vccz .LBB42_30
; %bb.29:
	s_waitcnt lgkmcnt(0)
	v_mad_u64_u32 v[8:9], s[2:3], v4, 12, s[0:1]
	v_mov_b32_e32 v0, v9
	v_mad_u64_u32 v[0:1], s[2:3], v5, 12, v[0:1]
	v_mov_b32_e32 v9, v0
	v_pk_mul_f32 v[0:1], s[12:13], v[6:7] op_sel_hi:[0,1]
	global_store_dwordx3 v[8:9], v[0:2], off
	s_cbranch_execnz .LBB42_10
	s_branch .LBB42_31
.LBB42_30:
.LBB42_31:
	s_waitcnt lgkmcnt(0)
	v_mad_u64_u32 v[12:13], s[0:1], v4, 12, s[0:1]
	v_mov_b32_e32 v0, v13
	v_mad_u64_u32 v[0:1], s[0:1], v5, 12, v[0:1]
	v_mov_b32_e32 v13, v0
	global_load_dwordx3 v[8:10], v[12:13], off
	v_pk_mul_f32 v[0:1], s[12:13], v[6:7] op_sel_hi:[0,1]
	s_waitcnt vmcnt(0)
	v_pk_fma_f32 v[0:1], s[16:17], v[8:9], v[0:1] op_sel_hi:[0,1,1]
	v_fmac_f32_e32 v2, s16, v10
	global_store_dwordx3 v[12:13], v[0:2], off
	s_endpgm
	.section	.rodata,"a",@progbits
	.p2align	6, 0x0
	.amdhsa_kernel _ZN9rocsparseL18bsrxmvn_3x3_kernelILj256ELj16EfllfffEEvT3_20rocsparse_direction_NS_24const_host_device_scalarIT1_EES1_PKS1_PKT2_SA_S7_PKT4_PKT5_S5_PT6_21rocsparse_index_base_b
		.amdhsa_group_segment_fixed_size 0
		.amdhsa_private_segment_fixed_size 0
		.amdhsa_kernarg_size 104
		.amdhsa_user_sgpr_count 2
		.amdhsa_user_sgpr_dispatch_ptr 0
		.amdhsa_user_sgpr_queue_ptr 0
		.amdhsa_user_sgpr_kernarg_segment_ptr 1
		.amdhsa_user_sgpr_dispatch_id 0
		.amdhsa_user_sgpr_kernarg_preload_length 0
		.amdhsa_user_sgpr_kernarg_preload_offset 0
		.amdhsa_user_sgpr_private_segment_size 0
		.amdhsa_uses_dynamic_stack 0
		.amdhsa_enable_private_segment 0
		.amdhsa_system_sgpr_workgroup_id_x 1
		.amdhsa_system_sgpr_workgroup_id_y 0
		.amdhsa_system_sgpr_workgroup_id_z 0
		.amdhsa_system_sgpr_workgroup_info 0
		.amdhsa_system_vgpr_workitem_id 0
		.amdhsa_next_free_vgpr 34
		.amdhsa_next_free_sgpr 28
		.amdhsa_accum_offset 36
		.amdhsa_reserve_vcc 1
		.amdhsa_float_round_mode_32 0
		.amdhsa_float_round_mode_16_64 0
		.amdhsa_float_denorm_mode_32 3
		.amdhsa_float_denorm_mode_16_64 3
		.amdhsa_dx10_clamp 1
		.amdhsa_ieee_mode 1
		.amdhsa_fp16_overflow 0
		.amdhsa_tg_split 0
		.amdhsa_exception_fp_ieee_invalid_op 0
		.amdhsa_exception_fp_denorm_src 0
		.amdhsa_exception_fp_ieee_div_zero 0
		.amdhsa_exception_fp_ieee_overflow 0
		.amdhsa_exception_fp_ieee_underflow 0
		.amdhsa_exception_fp_ieee_inexact 0
		.amdhsa_exception_int_div_zero 0
	.end_amdhsa_kernel
	.section	.text._ZN9rocsparseL18bsrxmvn_3x3_kernelILj256ELj16EfllfffEEvT3_20rocsparse_direction_NS_24const_host_device_scalarIT1_EES1_PKS1_PKT2_SA_S7_PKT4_PKT5_S5_PT6_21rocsparse_index_base_b,"axG",@progbits,_ZN9rocsparseL18bsrxmvn_3x3_kernelILj256ELj16EfllfffEEvT3_20rocsparse_direction_NS_24const_host_device_scalarIT1_EES1_PKS1_PKT2_SA_S7_PKT4_PKT5_S5_PT6_21rocsparse_index_base_b,comdat
.Lfunc_end42:
	.size	_ZN9rocsparseL18bsrxmvn_3x3_kernelILj256ELj16EfllfffEEvT3_20rocsparse_direction_NS_24const_host_device_scalarIT1_EES1_PKS1_PKT2_SA_S7_PKT4_PKT5_S5_PT6_21rocsparse_index_base_b, .Lfunc_end42-_ZN9rocsparseL18bsrxmvn_3x3_kernelILj256ELj16EfllfffEEvT3_20rocsparse_direction_NS_24const_host_device_scalarIT1_EES1_PKS1_PKT2_SA_S7_PKT4_PKT5_S5_PT6_21rocsparse_index_base_b
                                        ; -- End function
	.section	.AMDGPU.csdata,"",@progbits
; Kernel info:
; codeLenInByte = 1324
; NumSgprs: 34
; NumVgprs: 34
; NumAgprs: 0
; TotalNumVgprs: 34
; ScratchSize: 0
; MemoryBound: 0
; FloatMode: 240
; IeeeMode: 1
; LDSByteSize: 0 bytes/workgroup (compile time only)
; SGPRBlocks: 4
; VGPRBlocks: 4
; NumSGPRsForWavesPerEU: 34
; NumVGPRsForWavesPerEU: 34
; AccumOffset: 36
; Occupancy: 8
; WaveLimiterHint : 1
; COMPUTE_PGM_RSRC2:SCRATCH_EN: 0
; COMPUTE_PGM_RSRC2:USER_SGPR: 2
; COMPUTE_PGM_RSRC2:TRAP_HANDLER: 0
; COMPUTE_PGM_RSRC2:TGID_X_EN: 1
; COMPUTE_PGM_RSRC2:TGID_Y_EN: 0
; COMPUTE_PGM_RSRC2:TGID_Z_EN: 0
; COMPUTE_PGM_RSRC2:TIDIG_COMP_CNT: 0
; COMPUTE_PGM_RSRC3_GFX90A:ACCUM_OFFSET: 8
; COMPUTE_PGM_RSRC3_GFX90A:TG_SPLIT: 0
	.section	.text._ZN9rocsparseL18bsrxmvn_3x3_kernelILj256ELj32EfllfffEEvT3_20rocsparse_direction_NS_24const_host_device_scalarIT1_EES1_PKS1_PKT2_SA_S7_PKT4_PKT5_S5_PT6_21rocsparse_index_base_b,"axG",@progbits,_ZN9rocsparseL18bsrxmvn_3x3_kernelILj256ELj32EfllfffEEvT3_20rocsparse_direction_NS_24const_host_device_scalarIT1_EES1_PKS1_PKT2_SA_S7_PKT4_PKT5_S5_PT6_21rocsparse_index_base_b,comdat
	.globl	_ZN9rocsparseL18bsrxmvn_3x3_kernelILj256ELj32EfllfffEEvT3_20rocsparse_direction_NS_24const_host_device_scalarIT1_EES1_PKS1_PKT2_SA_S7_PKT4_PKT5_S5_PT6_21rocsparse_index_base_b ; -- Begin function _ZN9rocsparseL18bsrxmvn_3x3_kernelILj256ELj32EfllfffEEvT3_20rocsparse_direction_NS_24const_host_device_scalarIT1_EES1_PKS1_PKT2_SA_S7_PKT4_PKT5_S5_PT6_21rocsparse_index_base_b
	.p2align	8
	.type	_ZN9rocsparseL18bsrxmvn_3x3_kernelILj256ELj32EfllfffEEvT3_20rocsparse_direction_NS_24const_host_device_scalarIT1_EES1_PKS1_PKT2_SA_S7_PKT4_PKT5_S5_PT6_21rocsparse_index_base_b,@function
_ZN9rocsparseL18bsrxmvn_3x3_kernelILj256ELj32EfllfffEEvT3_20rocsparse_direction_NS_24const_host_device_scalarIT1_EES1_PKS1_PKT2_SA_S7_PKT4_PKT5_S5_PT6_21rocsparse_index_base_b: ; @_ZN9rocsparseL18bsrxmvn_3x3_kernelILj256ELj32EfllfffEEvT3_20rocsparse_direction_NS_24const_host_device_scalarIT1_EES1_PKS1_PKT2_SA_S7_PKT4_PKT5_S5_PT6_21rocsparse_index_base_b
; %bb.0:
	s_load_dwordx2 s[18:19], s[0:1], 0x60
	s_load_dwordx4 s[12:15], s[0:1], 0x10
	s_load_dwordx2 s[16:17], s[0:1], 0x50
	s_waitcnt lgkmcnt(0)
	s_bitcmp1_b32 s19, 0
	s_cselect_b64 s[6:7], -1, 0
	s_xor_b64 s[4:5], s[6:7], -1
	s_and_b64 vcc, exec, s[6:7]
	s_cbranch_vccnz .LBB43_2
; %bb.1:
	s_load_dword s12, s[12:13], 0x0
.LBB43_2:
	s_andn2_b64 vcc, exec, s[4:5]
	s_cbranch_vccnz .LBB43_4
; %bb.3:
	s_load_dword s16, s[16:17], 0x0
.LBB43_4:
	s_waitcnt lgkmcnt(0)
	v_cmp_neq_f32_e64 s[4:5], s12, 0
	v_cmp_neq_f32_e64 s[6:7], s16, 1.0
	s_or_b64 s[4:5], s[4:5], s[6:7]
	s_andn2_b64 vcc, exec, s[4:5]
	s_cbranch_vccnz .LBB43_10
; %bb.5:
	s_load_dwordx2 s[4:5], s[0:1], 0x20
	v_lshrrev_b32_e32 v1, 5, v0
	v_lshl_or_b32 v2, s2, 3, v1
	v_mov_b32_e32 v3, 0
	s_mov_b64 s[2:3], 0
	s_waitcnt lgkmcnt(0)
	s_cmp_lg_u64 s[4:5], 0
	s_cbranch_scc0 .LBB43_11
; %bb.6:
	v_cmp_gt_i64_e32 vcc, s[14:15], v[2:3]
                                        ; implicit-def: $vgpr4_vgpr5
	s_and_saveexec_b64 s[6:7], vcc
	s_xor_b64 s[6:7], exec, s[6:7]
                                        ; implicit-def: $sgpr14_sgpr15
	s_cbranch_execz .LBB43_8
; %bb.7:
	v_lshl_add_u64 v[4:5], v[2:3], 3, s[4:5]
	global_load_dwordx2 v[4:5], v[4:5], off
	s_mov_b64 s[2:3], exec
	s_mov_b32 s15, 0
	s_waitcnt vmcnt(0)
	v_subrev_co_u32_e32 v4, vcc, s18, v4
	s_nop 1
	v_subbrev_co_u32_e32 v5, vcc, 0, v5, vcc
.LBB43_8:
	s_or_b64 exec, exec, s[6:7]
.LBB43_9:
	s_and_saveexec_b64 s[4:5], s[2:3]
	s_cbranch_execnz .LBB43_15
.LBB43_10:
	s_endpgm
.LBB43_11:
                                        ; implicit-def: $vgpr4_vgpr5
                                        ; implicit-def: $sgpr14_sgpr15
	s_cbranch_execz .LBB43_9
; %bb.12:
	s_load_dwordx2 s[4:5], s[0:1], 0x0
                                        ; implicit-def: $vgpr4_vgpr5
	s_waitcnt lgkmcnt(0)
	v_cmp_gt_i64_e32 vcc, s[4:5], v[2:3]
	s_and_saveexec_b64 s[4:5], vcc
                                        ; implicit-def: $sgpr14_sgpr15
; %bb.13:
	s_mov_b32 s15, 0
	s_or_b64 s[2:3], s[2:3], exec
	v_mov_b64_e32 v[4:5], v[2:3]
; %bb.14:
	s_or_b64 exec, exec, s[4:5]
	s_and_saveexec_b64 s[4:5], s[2:3]
	s_cbranch_execz .LBB43_10
.LBB43_15:
	s_load_dwordx8 s[4:11], s[0:1], 0x28
	v_lshlrev_b64 v[2:3], 3, v[4:5]
	v_mov_b32_e32 v10, s15
	v_and_b32_e32 v0, 31, v0
	v_mov_b32_e32 v1, 0
	s_waitcnt lgkmcnt(0)
	v_lshl_add_u64 v[6:7], s[4:5], 0, v[2:3]
	s_cmp_eq_u64 s[6:7], 0
	global_load_dwordx2 v[8:9], v[6:7], off
	v_lshl_add_u64 v[2:3], s[6:7], 0, v[2:3]
	v_lshl_add_u64 v[6:7], v[6:7], 0, 8
	s_cselect_b64 vcc, -1, 0
	v_cndmask_b32_e32 v3, v3, v7, vcc
	v_cndmask_b32_e32 v2, v2, v6, vcc
	global_load_dwordx2 v[6:7], v[2:3], off
	s_load_dword s2, s[0:1], 0x8
	s_load_dwordx2 s[4:5], s[0:1], 0x48
	s_waitcnt lgkmcnt(0)
	s_cmp_eq_u32 s2, 1
	s_waitcnt vmcnt(1)
	v_subrev_co_u32_e32 v2, vcc, s18, v8
	s_nop 1
	v_subb_co_u32_e32 v3, vcc, v9, v10, vcc
	v_lshl_add_u64 v[2:3], v[2:3], 0, v[0:1]
	v_mad_u64_u32 v[8:9], s[2:3], v2, 36, s[10:11]
	s_waitcnt vmcnt(0)
	v_subrev_co_u32_e32 v6, vcc, s18, v6
	s_nop 1
	v_subb_co_u32_e32 v7, vcc, v7, v10, vcc
	v_mov_b32_e32 v10, v9
	v_mad_u64_u32 v[10:11], s[2:3], v3, 36, v[10:11]
	v_mov_b32_e32 v9, v10
	v_cmp_lt_i64_e64 s[2:3], v[2:3], v[6:7]
	s_cbranch_scc1 .LBB43_21
; %bb.16:
	v_mov_b32_e32 v10, v1
	v_mov_b32_e32 v18, v1
	s_and_saveexec_b64 s[6:7], s[2:3]
	s_cbranch_execz .LBB43_20
; %bb.17:
	v_mov_b32_e32 v18, 0
	v_lshl_add_u64 v[12:13], v[2:3], 3, s[8:9]
	s_mov_b64 s[10:11], 0
	v_mov_b32_e32 v1, s15
	s_mov_b64 s[20:21], 0x480
	s_mov_b64 s[22:23], 0x100
	v_mov_b64_e32 v[14:15], v[8:9]
	v_mov_b64_e32 v[16:17], v[2:3]
	v_mov_b32_e32 v11, 0
	v_mov_b32_e32 v10, v18
.LBB43_18:                              ; =>This Inner Loop Header: Depth=1
	global_load_dwordx2 v[28:29], v[12:13], off
	global_load_dwordx4 v[20:23], v[14:15], off offset:16
	global_load_dwordx4 v[24:27], v[14:15], off
	v_lshl_add_u64 v[16:17], v[16:17], 0, 32
	v_lshl_add_u64 v[12:13], v[12:13], 0, s[22:23]
	s_waitcnt vmcnt(2)
	v_subrev_co_u32_e32 v19, vcc, s18, v28
	v_mad_u64_u32 v[32:33], s[24:25], v19, 12, s[4:5]
	s_nop 0
	v_subb_co_u32_e32 v29, vcc, v29, v1, vcc
	v_mov_b32_e32 v28, v33
	v_mad_u64_u32 v[28:29], s[24:25], v29, 12, v[28:29]
	v_mov_b32_e32 v33, v28
	global_load_dwordx3 v[28:30], v[32:33], off
	global_load_dword v19, v[14:15], off offset:32
	s_waitcnt vmcnt(2)
	v_mov_b32_e32 v32, v24
	v_mov_b32_e32 v33, v27
	v_mov_b32_e32 v24, v25
	v_mov_b32_e32 v25, v20
	v_cmp_ge_i64_e32 vcc, v[16:17], v[6:7]
	v_mov_b32_e32 v27, v21
	v_lshl_add_u64 v[14:15], v[14:15], 0, s[20:21]
	s_or_b64 s[10:11], vcc, s[10:11]
	s_waitcnt vmcnt(1)
	v_pk_fma_f32 v[10:11], v[32:33], v[28:29], v[10:11] op_sel_hi:[1,0,1]
	v_fmac_f32_e32 v18, v22, v28
	v_mov_b32_e32 v20, v30
	v_pk_fma_f32 v[10:11], v[24:25], v[28:29], v[10:11] op_sel:[0,1,0]
	v_fmac_f32_e32 v18, v23, v29
	v_pk_fma_f32 v[10:11], v[26:27], v[20:21], v[10:11] op_sel_hi:[1,0,1]
	s_waitcnt vmcnt(0)
	v_fmac_f32_e32 v18, v19, v30
	s_andn2_b64 exec, exec, s[10:11]
	s_cbranch_execnz .LBB43_18
; %bb.19:
	s_or_b64 exec, exec, s[10:11]
	v_mov_b32_e32 v1, v11
.LBB43_20:
	s_or_b64 exec, exec, s[6:7]
	v_mov_b32_e32 v11, v1
	s_cbranch_execz .LBB43_22
	s_branch .LBB43_27
.LBB43_21:
                                        ; implicit-def: $vgpr11
                                        ; implicit-def: $vgpr18
.LBB43_22:
	v_mov_b32_e32 v11, 0
	v_mov_b32_e32 v10, v11
	;; [unrolled: 1-line block ×3, first 2 shown]
	s_and_saveexec_b64 s[6:7], s[2:3]
	s_cbranch_execz .LBB43_26
; %bb.23:
	v_mov_b32_e32 v18, 0
	v_lshl_add_u64 v[12:13], v[2:3], 3, s[8:9]
	s_mov_b64 s[2:3], 0
	v_mov_b32_e32 v1, s15
	s_mov_b64 s[8:9], 0x480
	s_mov_b64 s[10:11], 0x100
	v_mov_b32_e32 v11, 0
	v_mov_b32_e32 v10, v18
.LBB43_24:                              ; =>This Inner Loop Header: Depth=1
	global_load_dwordx2 v[24:25], v[12:13], off
	global_load_dwordx4 v[14:17], v[8:9], off offset:16
	global_load_dwordx4 v[20:23], v[8:9], off
	v_lshl_add_u64 v[2:3], v[2:3], 0, 32
	v_lshl_add_u64 v[12:13], v[12:13], 0, s[10:11]
	s_waitcnt vmcnt(2)
	v_subrev_co_u32_e32 v19, vcc, s18, v24
	v_mad_u64_u32 v[28:29], s[14:15], v19, 12, s[4:5]
	s_nop 0
	v_subb_co_u32_e32 v25, vcc, v25, v1, vcc
	v_mov_b32_e32 v24, v29
	v_mad_u64_u32 v[24:25], s[14:15], v25, 12, v[24:25]
	v_mov_b32_e32 v29, v24
	global_load_dwordx3 v[24:26], v[28:29], off
	global_load_dword v19, v[8:9], off offset:32
	s_waitcnt vmcnt(2)
	v_mov_b32_e32 v28, v23
	v_mov_b32_e32 v29, v14
	v_cmp_ge_i64_e32 vcc, v[2:3], v[6:7]
	v_lshl_add_u64 v[8:9], v[8:9], 0, s[8:9]
	s_or_b64 s[2:3], vcc, s[2:3]
	s_waitcnt vmcnt(1)
	v_fmac_f32_e32 v18, v22, v24
	v_pk_fma_f32 v[10:11], v[20:21], v[24:25], v[10:11] op_sel_hi:[1,0,1]
	v_mov_b32_e32 v14, v26
	v_fmac_f32_e32 v18, v15, v25
	v_pk_fma_f32 v[10:11], v[28:29], v[24:25], v[10:11] op_sel:[0,1,0]
	s_waitcnt vmcnt(0)
	v_fmac_f32_e32 v18, v19, v26
	v_pk_fma_f32 v[10:11], v[16:17], v[14:15], v[10:11] op_sel_hi:[1,0,1]
	s_andn2_b64 exec, exec, s[2:3]
	s_cbranch_execnz .LBB43_24
; %bb.25:
	s_or_b64 exec, exec, s[2:3]
.LBB43_26:
	s_or_b64 exec, exec, s[6:7]
.LBB43_27:
	v_mov_b32_dpp v2, v10 row_shr:1 row_mask:0xf bank_mask:0xf
	v_mov_b32_dpp v3, v11 row_shr:1 row_mask:0xf bank_mask:0xf
	;; [unrolled: 1-line block ×3, first 2 shown]
	v_pk_add_f32 v[2:3], v[10:11], v[2:3]
	v_add_f32_e32 v1, v18, v1
	v_cmp_eq_u32_e32 vcc, 31, v0
	v_mov_b32_dpp v6, v2 row_shr:2 row_mask:0xf bank_mask:0xf
	v_mov_b32_dpp v7, v3 row_shr:2 row_mask:0xf bank_mask:0xf
	v_mov_b32_dpp v8, v1 row_shr:2 row_mask:0xf bank_mask:0xf
	v_pk_add_f32 v[2:3], v[2:3], v[6:7]
	v_add_f32_e32 v1, v1, v8
	s_nop 0
	v_mov_b32_dpp v6, v2 row_shr:4 row_mask:0xf bank_mask:0xe
	v_mov_b32_dpp v7, v3 row_shr:4 row_mask:0xf bank_mask:0xe
	v_mov_b32_dpp v8, v1 row_shr:4 row_mask:0xf bank_mask:0xe
	v_pk_add_f32 v[2:3], v[2:3], v[6:7]
	v_add_f32_e32 v1, v1, v8
	s_nop 0
	;; [unrolled: 6-line block ×3, first 2 shown]
	v_mov_b32_dpp v6, v2 row_bcast:15 row_mask:0xa bank_mask:0xf
	v_mov_b32_dpp v7, v3 row_bcast:15 row_mask:0xa bank_mask:0xf
	;; [unrolled: 1-line block ×3, first 2 shown]
	s_and_b64 exec, exec, vcc
	s_cbranch_execz .LBB43_10
; %bb.28:
	s_load_dwordx2 s[0:1], s[0:1], 0x58
	v_add_f32_e32 v0, v1, v8
	v_cmp_eq_f32_e64 s[2:3], s16, 0
	v_pk_add_f32 v[6:7], v[2:3], v[6:7]
	s_and_b64 vcc, exec, s[2:3]
	v_mul_f32_e32 v2, s12, v0
	s_cbranch_vccz .LBB43_30
; %bb.29:
	s_waitcnt lgkmcnt(0)
	v_mad_u64_u32 v[8:9], s[2:3], v4, 12, s[0:1]
	v_mov_b32_e32 v0, v9
	v_mad_u64_u32 v[0:1], s[2:3], v5, 12, v[0:1]
	v_mov_b32_e32 v9, v0
	v_pk_mul_f32 v[0:1], s[12:13], v[6:7] op_sel_hi:[0,1]
	global_store_dwordx3 v[8:9], v[0:2], off
	s_cbranch_execnz .LBB43_10
	s_branch .LBB43_31
.LBB43_30:
.LBB43_31:
	s_waitcnt lgkmcnt(0)
	v_mad_u64_u32 v[12:13], s[0:1], v4, 12, s[0:1]
	v_mov_b32_e32 v0, v13
	v_mad_u64_u32 v[0:1], s[0:1], v5, 12, v[0:1]
	v_mov_b32_e32 v13, v0
	global_load_dwordx3 v[8:10], v[12:13], off
	v_pk_mul_f32 v[0:1], s[12:13], v[6:7] op_sel_hi:[0,1]
	s_waitcnt vmcnt(0)
	v_pk_fma_f32 v[0:1], s[16:17], v[8:9], v[0:1] op_sel_hi:[0,1,1]
	v_fmac_f32_e32 v2, s16, v10
	global_store_dwordx3 v[12:13], v[0:2], off
	s_endpgm
	.section	.rodata,"a",@progbits
	.p2align	6, 0x0
	.amdhsa_kernel _ZN9rocsparseL18bsrxmvn_3x3_kernelILj256ELj32EfllfffEEvT3_20rocsparse_direction_NS_24const_host_device_scalarIT1_EES1_PKS1_PKT2_SA_S7_PKT4_PKT5_S5_PT6_21rocsparse_index_base_b
		.amdhsa_group_segment_fixed_size 0
		.amdhsa_private_segment_fixed_size 0
		.amdhsa_kernarg_size 104
		.amdhsa_user_sgpr_count 2
		.amdhsa_user_sgpr_dispatch_ptr 0
		.amdhsa_user_sgpr_queue_ptr 0
		.amdhsa_user_sgpr_kernarg_segment_ptr 1
		.amdhsa_user_sgpr_dispatch_id 0
		.amdhsa_user_sgpr_kernarg_preload_length 0
		.amdhsa_user_sgpr_kernarg_preload_offset 0
		.amdhsa_user_sgpr_private_segment_size 0
		.amdhsa_uses_dynamic_stack 0
		.amdhsa_enable_private_segment 0
		.amdhsa_system_sgpr_workgroup_id_x 1
		.amdhsa_system_sgpr_workgroup_id_y 0
		.amdhsa_system_sgpr_workgroup_id_z 0
		.amdhsa_system_sgpr_workgroup_info 0
		.amdhsa_system_vgpr_workitem_id 0
		.amdhsa_next_free_vgpr 34
		.amdhsa_next_free_sgpr 26
		.amdhsa_accum_offset 36
		.amdhsa_reserve_vcc 1
		.amdhsa_float_round_mode_32 0
		.amdhsa_float_round_mode_16_64 0
		.amdhsa_float_denorm_mode_32 3
		.amdhsa_float_denorm_mode_16_64 3
		.amdhsa_dx10_clamp 1
		.amdhsa_ieee_mode 1
		.amdhsa_fp16_overflow 0
		.amdhsa_tg_split 0
		.amdhsa_exception_fp_ieee_invalid_op 0
		.amdhsa_exception_fp_denorm_src 0
		.amdhsa_exception_fp_ieee_div_zero 0
		.amdhsa_exception_fp_ieee_overflow 0
		.amdhsa_exception_fp_ieee_underflow 0
		.amdhsa_exception_fp_ieee_inexact 0
		.amdhsa_exception_int_div_zero 0
	.end_amdhsa_kernel
	.section	.text._ZN9rocsparseL18bsrxmvn_3x3_kernelILj256ELj32EfllfffEEvT3_20rocsparse_direction_NS_24const_host_device_scalarIT1_EES1_PKS1_PKT2_SA_S7_PKT4_PKT5_S5_PT6_21rocsparse_index_base_b,"axG",@progbits,_ZN9rocsparseL18bsrxmvn_3x3_kernelILj256ELj32EfllfffEEvT3_20rocsparse_direction_NS_24const_host_device_scalarIT1_EES1_PKS1_PKT2_SA_S7_PKT4_PKT5_S5_PT6_21rocsparse_index_base_b,comdat
.Lfunc_end43:
	.size	_ZN9rocsparseL18bsrxmvn_3x3_kernelILj256ELj32EfllfffEEvT3_20rocsparse_direction_NS_24const_host_device_scalarIT1_EES1_PKS1_PKT2_SA_S7_PKT4_PKT5_S5_PT6_21rocsparse_index_base_b, .Lfunc_end43-_ZN9rocsparseL18bsrxmvn_3x3_kernelILj256ELj32EfllfffEEvT3_20rocsparse_direction_NS_24const_host_device_scalarIT1_EES1_PKS1_PKT2_SA_S7_PKT4_PKT5_S5_PT6_21rocsparse_index_base_b
                                        ; -- End function
	.section	.AMDGPU.csdata,"",@progbits
; Kernel info:
; codeLenInByte = 1344
; NumSgprs: 32
; NumVgprs: 34
; NumAgprs: 0
; TotalNumVgprs: 34
; ScratchSize: 0
; MemoryBound: 0
; FloatMode: 240
; IeeeMode: 1
; LDSByteSize: 0 bytes/workgroup (compile time only)
; SGPRBlocks: 3
; VGPRBlocks: 4
; NumSGPRsForWavesPerEU: 32
; NumVGPRsForWavesPerEU: 34
; AccumOffset: 36
; Occupancy: 8
; WaveLimiterHint : 1
; COMPUTE_PGM_RSRC2:SCRATCH_EN: 0
; COMPUTE_PGM_RSRC2:USER_SGPR: 2
; COMPUTE_PGM_RSRC2:TRAP_HANDLER: 0
; COMPUTE_PGM_RSRC2:TGID_X_EN: 1
; COMPUTE_PGM_RSRC2:TGID_Y_EN: 0
; COMPUTE_PGM_RSRC2:TGID_Z_EN: 0
; COMPUTE_PGM_RSRC2:TIDIG_COMP_CNT: 0
; COMPUTE_PGM_RSRC3_GFX90A:ACCUM_OFFSET: 8
; COMPUTE_PGM_RSRC3_GFX90A:TG_SPLIT: 0
	.section	.text._ZN9rocsparseL18bsrxmvn_3x3_kernelILj256ELj64EfllfffEEvT3_20rocsparse_direction_NS_24const_host_device_scalarIT1_EES1_PKS1_PKT2_SA_S7_PKT4_PKT5_S5_PT6_21rocsparse_index_base_b,"axG",@progbits,_ZN9rocsparseL18bsrxmvn_3x3_kernelILj256ELj64EfllfffEEvT3_20rocsparse_direction_NS_24const_host_device_scalarIT1_EES1_PKS1_PKT2_SA_S7_PKT4_PKT5_S5_PT6_21rocsparse_index_base_b,comdat
	.globl	_ZN9rocsparseL18bsrxmvn_3x3_kernelILj256ELj64EfllfffEEvT3_20rocsparse_direction_NS_24const_host_device_scalarIT1_EES1_PKS1_PKT2_SA_S7_PKT4_PKT5_S5_PT6_21rocsparse_index_base_b ; -- Begin function _ZN9rocsparseL18bsrxmvn_3x3_kernelILj256ELj64EfllfffEEvT3_20rocsparse_direction_NS_24const_host_device_scalarIT1_EES1_PKS1_PKT2_SA_S7_PKT4_PKT5_S5_PT6_21rocsparse_index_base_b
	.p2align	8
	.type	_ZN9rocsparseL18bsrxmvn_3x3_kernelILj256ELj64EfllfffEEvT3_20rocsparse_direction_NS_24const_host_device_scalarIT1_EES1_PKS1_PKT2_SA_S7_PKT4_PKT5_S5_PT6_21rocsparse_index_base_b,@function
_ZN9rocsparseL18bsrxmvn_3x3_kernelILj256ELj64EfllfffEEvT3_20rocsparse_direction_NS_24const_host_device_scalarIT1_EES1_PKS1_PKT2_SA_S7_PKT4_PKT5_S5_PT6_21rocsparse_index_base_b: ; @_ZN9rocsparseL18bsrxmvn_3x3_kernelILj256ELj64EfllfffEEvT3_20rocsparse_direction_NS_24const_host_device_scalarIT1_EES1_PKS1_PKT2_SA_S7_PKT4_PKT5_S5_PT6_21rocsparse_index_base_b
; %bb.0:
	s_load_dwordx2 s[18:19], s[0:1], 0x60
	s_load_dwordx4 s[12:15], s[0:1], 0x10
	s_load_dwordx2 s[16:17], s[0:1], 0x50
	s_waitcnt lgkmcnt(0)
	s_bitcmp1_b32 s19, 0
	s_cselect_b64 s[6:7], -1, 0
	s_xor_b64 s[4:5], s[6:7], -1
	s_and_b64 vcc, exec, s[6:7]
	s_cbranch_vccnz .LBB44_2
; %bb.1:
	s_load_dword s12, s[12:13], 0x0
.LBB44_2:
	s_andn2_b64 vcc, exec, s[4:5]
	s_cbranch_vccnz .LBB44_4
; %bb.3:
	s_load_dword s16, s[16:17], 0x0
.LBB44_4:
	s_waitcnt lgkmcnt(0)
	v_cmp_neq_f32_e64 s[4:5], s12, 0
	v_cmp_neq_f32_e64 s[6:7], s16, 1.0
	s_or_b64 s[4:5], s[4:5], s[6:7]
	s_andn2_b64 vcc, exec, s[4:5]
	s_cbranch_vccnz .LBB44_10
; %bb.5:
	s_load_dwordx2 s[4:5], s[0:1], 0x20
	v_lshrrev_b32_e32 v1, 6, v0
	v_lshl_or_b32 v2, s2, 2, v1
	v_mov_b32_e32 v3, 0
	s_mov_b64 s[2:3], 0
	s_waitcnt lgkmcnt(0)
	s_cmp_lg_u64 s[4:5], 0
	s_cbranch_scc0 .LBB44_11
; %bb.6:
	v_cmp_gt_i64_e32 vcc, s[14:15], v[2:3]
                                        ; implicit-def: $vgpr4_vgpr5
	s_and_saveexec_b64 s[6:7], vcc
	s_xor_b64 s[6:7], exec, s[6:7]
                                        ; implicit-def: $sgpr14_sgpr15
	s_cbranch_execz .LBB44_8
; %bb.7:
	v_lshl_add_u64 v[4:5], v[2:3], 3, s[4:5]
	global_load_dwordx2 v[4:5], v[4:5], off
	s_mov_b64 s[2:3], exec
	s_mov_b32 s15, 0
	s_waitcnt vmcnt(0)
	v_subrev_co_u32_e32 v4, vcc, s18, v4
	s_nop 1
	v_subbrev_co_u32_e32 v5, vcc, 0, v5, vcc
.LBB44_8:
	s_or_b64 exec, exec, s[6:7]
.LBB44_9:
	s_and_saveexec_b64 s[4:5], s[2:3]
	s_cbranch_execnz .LBB44_15
.LBB44_10:
	s_endpgm
.LBB44_11:
                                        ; implicit-def: $vgpr4_vgpr5
                                        ; implicit-def: $sgpr14_sgpr15
	s_cbranch_execz .LBB44_9
; %bb.12:
	s_load_dwordx2 s[4:5], s[0:1], 0x0
                                        ; implicit-def: $vgpr4_vgpr5
	s_waitcnt lgkmcnt(0)
	v_cmp_gt_i64_e32 vcc, s[4:5], v[2:3]
	s_and_saveexec_b64 s[4:5], vcc
                                        ; implicit-def: $sgpr14_sgpr15
; %bb.13:
	s_mov_b32 s15, 0
	s_or_b64 s[2:3], s[2:3], exec
	v_mov_b64_e32 v[4:5], v[2:3]
; %bb.14:
	s_or_b64 exec, exec, s[4:5]
	s_and_saveexec_b64 s[4:5], s[2:3]
	s_cbranch_execz .LBB44_10
.LBB44_15:
	s_load_dwordx8 s[4:11], s[0:1], 0x28
	v_lshlrev_b64 v[2:3], 3, v[4:5]
	v_mov_b32_e32 v10, s15
	v_and_b32_e32 v0, 63, v0
	v_mov_b32_e32 v1, 0
	s_waitcnt lgkmcnt(0)
	v_lshl_add_u64 v[6:7], s[4:5], 0, v[2:3]
	s_cmp_eq_u64 s[6:7], 0
	global_load_dwordx2 v[8:9], v[6:7], off
	v_lshl_add_u64 v[2:3], s[6:7], 0, v[2:3]
	v_lshl_add_u64 v[6:7], v[6:7], 0, 8
	s_cselect_b64 vcc, -1, 0
	v_cndmask_b32_e32 v3, v3, v7, vcc
	v_cndmask_b32_e32 v2, v2, v6, vcc
	global_load_dwordx2 v[6:7], v[2:3], off
	s_load_dword s2, s[0:1], 0x8
	s_load_dwordx2 s[4:5], s[0:1], 0x48
	s_waitcnt lgkmcnt(0)
	s_cmp_eq_u32 s2, 1
	s_waitcnt vmcnt(1)
	v_subrev_co_u32_e32 v2, vcc, s18, v8
	s_nop 1
	v_subb_co_u32_e32 v3, vcc, v9, v10, vcc
	v_lshl_add_u64 v[2:3], v[2:3], 0, v[0:1]
	v_mad_u64_u32 v[8:9], s[2:3], v2, 36, s[10:11]
	s_waitcnt vmcnt(0)
	v_subrev_co_u32_e32 v6, vcc, s18, v6
	s_nop 1
	v_subb_co_u32_e32 v7, vcc, v7, v10, vcc
	v_mov_b32_e32 v10, v9
	v_mad_u64_u32 v[10:11], s[2:3], v3, 36, v[10:11]
	v_mov_b32_e32 v9, v10
	v_cmp_lt_i64_e64 s[2:3], v[2:3], v[6:7]
	s_cbranch_scc1 .LBB44_21
; %bb.16:
	v_mov_b32_e32 v10, v1
	v_mov_b32_e32 v18, v1
	s_and_saveexec_b64 s[6:7], s[2:3]
	s_cbranch_execz .LBB44_20
; %bb.17:
	v_mov_b32_e32 v18, 0
	v_lshl_add_u64 v[12:13], v[2:3], 3, s[8:9]
	s_mov_b64 s[10:11], 0
	v_mov_b32_e32 v1, s15
	s_mov_b64 s[20:21], 0x900
	s_mov_b64 s[22:23], 0x200
	v_mov_b64_e32 v[14:15], v[8:9]
	v_mov_b64_e32 v[16:17], v[2:3]
	v_mov_b32_e32 v10, 0
	v_mov_b32_e32 v11, v18
.LBB44_18:                              ; =>This Inner Loop Header: Depth=1
	global_load_dwordx2 v[28:29], v[12:13], off
	global_load_dwordx4 v[20:23], v[14:15], off offset:16
	global_load_dwordx4 v[24:27], v[14:15], off
	v_lshl_add_u64 v[16:17], v[16:17], 0, 64
	v_lshl_add_u64 v[12:13], v[12:13], 0, s[22:23]
	s_waitcnt vmcnt(2)
	v_subrev_co_u32_e32 v19, vcc, s18, v28
	v_mad_u64_u32 v[32:33], s[24:25], v19, 12, s[4:5]
	s_nop 0
	v_subb_co_u32_e32 v29, vcc, v29, v1, vcc
	v_mov_b32_e32 v28, v33
	v_mad_u64_u32 v[28:29], s[24:25], v29, 12, v[28:29]
	v_mov_b32_e32 v33, v28
	global_load_dwordx3 v[28:30], v[32:33], off
	global_load_dword v19, v[14:15], off offset:32
	s_waitcnt vmcnt(2)
	v_mov_b32_e32 v32, v24
	v_mov_b32_e32 v33, v27
	v_mov_b32_e32 v24, v25
	v_mov_b32_e32 v25, v20
	v_cmp_ge_i64_e32 vcc, v[16:17], v[6:7]
	v_mov_b32_e32 v27, v21
	v_lshl_add_u64 v[14:15], v[14:15], 0, s[20:21]
	s_or_b64 s[10:11], vcc, s[10:11]
	s_waitcnt vmcnt(1)
	v_pk_fma_f32 v[10:11], v[32:33], v[28:29], v[10:11] op_sel_hi:[1,0,1]
	v_fmac_f32_e32 v18, v22, v28
	v_mov_b32_e32 v20, v30
	v_pk_fma_f32 v[10:11], v[24:25], v[28:29], v[10:11] op_sel:[0,1,0]
	v_fmac_f32_e32 v18, v23, v29
	v_pk_fma_f32 v[10:11], v[26:27], v[20:21], v[10:11] op_sel_hi:[1,0,1]
	s_waitcnt vmcnt(0)
	v_fmac_f32_e32 v18, v19, v30
	s_andn2_b64 exec, exec, s[10:11]
	s_cbranch_execnz .LBB44_18
; %bb.19:
	s_or_b64 exec, exec, s[10:11]
	v_mov_b32_e32 v1, v11
.LBB44_20:
	s_or_b64 exec, exec, s[6:7]
	v_mov_b32_e32 v11, v1
	s_cbranch_execz .LBB44_22
	s_branch .LBB44_27
.LBB44_21:
                                        ; implicit-def: $vgpr11
                                        ; implicit-def: $vgpr18
.LBB44_22:
	v_mov_b32_e32 v11, 0
	v_mov_b32_e32 v10, v11
	;; [unrolled: 1-line block ×3, first 2 shown]
	s_and_saveexec_b64 s[6:7], s[2:3]
	s_cbranch_execz .LBB44_26
; %bb.23:
	v_mov_b32_e32 v18, 0
	v_lshl_add_u64 v[12:13], v[2:3], 3, s[8:9]
	s_mov_b64 s[2:3], 0
	v_mov_b32_e32 v1, s15
	s_mov_b64 s[8:9], 0x900
	s_mov_b64 s[10:11], 0x200
	v_mov_b32_e32 v10, 0
	v_mov_b32_e32 v11, v18
.LBB44_24:                              ; =>This Inner Loop Header: Depth=1
	global_load_dwordx2 v[24:25], v[12:13], off
	global_load_dwordx4 v[14:17], v[8:9], off offset:16
	global_load_dwordx4 v[20:23], v[8:9], off
	v_lshl_add_u64 v[2:3], v[2:3], 0, 64
	v_lshl_add_u64 v[12:13], v[12:13], 0, s[10:11]
	s_waitcnt vmcnt(2)
	v_subrev_co_u32_e32 v19, vcc, s18, v24
	v_mad_u64_u32 v[28:29], s[14:15], v19, 12, s[4:5]
	s_nop 0
	v_subb_co_u32_e32 v25, vcc, v25, v1, vcc
	v_mov_b32_e32 v24, v29
	v_mad_u64_u32 v[24:25], s[14:15], v25, 12, v[24:25]
	v_mov_b32_e32 v29, v24
	global_load_dwordx3 v[24:26], v[28:29], off
	global_load_dword v19, v[8:9], off offset:32
	s_waitcnt vmcnt(2)
	v_mov_b32_e32 v28, v23
	v_mov_b32_e32 v29, v14
	v_cmp_ge_i64_e32 vcc, v[2:3], v[6:7]
	v_lshl_add_u64 v[8:9], v[8:9], 0, s[8:9]
	s_or_b64 s[2:3], vcc, s[2:3]
	s_waitcnt vmcnt(1)
	v_pk_fma_f32 v[10:11], v[20:21], v[24:25], v[10:11] op_sel_hi:[1,0,1]
	v_fmac_f32_e32 v18, v22, v24
	v_mov_b32_e32 v14, v26
	v_fmac_f32_e32 v18, v15, v25
	v_pk_fma_f32 v[10:11], v[28:29], v[24:25], v[10:11] op_sel:[0,1,0]
	s_waitcnt vmcnt(0)
	v_fmac_f32_e32 v18, v19, v26
	v_pk_fma_f32 v[10:11], v[16:17], v[14:15], v[10:11] op_sel_hi:[1,0,1]
	s_andn2_b64 exec, exec, s[2:3]
	s_cbranch_execnz .LBB44_24
; %bb.25:
	s_or_b64 exec, exec, s[2:3]
.LBB44_26:
	s_or_b64 exec, exec, s[6:7]
.LBB44_27:
	v_mov_b32_dpp v2, v10 row_shr:1 row_mask:0xf bank_mask:0xf
	v_mov_b32_dpp v3, v11 row_shr:1 row_mask:0xf bank_mask:0xf
	;; [unrolled: 1-line block ×3, first 2 shown]
	v_pk_add_f32 v[2:3], v[10:11], v[2:3]
	v_add_f32_e32 v1, v18, v1
	v_cmp_eq_u32_e32 vcc, 63, v0
	v_mov_b32_dpp v6, v2 row_shr:2 row_mask:0xf bank_mask:0xf
	v_mov_b32_dpp v7, v3 row_shr:2 row_mask:0xf bank_mask:0xf
	v_mov_b32_dpp v8, v1 row_shr:2 row_mask:0xf bank_mask:0xf
	v_pk_add_f32 v[2:3], v[2:3], v[6:7]
	v_add_f32_e32 v1, v1, v8
	s_nop 0
	v_mov_b32_dpp v6, v2 row_shr:4 row_mask:0xf bank_mask:0xe
	v_mov_b32_dpp v7, v3 row_shr:4 row_mask:0xf bank_mask:0xe
	v_mov_b32_dpp v8, v1 row_shr:4 row_mask:0xf bank_mask:0xe
	v_pk_add_f32 v[2:3], v[2:3], v[6:7]
	v_add_f32_e32 v1, v1, v8
	s_nop 0
	;; [unrolled: 6-line block ×3, first 2 shown]
	v_mov_b32_dpp v6, v2 row_bcast:15 row_mask:0xa bank_mask:0xf
	v_mov_b32_dpp v7, v3 row_bcast:15 row_mask:0xa bank_mask:0xf
	;; [unrolled: 1-line block ×3, first 2 shown]
	v_pk_add_f32 v[2:3], v[2:3], v[6:7]
	v_add_f32_e32 v1, v1, v8
	s_nop 0
	v_mov_b32_dpp v6, v2 row_bcast:31 row_mask:0xc bank_mask:0xf
	v_mov_b32_dpp v7, v3 row_bcast:31 row_mask:0xc bank_mask:0xf
	;; [unrolled: 1-line block ×3, first 2 shown]
	s_and_b64 exec, exec, vcc
	s_cbranch_execz .LBB44_10
; %bb.28:
	s_load_dwordx2 s[0:1], s[0:1], 0x58
	v_add_f32_e32 v0, v1, v8
	v_cmp_eq_f32_e64 s[2:3], s16, 0
	v_pk_add_f32 v[6:7], v[2:3], v[6:7]
	s_and_b64 vcc, exec, s[2:3]
	v_mul_f32_e32 v2, s12, v0
	s_cbranch_vccz .LBB44_30
; %bb.29:
	s_waitcnt lgkmcnt(0)
	v_mad_u64_u32 v[8:9], s[2:3], v4, 12, s[0:1]
	v_mov_b32_e32 v0, v9
	v_mad_u64_u32 v[0:1], s[2:3], v5, 12, v[0:1]
	v_mov_b32_e32 v9, v0
	v_pk_mul_f32 v[0:1], s[12:13], v[6:7] op_sel_hi:[0,1]
	global_store_dwordx3 v[8:9], v[0:2], off
	s_cbranch_execnz .LBB44_10
	s_branch .LBB44_31
.LBB44_30:
.LBB44_31:
	s_waitcnt lgkmcnt(0)
	v_mad_u64_u32 v[12:13], s[0:1], v4, 12, s[0:1]
	v_mov_b32_e32 v0, v13
	v_mad_u64_u32 v[0:1], s[0:1], v5, 12, v[0:1]
	v_mov_b32_e32 v13, v0
	global_load_dwordx3 v[8:10], v[12:13], off
	v_pk_mul_f32 v[0:1], s[12:13], v[6:7] op_sel_hi:[0,1]
	s_waitcnt vmcnt(0)
	v_pk_fma_f32 v[0:1], s[16:17], v[8:9], v[0:1] op_sel_hi:[0,1,1]
	v_fmac_f32_e32 v2, s16, v10
	global_store_dwordx3 v[12:13], v[0:2], off
	s_endpgm
	.section	.rodata,"a",@progbits
	.p2align	6, 0x0
	.amdhsa_kernel _ZN9rocsparseL18bsrxmvn_3x3_kernelILj256ELj64EfllfffEEvT3_20rocsparse_direction_NS_24const_host_device_scalarIT1_EES1_PKS1_PKT2_SA_S7_PKT4_PKT5_S5_PT6_21rocsparse_index_base_b
		.amdhsa_group_segment_fixed_size 0
		.amdhsa_private_segment_fixed_size 0
		.amdhsa_kernarg_size 104
		.amdhsa_user_sgpr_count 2
		.amdhsa_user_sgpr_dispatch_ptr 0
		.amdhsa_user_sgpr_queue_ptr 0
		.amdhsa_user_sgpr_kernarg_segment_ptr 1
		.amdhsa_user_sgpr_dispatch_id 0
		.amdhsa_user_sgpr_kernarg_preload_length 0
		.amdhsa_user_sgpr_kernarg_preload_offset 0
		.amdhsa_user_sgpr_private_segment_size 0
		.amdhsa_uses_dynamic_stack 0
		.amdhsa_enable_private_segment 0
		.amdhsa_system_sgpr_workgroup_id_x 1
		.amdhsa_system_sgpr_workgroup_id_y 0
		.amdhsa_system_sgpr_workgroup_id_z 0
		.amdhsa_system_sgpr_workgroup_info 0
		.amdhsa_system_vgpr_workitem_id 0
		.amdhsa_next_free_vgpr 34
		.amdhsa_next_free_sgpr 26
		.amdhsa_accum_offset 36
		.amdhsa_reserve_vcc 1
		.amdhsa_float_round_mode_32 0
		.amdhsa_float_round_mode_16_64 0
		.amdhsa_float_denorm_mode_32 3
		.amdhsa_float_denorm_mode_16_64 3
		.amdhsa_dx10_clamp 1
		.amdhsa_ieee_mode 1
		.amdhsa_fp16_overflow 0
		.amdhsa_tg_split 0
		.amdhsa_exception_fp_ieee_invalid_op 0
		.amdhsa_exception_fp_denorm_src 0
		.amdhsa_exception_fp_ieee_div_zero 0
		.amdhsa_exception_fp_ieee_overflow 0
		.amdhsa_exception_fp_ieee_underflow 0
		.amdhsa_exception_fp_ieee_inexact 0
		.amdhsa_exception_int_div_zero 0
	.end_amdhsa_kernel
	.section	.text._ZN9rocsparseL18bsrxmvn_3x3_kernelILj256ELj64EfllfffEEvT3_20rocsparse_direction_NS_24const_host_device_scalarIT1_EES1_PKS1_PKT2_SA_S7_PKT4_PKT5_S5_PT6_21rocsparse_index_base_b,"axG",@progbits,_ZN9rocsparseL18bsrxmvn_3x3_kernelILj256ELj64EfllfffEEvT3_20rocsparse_direction_NS_24const_host_device_scalarIT1_EES1_PKS1_PKT2_SA_S7_PKT4_PKT5_S5_PT6_21rocsparse_index_base_b,comdat
.Lfunc_end44:
	.size	_ZN9rocsparseL18bsrxmvn_3x3_kernelILj256ELj64EfllfffEEvT3_20rocsparse_direction_NS_24const_host_device_scalarIT1_EES1_PKS1_PKT2_SA_S7_PKT4_PKT5_S5_PT6_21rocsparse_index_base_b, .Lfunc_end44-_ZN9rocsparseL18bsrxmvn_3x3_kernelILj256ELj64EfllfffEEvT3_20rocsparse_direction_NS_24const_host_device_scalarIT1_EES1_PKS1_PKT2_SA_S7_PKT4_PKT5_S5_PT6_21rocsparse_index_base_b
                                        ; -- End function
	.section	.AMDGPU.csdata,"",@progbits
; Kernel info:
; codeLenInByte = 1384
; NumSgprs: 32
; NumVgprs: 34
; NumAgprs: 0
; TotalNumVgprs: 34
; ScratchSize: 0
; MemoryBound: 0
; FloatMode: 240
; IeeeMode: 1
; LDSByteSize: 0 bytes/workgroup (compile time only)
; SGPRBlocks: 3
; VGPRBlocks: 4
; NumSGPRsForWavesPerEU: 32
; NumVGPRsForWavesPerEU: 34
; AccumOffset: 36
; Occupancy: 8
; WaveLimiterHint : 1
; COMPUTE_PGM_RSRC2:SCRATCH_EN: 0
; COMPUTE_PGM_RSRC2:USER_SGPR: 2
; COMPUTE_PGM_RSRC2:TRAP_HANDLER: 0
; COMPUTE_PGM_RSRC2:TGID_X_EN: 1
; COMPUTE_PGM_RSRC2:TGID_Y_EN: 0
; COMPUTE_PGM_RSRC2:TGID_Z_EN: 0
; COMPUTE_PGM_RSRC2:TIDIG_COMP_CNT: 0
; COMPUTE_PGM_RSRC3_GFX90A:ACCUM_OFFSET: 8
; COMPUTE_PGM_RSRC3_GFX90A:TG_SPLIT: 0
	.section	.text._ZN9rocsparseL18bsrxmvn_3x3_kernelILj256ELj4EdlldddEEvT3_20rocsparse_direction_NS_24const_host_device_scalarIT1_EES1_PKS1_PKT2_SA_S7_PKT4_PKT5_S5_PT6_21rocsparse_index_base_b,"axG",@progbits,_ZN9rocsparseL18bsrxmvn_3x3_kernelILj256ELj4EdlldddEEvT3_20rocsparse_direction_NS_24const_host_device_scalarIT1_EES1_PKS1_PKT2_SA_S7_PKT4_PKT5_S5_PT6_21rocsparse_index_base_b,comdat
	.globl	_ZN9rocsparseL18bsrxmvn_3x3_kernelILj256ELj4EdlldddEEvT3_20rocsparse_direction_NS_24const_host_device_scalarIT1_EES1_PKS1_PKT2_SA_S7_PKT4_PKT5_S5_PT6_21rocsparse_index_base_b ; -- Begin function _ZN9rocsparseL18bsrxmvn_3x3_kernelILj256ELj4EdlldddEEvT3_20rocsparse_direction_NS_24const_host_device_scalarIT1_EES1_PKS1_PKT2_SA_S7_PKT4_PKT5_S5_PT6_21rocsparse_index_base_b
	.p2align	8
	.type	_ZN9rocsparseL18bsrxmvn_3x3_kernelILj256ELj4EdlldddEEvT3_20rocsparse_direction_NS_24const_host_device_scalarIT1_EES1_PKS1_PKT2_SA_S7_PKT4_PKT5_S5_PT6_21rocsparse_index_base_b,@function
_ZN9rocsparseL18bsrxmvn_3x3_kernelILj256ELj4EdlldddEEvT3_20rocsparse_direction_NS_24const_host_device_scalarIT1_EES1_PKS1_PKT2_SA_S7_PKT4_PKT5_S5_PT6_21rocsparse_index_base_b: ; @_ZN9rocsparseL18bsrxmvn_3x3_kernelILj256ELj4EdlldddEEvT3_20rocsparse_direction_NS_24const_host_device_scalarIT1_EES1_PKS1_PKT2_SA_S7_PKT4_PKT5_S5_PT6_21rocsparse_index_base_b
; %bb.0:
	s_load_dwordx2 s[12:13], s[0:1], 0x60
	s_load_dwordx4 s[4:7], s[0:1], 0x10
	s_load_dwordx2 s[8:9], s[0:1], 0x50
	s_waitcnt lgkmcnt(0)
	s_bitcmp1_b32 s13, 0
	s_cselect_b64 s[14:15], -1, 0
	s_xor_b64 s[10:11], s[14:15], -1
	s_and_b64 vcc, exec, s[14:15]
	v_mov_b64_e32 v[6:7], s[4:5]
	s_cbranch_vccnz .LBB45_2
; %bb.1:
	v_mov_b64_e32 v[2:3], s[4:5]
	flat_load_dwordx2 v[6:7], v[2:3]
.LBB45_2:
	s_andn2_b64 vcc, exec, s[10:11]
	v_mov_b64_e32 v[4:5], s[8:9]
	s_cbranch_vccnz .LBB45_4
; %bb.3:
	v_mov_b64_e32 v[2:3], s[8:9]
	flat_load_dwordx2 v[4:5], v[2:3]
.LBB45_4:
	s_waitcnt vmcnt(0) lgkmcnt(0)
	v_cmp_neq_f64_e32 vcc, 0, v[6:7]
	v_cmp_neq_f64_e64 s[4:5], 1.0, v[4:5]
	s_mov_b64 s[8:9], 0
	s_or_b64 s[4:5], vcc, s[4:5]
	s_and_saveexec_b64 s[10:11], s[4:5]
	s_cbranch_execz .LBB45_10
; %bb.5:
	s_load_dwordx2 s[4:5], s[0:1], 0x20
	v_lshrrev_b32_e32 v1, 2, v0
	v_lshl_or_b32 v2, s2, 6, v1
	v_mov_b32_e32 v3, 0
	s_mov_b64 s[2:3], 0
	s_waitcnt lgkmcnt(0)
	s_cmp_lg_u64 s[4:5], 0
	s_cbranch_scc0 .LBB45_11
; %bb.6:
	v_cmp_gt_i64_e32 vcc, s[6:7], v[2:3]
                                        ; implicit-def: $vgpr8_vgpr9
	s_and_saveexec_b64 s[6:7], vcc
	s_xor_b64 s[6:7], exec, s[6:7]
                                        ; implicit-def: $sgpr14_sgpr15
	s_cbranch_execz .LBB45_8
; %bb.7:
	v_lshl_add_u64 v[8:9], v[2:3], 3, s[4:5]
	global_load_dwordx2 v[8:9], v[8:9], off
	s_mov_b64 s[2:3], exec
	s_mov_b32 s15, 0
	s_waitcnt vmcnt(0)
	v_subrev_co_u32_e32 v8, vcc, s12, v8
	s_nop 1
	v_subbrev_co_u32_e32 v9, vcc, 0, v9, vcc
.LBB45_8:
	s_or_b64 exec, exec, s[6:7]
	s_mov_b64 s[8:9], s[2:3]
.LBB45_9:
	s_and_b64 exec, exec, s[8:9]
	s_cbranch_execnz .LBB45_15
.LBB45_10:
	s_endpgm
.LBB45_11:
                                        ; implicit-def: $vgpr8_vgpr9
                                        ; implicit-def: $sgpr14_sgpr15
	s_cbranch_execz .LBB45_9
; %bb.12:
	s_load_dwordx2 s[2:3], s[0:1], 0x0
                                        ; implicit-def: $vgpr8_vgpr9
	s_waitcnt lgkmcnt(0)
	v_cmp_gt_i64_e32 vcc, s[2:3], v[2:3]
	s_and_saveexec_b64 s[2:3], vcc
                                        ; implicit-def: $sgpr14_sgpr15
; %bb.13:
	s_mov_b32 s15, 0
	s_or_b64 s[8:9], s[8:9], exec
	v_mov_b64_e32 v[8:9], v[2:3]
; %bb.14:
	s_or_b64 exec, exec, s[2:3]
	s_and_b64 exec, exec, s[8:9]
	s_cbranch_execz .LBB45_10
.LBB45_15:
	s_load_dwordx8 s[4:11], s[0:1], 0x28
	v_lshlrev_b64 v[2:3], 3, v[8:9]
	s_load_dword s2, s[0:1], 0x8
	v_mov_b32_e32 v16, s15
	v_and_b32_e32 v0, 3, v0
	s_waitcnt lgkmcnt(0)
	v_lshl_add_u64 v[10:11], s[4:5], 0, v[2:3]
	global_load_dwordx2 v[12:13], v[10:11], off
	s_cmp_eq_u64 s[6:7], 0
	v_lshl_add_u64 v[2:3], s[6:7], 0, v[2:3]
	v_lshl_add_u64 v[10:11], v[10:11], 0, 8
	s_cselect_b64 vcc, -1, 0
	v_cndmask_b32_e32 v3, v3, v11, vcc
	v_cndmask_b32_e32 v2, v2, v10, vcc
	global_load_dwordx2 v[2:3], v[2:3], off
	v_mov_b32_e32 v1, 0
	s_load_dwordx2 s[4:5], s[0:1], 0x48
	s_movk_i32 s6, 0x48
	v_mov_b64_e32 v[14:15], s[10:11]
	s_cmp_eq_u32 s2, 1
	s_waitcnt vmcnt(1)
	v_subrev_co_u32_e32 v10, vcc, s12, v12
	s_nop 1
	v_subb_co_u32_e32 v11, vcc, v13, v16, vcc
	v_lshl_add_u64 v[10:11], v[10:11], 0, v[0:1]
	v_mad_u64_u32 v[14:15], s[2:3], v10, s6, v[14:15]
	s_waitcnt vmcnt(0)
	v_subrev_co_u32_e32 v12, vcc, s12, v2
	v_mov_b32_e32 v2, v15
	s_nop 0
	v_subb_co_u32_e32 v13, vcc, v3, v16, vcc
	v_mad_u64_u32 v[2:3], s[2:3], v11, s6, v[2:3]
	v_mov_b32_e32 v15, v2
	v_cmp_lt_i64_e64 s[2:3], v[10:11], v[12:13]
	s_cbranch_scc1 .LBB45_21
; %bb.16:
	v_mov_b64_e32 v[2:3], 0
	s_mov_b64 s[6:7], 0
	v_mov_b64_e32 v[16:17], v[2:3]
	v_mov_b64_e32 v[18:19], v[2:3]
	s_and_saveexec_b64 s[10:11], s[2:3]
	s_cbranch_execz .LBB45_20
; %bb.17:
	v_mov_b64_e32 v[2:3], 0
	v_lshl_add_u64 v[20:21], v[10:11], 3, s[8:9]
	s_mov_b64 s[16:17], 0
	v_mov_b32_e32 v1, s15
	s_mov_b64 s[18:19], 0x120
	v_mov_b64_e32 v[22:23], v[14:15]
	v_mov_b64_e32 v[24:25], v[10:11]
	;; [unrolled: 1-line block ×4, first 2 shown]
.LBB45_18:                              ; =>This Inner Loop Header: Depth=1
	global_load_dwordx2 v[38:39], v[20:21], off
	global_load_dwordx4 v[26:29], v[22:23], off offset:48
	global_load_dwordx4 v[30:33], v[22:23], off offset:16
	global_load_dwordx4 v[34:37], v[22:23], off
	v_lshl_add_u64 v[24:25], v[24:25], 0, 4
	v_lshl_add_u64 v[20:21], v[20:21], 0, 32
	s_waitcnt vmcnt(3)
	v_subrev_co_u32_e32 v38, vcc, s12, v38
	s_waitcnt lgkmcnt(0)
	v_mad_u64_u32 v[46:47], s[20:21], v38, 24, s[4:5]
	v_subb_co_u32_e32 v39, vcc, v39, v1, vcc
	v_mov_b32_e32 v38, v47
	v_mad_u64_u32 v[38:39], s[20:21], v39, 24, v[38:39]
	v_mov_b32_e32 v47, v38
	global_load_dwordx4 v[38:41], v[46:47], off
	global_load_dwordx2 v[48:49], v[46:47], off offset:16
	global_load_dwordx4 v[42:45], v[22:23], off offset:32
	global_load_dwordx2 v[50:51], v[22:23], off offset:64
	v_cmp_ge_i64_e32 vcc, v[24:25], v[12:13]
	v_lshl_add_u64 v[22:23], v[22:23], 0, s[18:19]
	s_or_b64 s[16:17], vcc, s[16:17]
	s_waitcnt vmcnt(3)
	v_fmac_f64_e32 v[18:19], v[34:35], v[38:39]
	v_fmac_f64_e32 v[16:17], v[32:33], v[38:39]
	;; [unrolled: 1-line block ×4, first 2 shown]
	s_waitcnt vmcnt(1)
	v_fmac_f64_e32 v[16:17], v[42:43], v[40:41]
	v_fmac_f64_e32 v[2:3], v[28:29], v[40:41]
	;; [unrolled: 1-line block ×4, first 2 shown]
	s_waitcnt vmcnt(0)
	v_fmac_f64_e32 v[2:3], v[50:51], v[48:49]
	s_andn2_b64 exec, exec, s[16:17]
	s_cbranch_execnz .LBB45_18
; %bb.19:
	s_or_b64 exec, exec, s[16:17]
.LBB45_20:
	s_or_b64 exec, exec, s[10:11]
	s_andn2_b64 vcc, exec, s[6:7]
	s_cbranch_vccz .LBB45_22
	s_branch .LBB45_27
.LBB45_21:
                                        ; implicit-def: $vgpr2_vgpr3
                                        ; implicit-def: $vgpr16_vgpr17
                                        ; implicit-def: $vgpr18_vgpr19
.LBB45_22:
	v_mov_b64_e32 v[2:3], 0
	v_mov_b64_e32 v[16:17], v[2:3]
	;; [unrolled: 1-line block ×3, first 2 shown]
	s_and_saveexec_b64 s[6:7], s[2:3]
	s_cbranch_execz .LBB45_26
; %bb.23:
	v_mov_b64_e32 v[2:3], 0
	v_lshl_add_u64 v[20:21], v[10:11], 3, s[8:9]
	s_mov_b64 s[2:3], 0
	v_mov_b32_e32 v1, s15
	s_mov_b64 s[8:9], 0x120
	v_mov_b64_e32 v[16:17], v[2:3]
	v_mov_b64_e32 v[18:19], v[2:3]
.LBB45_24:                              ; =>This Inner Loop Header: Depth=1
	global_load_dwordx2 v[34:35], v[20:21], off
	global_load_dwordx4 v[22:25], v[14:15], off offset:32
	global_load_dwordx4 v[26:29], v[14:15], off offset:16
	global_load_dwordx4 v[30:33], v[14:15], off
	v_lshl_add_u64 v[10:11], v[10:11], 0, 4
	v_lshl_add_u64 v[20:21], v[20:21], 0, 32
	s_waitcnt vmcnt(3)
	v_subrev_co_u32_e32 v34, vcc, s12, v34
	s_waitcnt lgkmcnt(0)
	v_mad_u64_u32 v[42:43], s[10:11], v34, 24, s[4:5]
	v_subb_co_u32_e32 v35, vcc, v35, v1, vcc
	v_mov_b32_e32 v34, v43
	v_mad_u64_u32 v[34:35], s[10:11], v35, 24, v[34:35]
	v_mov_b32_e32 v43, v34
	global_load_dwordx4 v[34:37], v[42:43], off
	global_load_dwordx2 v[44:45], v[42:43], off offset:16
	global_load_dwordx4 v[38:41], v[14:15], off offset:48
	global_load_dwordx2 v[46:47], v[14:15], off offset:64
	v_cmp_ge_i64_e32 vcc, v[10:11], v[12:13]
	v_lshl_add_u64 v[14:15], v[14:15], 0, s[8:9]
	s_or_b64 s[2:3], vcc, s[2:3]
	s_waitcnt vmcnt(3)
	v_fmac_f64_e32 v[18:19], v[30:31], v[34:35]
	v_fmac_f64_e32 v[16:17], v[32:33], v[34:35]
	;; [unrolled: 1-line block ×6, first 2 shown]
	s_waitcnt vmcnt(1)
	v_fmac_f64_e32 v[18:19], v[38:39], v[44:45]
	v_fmac_f64_e32 v[16:17], v[40:41], v[44:45]
	s_waitcnt vmcnt(0)
	v_fmac_f64_e32 v[2:3], v[46:47], v[44:45]
	s_andn2_b64 exec, exec, s[2:3]
	s_cbranch_execnz .LBB45_24
; %bb.25:
	s_or_b64 exec, exec, s[2:3]
.LBB45_26:
	s_or_b64 exec, exec, s[6:7]
.LBB45_27:
	v_mov_b32_dpp v10, v18 row_shr:1 row_mask:0xf bank_mask:0xf
	v_mov_b32_dpp v11, v19 row_shr:1 row_mask:0xf bank_mask:0xf
	v_add_f64 v[10:11], v[18:19], v[10:11]
	v_mov_b32_dpp v14, v16 row_shr:1 row_mask:0xf bank_mask:0xf
	v_mov_b32_dpp v15, v17 row_shr:1 row_mask:0xf bank_mask:0xf
	;; [unrolled: 1-line block ×4, first 2 shown]
	v_add_f64 v[14:15], v[16:17], v[14:15]
	v_add_f64 v[2:3], v[2:3], v[18:19]
	v_mov_b32_dpp v12, v10 row_shr:2 row_mask:0xf bank_mask:0xf
	v_mov_b32_dpp v13, v11 row_shr:2 row_mask:0xf bank_mask:0xf
	;; [unrolled: 1-line block ×6, first 2 shown]
	v_cmp_eq_u32_e32 vcc, 3, v0
	s_and_b64 exec, exec, vcc
	s_cbranch_execz .LBB45_10
; %bb.28:
	s_load_dwordx2 s[0:1], s[0:1], 0x58
	v_add_f64 v[0:1], v[10:11], v[12:13]
	v_add_f64 v[10:11], v[14:15], v[16:17]
	;; [unrolled: 1-line block ×3, first 2 shown]
	v_cmp_eq_f64_e32 vcc, 0, v[4:5]
	v_mul_f64 v[0:1], v[6:7], v[0:1]
	v_mul_f64 v[2:3], v[6:7], v[10:11]
	;; [unrolled: 1-line block ×3, first 2 shown]
	s_and_saveexec_b64 s[2:3], vcc
	s_xor_b64 s[2:3], exec, s[2:3]
	s_cbranch_execz .LBB45_30
; %bb.29:
	s_waitcnt lgkmcnt(0)
	v_mad_u64_u32 v[4:5], s[4:5], v8, 24, s[0:1]
	v_mov_b32_e32 v8, v5
	v_mad_u64_u32 v[8:9], s[4:5], v9, 24, v[8:9]
	v_mov_b32_e32 v5, v8
	global_store_dwordx4 v[4:5], v[0:3], off
	global_store_dwordx2 v[4:5], v[6:7], off offset:16
                                        ; implicit-def: $vgpr8_vgpr9
                                        ; implicit-def: $vgpr4_vgpr5
                                        ; implicit-def: $vgpr0_vgpr1
                                        ; implicit-def: $vgpr6_vgpr7
.LBB45_30:
	s_andn2_saveexec_b64 s[2:3], s[2:3]
	s_cbranch_execz .LBB45_10
; %bb.31:
	s_waitcnt lgkmcnt(0)
	v_mad_u64_u32 v[12:13], s[0:1], v8, 24, s[0:1]
	v_mov_b32_e32 v8, v13
	v_mad_u64_u32 v[8:9], s[0:1], v9, 24, v[8:9]
	v_mov_b32_e32 v13, v8
	global_load_dwordx4 v[8:11], v[12:13], off
	global_load_dwordx2 v[14:15], v[12:13], off offset:16
	s_waitcnt vmcnt(1)
	v_fmac_f64_e32 v[0:1], v[4:5], v[8:9]
	v_fmac_f64_e32 v[2:3], v[4:5], v[10:11]
	s_waitcnt vmcnt(0)
	v_fmac_f64_e32 v[6:7], v[4:5], v[14:15]
	global_store_dwordx4 v[12:13], v[0:3], off
	global_store_dwordx2 v[12:13], v[6:7], off offset:16
	s_endpgm
	.section	.rodata,"a",@progbits
	.p2align	6, 0x0
	.amdhsa_kernel _ZN9rocsparseL18bsrxmvn_3x3_kernelILj256ELj4EdlldddEEvT3_20rocsparse_direction_NS_24const_host_device_scalarIT1_EES1_PKS1_PKT2_SA_S7_PKT4_PKT5_S5_PT6_21rocsparse_index_base_b
		.amdhsa_group_segment_fixed_size 0
		.amdhsa_private_segment_fixed_size 0
		.amdhsa_kernarg_size 104
		.amdhsa_user_sgpr_count 2
		.amdhsa_user_sgpr_dispatch_ptr 0
		.amdhsa_user_sgpr_queue_ptr 0
		.amdhsa_user_sgpr_kernarg_segment_ptr 1
		.amdhsa_user_sgpr_dispatch_id 0
		.amdhsa_user_sgpr_kernarg_preload_length 0
		.amdhsa_user_sgpr_kernarg_preload_offset 0
		.amdhsa_user_sgpr_private_segment_size 0
		.amdhsa_uses_dynamic_stack 0
		.amdhsa_enable_private_segment 0
		.amdhsa_system_sgpr_workgroup_id_x 1
		.amdhsa_system_sgpr_workgroup_id_y 0
		.amdhsa_system_sgpr_workgroup_id_z 0
		.amdhsa_system_sgpr_workgroup_info 0
		.amdhsa_system_vgpr_workitem_id 0
		.amdhsa_next_free_vgpr 52
		.amdhsa_next_free_sgpr 22
		.amdhsa_accum_offset 52
		.amdhsa_reserve_vcc 1
		.amdhsa_float_round_mode_32 0
		.amdhsa_float_round_mode_16_64 0
		.amdhsa_float_denorm_mode_32 3
		.amdhsa_float_denorm_mode_16_64 3
		.amdhsa_dx10_clamp 1
		.amdhsa_ieee_mode 1
		.amdhsa_fp16_overflow 0
		.amdhsa_tg_split 0
		.amdhsa_exception_fp_ieee_invalid_op 0
		.amdhsa_exception_fp_denorm_src 0
		.amdhsa_exception_fp_ieee_div_zero 0
		.amdhsa_exception_fp_ieee_overflow 0
		.amdhsa_exception_fp_ieee_underflow 0
		.amdhsa_exception_fp_ieee_inexact 0
		.amdhsa_exception_int_div_zero 0
	.end_amdhsa_kernel
	.section	.text._ZN9rocsparseL18bsrxmvn_3x3_kernelILj256ELj4EdlldddEEvT3_20rocsparse_direction_NS_24const_host_device_scalarIT1_EES1_PKS1_PKT2_SA_S7_PKT4_PKT5_S5_PT6_21rocsparse_index_base_b,"axG",@progbits,_ZN9rocsparseL18bsrxmvn_3x3_kernelILj256ELj4EdlldddEEvT3_20rocsparse_direction_NS_24const_host_device_scalarIT1_EES1_PKS1_PKT2_SA_S7_PKT4_PKT5_S5_PT6_21rocsparse_index_base_b,comdat
.Lfunc_end45:
	.size	_ZN9rocsparseL18bsrxmvn_3x3_kernelILj256ELj4EdlldddEEvT3_20rocsparse_direction_NS_24const_host_device_scalarIT1_EES1_PKS1_PKT2_SA_S7_PKT4_PKT5_S5_PT6_21rocsparse_index_base_b, .Lfunc_end45-_ZN9rocsparseL18bsrxmvn_3x3_kernelILj256ELj4EdlldddEEvT3_20rocsparse_direction_NS_24const_host_device_scalarIT1_EES1_PKS1_PKT2_SA_S7_PKT4_PKT5_S5_PT6_21rocsparse_index_base_b
                                        ; -- End function
	.section	.AMDGPU.csdata,"",@progbits
; Kernel info:
; codeLenInByte = 1352
; NumSgprs: 28
; NumVgprs: 52
; NumAgprs: 0
; TotalNumVgprs: 52
; ScratchSize: 0
; MemoryBound: 1
; FloatMode: 240
; IeeeMode: 1
; LDSByteSize: 0 bytes/workgroup (compile time only)
; SGPRBlocks: 3
; VGPRBlocks: 6
; NumSGPRsForWavesPerEU: 28
; NumVGPRsForWavesPerEU: 52
; AccumOffset: 52
; Occupancy: 8
; WaveLimiterHint : 1
; COMPUTE_PGM_RSRC2:SCRATCH_EN: 0
; COMPUTE_PGM_RSRC2:USER_SGPR: 2
; COMPUTE_PGM_RSRC2:TRAP_HANDLER: 0
; COMPUTE_PGM_RSRC2:TGID_X_EN: 1
; COMPUTE_PGM_RSRC2:TGID_Y_EN: 0
; COMPUTE_PGM_RSRC2:TGID_Z_EN: 0
; COMPUTE_PGM_RSRC2:TIDIG_COMP_CNT: 0
; COMPUTE_PGM_RSRC3_GFX90A:ACCUM_OFFSET: 12
; COMPUTE_PGM_RSRC3_GFX90A:TG_SPLIT: 0
	.section	.text._ZN9rocsparseL18bsrxmvn_3x3_kernelILj256ELj8EdlldddEEvT3_20rocsparse_direction_NS_24const_host_device_scalarIT1_EES1_PKS1_PKT2_SA_S7_PKT4_PKT5_S5_PT6_21rocsparse_index_base_b,"axG",@progbits,_ZN9rocsparseL18bsrxmvn_3x3_kernelILj256ELj8EdlldddEEvT3_20rocsparse_direction_NS_24const_host_device_scalarIT1_EES1_PKS1_PKT2_SA_S7_PKT4_PKT5_S5_PT6_21rocsparse_index_base_b,comdat
	.globl	_ZN9rocsparseL18bsrxmvn_3x3_kernelILj256ELj8EdlldddEEvT3_20rocsparse_direction_NS_24const_host_device_scalarIT1_EES1_PKS1_PKT2_SA_S7_PKT4_PKT5_S5_PT6_21rocsparse_index_base_b ; -- Begin function _ZN9rocsparseL18bsrxmvn_3x3_kernelILj256ELj8EdlldddEEvT3_20rocsparse_direction_NS_24const_host_device_scalarIT1_EES1_PKS1_PKT2_SA_S7_PKT4_PKT5_S5_PT6_21rocsparse_index_base_b
	.p2align	8
	.type	_ZN9rocsparseL18bsrxmvn_3x3_kernelILj256ELj8EdlldddEEvT3_20rocsparse_direction_NS_24const_host_device_scalarIT1_EES1_PKS1_PKT2_SA_S7_PKT4_PKT5_S5_PT6_21rocsparse_index_base_b,@function
_ZN9rocsparseL18bsrxmvn_3x3_kernelILj256ELj8EdlldddEEvT3_20rocsparse_direction_NS_24const_host_device_scalarIT1_EES1_PKS1_PKT2_SA_S7_PKT4_PKT5_S5_PT6_21rocsparse_index_base_b: ; @_ZN9rocsparseL18bsrxmvn_3x3_kernelILj256ELj8EdlldddEEvT3_20rocsparse_direction_NS_24const_host_device_scalarIT1_EES1_PKS1_PKT2_SA_S7_PKT4_PKT5_S5_PT6_21rocsparse_index_base_b
; %bb.0:
	s_load_dwordx2 s[12:13], s[0:1], 0x60
	s_load_dwordx4 s[4:7], s[0:1], 0x10
	s_load_dwordx2 s[8:9], s[0:1], 0x50
	s_waitcnt lgkmcnt(0)
	s_bitcmp1_b32 s13, 0
	s_cselect_b64 s[14:15], -1, 0
	s_xor_b64 s[10:11], s[14:15], -1
	s_and_b64 vcc, exec, s[14:15]
	v_mov_b64_e32 v[6:7], s[4:5]
	s_cbranch_vccnz .LBB46_2
; %bb.1:
	v_mov_b64_e32 v[2:3], s[4:5]
	flat_load_dwordx2 v[6:7], v[2:3]
.LBB46_2:
	s_andn2_b64 vcc, exec, s[10:11]
	v_mov_b64_e32 v[4:5], s[8:9]
	s_cbranch_vccnz .LBB46_4
; %bb.3:
	v_mov_b64_e32 v[2:3], s[8:9]
	flat_load_dwordx2 v[4:5], v[2:3]
.LBB46_4:
	s_waitcnt vmcnt(0) lgkmcnt(0)
	v_cmp_neq_f64_e32 vcc, 0, v[6:7]
	v_cmp_neq_f64_e64 s[4:5], 1.0, v[4:5]
	s_mov_b64 s[8:9], 0
	s_or_b64 s[4:5], vcc, s[4:5]
	s_and_saveexec_b64 s[10:11], s[4:5]
	s_cbranch_execz .LBB46_10
; %bb.5:
	s_load_dwordx2 s[4:5], s[0:1], 0x20
	v_lshrrev_b32_e32 v1, 3, v0
	v_lshl_or_b32 v2, s2, 5, v1
	v_mov_b32_e32 v3, 0
	s_mov_b64 s[2:3], 0
	s_waitcnt lgkmcnt(0)
	s_cmp_lg_u64 s[4:5], 0
	s_cbranch_scc0 .LBB46_11
; %bb.6:
	v_cmp_gt_i64_e32 vcc, s[6:7], v[2:3]
                                        ; implicit-def: $vgpr8_vgpr9
	s_and_saveexec_b64 s[6:7], vcc
	s_xor_b64 s[6:7], exec, s[6:7]
                                        ; implicit-def: $sgpr14_sgpr15
	s_cbranch_execz .LBB46_8
; %bb.7:
	v_lshl_add_u64 v[8:9], v[2:3], 3, s[4:5]
	global_load_dwordx2 v[8:9], v[8:9], off
	s_mov_b64 s[2:3], exec
	s_mov_b32 s15, 0
	s_waitcnt vmcnt(0)
	v_subrev_co_u32_e32 v8, vcc, s12, v8
	s_nop 1
	v_subbrev_co_u32_e32 v9, vcc, 0, v9, vcc
.LBB46_8:
	s_or_b64 exec, exec, s[6:7]
	s_mov_b64 s[8:9], s[2:3]
.LBB46_9:
	s_and_b64 exec, exec, s[8:9]
	s_cbranch_execnz .LBB46_15
.LBB46_10:
	s_endpgm
.LBB46_11:
                                        ; implicit-def: $vgpr8_vgpr9
                                        ; implicit-def: $sgpr14_sgpr15
	s_cbranch_execz .LBB46_9
; %bb.12:
	s_load_dwordx2 s[2:3], s[0:1], 0x0
                                        ; implicit-def: $vgpr8_vgpr9
	s_waitcnt lgkmcnt(0)
	v_cmp_gt_i64_e32 vcc, s[2:3], v[2:3]
	s_and_saveexec_b64 s[2:3], vcc
                                        ; implicit-def: $sgpr14_sgpr15
; %bb.13:
	s_mov_b32 s15, 0
	s_or_b64 s[8:9], s[8:9], exec
	v_mov_b64_e32 v[8:9], v[2:3]
; %bb.14:
	s_or_b64 exec, exec, s[2:3]
	s_and_b64 exec, exec, s[8:9]
	s_cbranch_execz .LBB46_10
.LBB46_15:
	s_load_dwordx8 s[4:11], s[0:1], 0x28
	v_lshlrev_b64 v[2:3], 3, v[8:9]
	s_load_dword s2, s[0:1], 0x8
	v_mov_b32_e32 v16, s15
	v_and_b32_e32 v0, 7, v0
	s_waitcnt lgkmcnt(0)
	v_lshl_add_u64 v[10:11], s[4:5], 0, v[2:3]
	global_load_dwordx2 v[12:13], v[10:11], off
	s_cmp_eq_u64 s[6:7], 0
	v_lshl_add_u64 v[2:3], s[6:7], 0, v[2:3]
	v_lshl_add_u64 v[10:11], v[10:11], 0, 8
	s_cselect_b64 vcc, -1, 0
	v_cndmask_b32_e32 v3, v3, v11, vcc
	v_cndmask_b32_e32 v2, v2, v10, vcc
	global_load_dwordx2 v[2:3], v[2:3], off
	v_mov_b32_e32 v1, 0
	s_load_dwordx2 s[4:5], s[0:1], 0x48
	s_movk_i32 s6, 0x48
	v_mov_b64_e32 v[14:15], s[10:11]
	s_cmp_eq_u32 s2, 1
	s_waitcnt vmcnt(1)
	v_subrev_co_u32_e32 v10, vcc, s12, v12
	s_nop 1
	v_subb_co_u32_e32 v11, vcc, v13, v16, vcc
	v_lshl_add_u64 v[10:11], v[10:11], 0, v[0:1]
	v_mad_u64_u32 v[14:15], s[2:3], v10, s6, v[14:15]
	s_waitcnt vmcnt(0)
	v_subrev_co_u32_e32 v12, vcc, s12, v2
	v_mov_b32_e32 v2, v15
	s_nop 0
	v_subb_co_u32_e32 v13, vcc, v3, v16, vcc
	v_mad_u64_u32 v[2:3], s[2:3], v11, s6, v[2:3]
	v_mov_b32_e32 v15, v2
	v_cmp_lt_i64_e64 s[2:3], v[10:11], v[12:13]
	s_cbranch_scc1 .LBB46_21
; %bb.16:
	v_mov_b64_e32 v[2:3], 0
	s_mov_b64 s[6:7], 0
	v_mov_b64_e32 v[16:17], v[2:3]
	v_mov_b64_e32 v[18:19], v[2:3]
	s_and_saveexec_b64 s[10:11], s[2:3]
	s_cbranch_execz .LBB46_20
; %bb.17:
	v_mov_b64_e32 v[2:3], 0
	v_lshl_add_u64 v[20:21], v[10:11], 3, s[8:9]
	s_mov_b64 s[16:17], 0
	v_mov_b32_e32 v1, s15
	s_mov_b64 s[18:19], 0x240
	v_mov_b64_e32 v[22:23], v[14:15]
	v_mov_b64_e32 v[24:25], v[10:11]
	;; [unrolled: 1-line block ×4, first 2 shown]
.LBB46_18:                              ; =>This Inner Loop Header: Depth=1
	global_load_dwordx2 v[38:39], v[20:21], off
	global_load_dwordx4 v[26:29], v[22:23], off offset:48
	global_load_dwordx4 v[30:33], v[22:23], off offset:16
	global_load_dwordx4 v[34:37], v[22:23], off
	v_lshl_add_u64 v[24:25], v[24:25], 0, 8
	v_lshl_add_u64 v[20:21], v[20:21], 0, 64
	s_waitcnt vmcnt(3)
	v_subrev_co_u32_e32 v38, vcc, s12, v38
	s_waitcnt lgkmcnt(0)
	v_mad_u64_u32 v[46:47], s[20:21], v38, 24, s[4:5]
	v_subb_co_u32_e32 v39, vcc, v39, v1, vcc
	v_mov_b32_e32 v38, v47
	v_mad_u64_u32 v[38:39], s[20:21], v39, 24, v[38:39]
	v_mov_b32_e32 v47, v38
	global_load_dwordx4 v[38:41], v[46:47], off
	global_load_dwordx2 v[48:49], v[46:47], off offset:16
	global_load_dwordx4 v[42:45], v[22:23], off offset:32
	global_load_dwordx2 v[50:51], v[22:23], off offset:64
	v_cmp_ge_i64_e32 vcc, v[24:25], v[12:13]
	v_lshl_add_u64 v[22:23], v[22:23], 0, s[18:19]
	s_or_b64 s[16:17], vcc, s[16:17]
	s_waitcnt vmcnt(3)
	v_fmac_f64_e32 v[18:19], v[34:35], v[38:39]
	v_fmac_f64_e32 v[16:17], v[32:33], v[38:39]
	;; [unrolled: 1-line block ×4, first 2 shown]
	s_waitcnt vmcnt(1)
	v_fmac_f64_e32 v[16:17], v[42:43], v[40:41]
	v_fmac_f64_e32 v[2:3], v[28:29], v[40:41]
	;; [unrolled: 1-line block ×4, first 2 shown]
	s_waitcnt vmcnt(0)
	v_fmac_f64_e32 v[2:3], v[50:51], v[48:49]
	s_andn2_b64 exec, exec, s[16:17]
	s_cbranch_execnz .LBB46_18
; %bb.19:
	s_or_b64 exec, exec, s[16:17]
.LBB46_20:
	s_or_b64 exec, exec, s[10:11]
	s_andn2_b64 vcc, exec, s[6:7]
	s_cbranch_vccz .LBB46_22
	s_branch .LBB46_27
.LBB46_21:
                                        ; implicit-def: $vgpr2_vgpr3
                                        ; implicit-def: $vgpr16_vgpr17
                                        ; implicit-def: $vgpr18_vgpr19
.LBB46_22:
	v_mov_b64_e32 v[2:3], 0
	v_mov_b64_e32 v[16:17], v[2:3]
	;; [unrolled: 1-line block ×3, first 2 shown]
	s_and_saveexec_b64 s[6:7], s[2:3]
	s_cbranch_execz .LBB46_26
; %bb.23:
	v_mov_b64_e32 v[2:3], 0
	v_lshl_add_u64 v[20:21], v[10:11], 3, s[8:9]
	s_mov_b64 s[2:3], 0
	v_mov_b32_e32 v1, s15
	s_mov_b64 s[8:9], 0x240
	v_mov_b64_e32 v[16:17], v[2:3]
	v_mov_b64_e32 v[18:19], v[2:3]
.LBB46_24:                              ; =>This Inner Loop Header: Depth=1
	global_load_dwordx2 v[34:35], v[20:21], off
	global_load_dwordx4 v[22:25], v[14:15], off offset:32
	global_load_dwordx4 v[26:29], v[14:15], off offset:16
	global_load_dwordx4 v[30:33], v[14:15], off
	v_lshl_add_u64 v[10:11], v[10:11], 0, 8
	v_lshl_add_u64 v[20:21], v[20:21], 0, 64
	s_waitcnt vmcnt(3)
	v_subrev_co_u32_e32 v34, vcc, s12, v34
	s_waitcnt lgkmcnt(0)
	v_mad_u64_u32 v[42:43], s[10:11], v34, 24, s[4:5]
	v_subb_co_u32_e32 v35, vcc, v35, v1, vcc
	v_mov_b32_e32 v34, v43
	v_mad_u64_u32 v[34:35], s[10:11], v35, 24, v[34:35]
	v_mov_b32_e32 v43, v34
	global_load_dwordx4 v[34:37], v[42:43], off
	global_load_dwordx2 v[44:45], v[42:43], off offset:16
	global_load_dwordx4 v[38:41], v[14:15], off offset:48
	global_load_dwordx2 v[46:47], v[14:15], off offset:64
	v_cmp_ge_i64_e32 vcc, v[10:11], v[12:13]
	v_lshl_add_u64 v[14:15], v[14:15], 0, s[8:9]
	s_or_b64 s[2:3], vcc, s[2:3]
	s_waitcnt vmcnt(3)
	v_fmac_f64_e32 v[18:19], v[30:31], v[34:35]
	v_fmac_f64_e32 v[16:17], v[32:33], v[34:35]
	;; [unrolled: 1-line block ×6, first 2 shown]
	s_waitcnt vmcnt(1)
	v_fmac_f64_e32 v[18:19], v[38:39], v[44:45]
	v_fmac_f64_e32 v[16:17], v[40:41], v[44:45]
	s_waitcnt vmcnt(0)
	v_fmac_f64_e32 v[2:3], v[46:47], v[44:45]
	s_andn2_b64 exec, exec, s[2:3]
	s_cbranch_execnz .LBB46_24
; %bb.25:
	s_or_b64 exec, exec, s[2:3]
.LBB46_26:
	s_or_b64 exec, exec, s[6:7]
.LBB46_27:
	v_mov_b32_dpp v10, v18 row_shr:1 row_mask:0xf bank_mask:0xf
	v_mov_b32_dpp v11, v19 row_shr:1 row_mask:0xf bank_mask:0xf
	v_add_f64 v[10:11], v[18:19], v[10:11]
	v_mov_b32_dpp v14, v16 row_shr:1 row_mask:0xf bank_mask:0xf
	v_mov_b32_dpp v15, v17 row_shr:1 row_mask:0xf bank_mask:0xf
	;; [unrolled: 1-line block ×4, first 2 shown]
	v_add_f64 v[14:15], v[16:17], v[14:15]
	v_add_f64 v[2:3], v[2:3], v[18:19]
	v_mov_b32_dpp v12, v10 row_shr:2 row_mask:0xf bank_mask:0xf
	v_mov_b32_dpp v13, v11 row_shr:2 row_mask:0xf bank_mask:0xf
	;; [unrolled: 1-line block ×6, first 2 shown]
	v_add_f64 v[10:11], v[10:11], v[12:13]
	v_add_f64 v[14:15], v[14:15], v[16:17]
	;; [unrolled: 1-line block ×3, first 2 shown]
	v_mov_b32_dpp v12, v10 row_shr:4 row_mask:0xf bank_mask:0xe
	v_mov_b32_dpp v13, v11 row_shr:4 row_mask:0xf bank_mask:0xe
	;; [unrolled: 1-line block ×6, first 2 shown]
	v_cmp_eq_u32_e32 vcc, 7, v0
	s_and_b64 exec, exec, vcc
	s_cbranch_execz .LBB46_10
; %bb.28:
	s_load_dwordx2 s[0:1], s[0:1], 0x58
	v_add_f64 v[0:1], v[10:11], v[12:13]
	v_add_f64 v[10:11], v[14:15], v[16:17]
	;; [unrolled: 1-line block ×3, first 2 shown]
	v_cmp_eq_f64_e32 vcc, 0, v[4:5]
	v_mul_f64 v[0:1], v[6:7], v[0:1]
	v_mul_f64 v[2:3], v[6:7], v[10:11]
	;; [unrolled: 1-line block ×3, first 2 shown]
	s_and_saveexec_b64 s[2:3], vcc
	s_xor_b64 s[2:3], exec, s[2:3]
	s_cbranch_execz .LBB46_30
; %bb.29:
	s_waitcnt lgkmcnt(0)
	v_mad_u64_u32 v[4:5], s[4:5], v8, 24, s[0:1]
	v_mov_b32_e32 v8, v5
	v_mad_u64_u32 v[8:9], s[4:5], v9, 24, v[8:9]
	v_mov_b32_e32 v5, v8
	global_store_dwordx4 v[4:5], v[0:3], off
	global_store_dwordx2 v[4:5], v[6:7], off offset:16
                                        ; implicit-def: $vgpr8_vgpr9
                                        ; implicit-def: $vgpr4_vgpr5
                                        ; implicit-def: $vgpr0_vgpr1
                                        ; implicit-def: $vgpr6_vgpr7
.LBB46_30:
	s_andn2_saveexec_b64 s[2:3], s[2:3]
	s_cbranch_execz .LBB46_10
; %bb.31:
	s_waitcnt lgkmcnt(0)
	v_mad_u64_u32 v[12:13], s[0:1], v8, 24, s[0:1]
	v_mov_b32_e32 v8, v13
	v_mad_u64_u32 v[8:9], s[0:1], v9, 24, v[8:9]
	v_mov_b32_e32 v13, v8
	global_load_dwordx4 v[8:11], v[12:13], off
	global_load_dwordx2 v[14:15], v[12:13], off offset:16
	s_waitcnt vmcnt(1)
	v_fmac_f64_e32 v[0:1], v[4:5], v[8:9]
	v_fmac_f64_e32 v[2:3], v[4:5], v[10:11]
	s_waitcnt vmcnt(0)
	v_fmac_f64_e32 v[6:7], v[4:5], v[14:15]
	global_store_dwordx4 v[12:13], v[0:3], off
	global_store_dwordx2 v[12:13], v[6:7], off offset:16
	s_endpgm
	.section	.rodata,"a",@progbits
	.p2align	6, 0x0
	.amdhsa_kernel _ZN9rocsparseL18bsrxmvn_3x3_kernelILj256ELj8EdlldddEEvT3_20rocsparse_direction_NS_24const_host_device_scalarIT1_EES1_PKS1_PKT2_SA_S7_PKT4_PKT5_S5_PT6_21rocsparse_index_base_b
		.amdhsa_group_segment_fixed_size 0
		.amdhsa_private_segment_fixed_size 0
		.amdhsa_kernarg_size 104
		.amdhsa_user_sgpr_count 2
		.amdhsa_user_sgpr_dispatch_ptr 0
		.amdhsa_user_sgpr_queue_ptr 0
		.amdhsa_user_sgpr_kernarg_segment_ptr 1
		.amdhsa_user_sgpr_dispatch_id 0
		.amdhsa_user_sgpr_kernarg_preload_length 0
		.amdhsa_user_sgpr_kernarg_preload_offset 0
		.amdhsa_user_sgpr_private_segment_size 0
		.amdhsa_uses_dynamic_stack 0
		.amdhsa_enable_private_segment 0
		.amdhsa_system_sgpr_workgroup_id_x 1
		.amdhsa_system_sgpr_workgroup_id_y 0
		.amdhsa_system_sgpr_workgroup_id_z 0
		.amdhsa_system_sgpr_workgroup_info 0
		.amdhsa_system_vgpr_workitem_id 0
		.amdhsa_next_free_vgpr 52
		.amdhsa_next_free_sgpr 22
		.amdhsa_accum_offset 52
		.amdhsa_reserve_vcc 1
		.amdhsa_float_round_mode_32 0
		.amdhsa_float_round_mode_16_64 0
		.amdhsa_float_denorm_mode_32 3
		.amdhsa_float_denorm_mode_16_64 3
		.amdhsa_dx10_clamp 1
		.amdhsa_ieee_mode 1
		.amdhsa_fp16_overflow 0
		.amdhsa_tg_split 0
		.amdhsa_exception_fp_ieee_invalid_op 0
		.amdhsa_exception_fp_denorm_src 0
		.amdhsa_exception_fp_ieee_div_zero 0
		.amdhsa_exception_fp_ieee_overflow 0
		.amdhsa_exception_fp_ieee_underflow 0
		.amdhsa_exception_fp_ieee_inexact 0
		.amdhsa_exception_int_div_zero 0
	.end_amdhsa_kernel
	.section	.text._ZN9rocsparseL18bsrxmvn_3x3_kernelILj256ELj8EdlldddEEvT3_20rocsparse_direction_NS_24const_host_device_scalarIT1_EES1_PKS1_PKT2_SA_S7_PKT4_PKT5_S5_PT6_21rocsparse_index_base_b,"axG",@progbits,_ZN9rocsparseL18bsrxmvn_3x3_kernelILj256ELj8EdlldddEEvT3_20rocsparse_direction_NS_24const_host_device_scalarIT1_EES1_PKS1_PKT2_SA_S7_PKT4_PKT5_S5_PT6_21rocsparse_index_base_b,comdat
.Lfunc_end46:
	.size	_ZN9rocsparseL18bsrxmvn_3x3_kernelILj256ELj8EdlldddEEvT3_20rocsparse_direction_NS_24const_host_device_scalarIT1_EES1_PKS1_PKT2_SA_S7_PKT4_PKT5_S5_PT6_21rocsparse_index_base_b, .Lfunc_end46-_ZN9rocsparseL18bsrxmvn_3x3_kernelILj256ELj8EdlldddEEvT3_20rocsparse_direction_NS_24const_host_device_scalarIT1_EES1_PKS1_PKT2_SA_S7_PKT4_PKT5_S5_PT6_21rocsparse_index_base_b
                                        ; -- End function
	.section	.AMDGPU.csdata,"",@progbits
; Kernel info:
; codeLenInByte = 1424
; NumSgprs: 28
; NumVgprs: 52
; NumAgprs: 0
; TotalNumVgprs: 52
; ScratchSize: 0
; MemoryBound: 1
; FloatMode: 240
; IeeeMode: 1
; LDSByteSize: 0 bytes/workgroup (compile time only)
; SGPRBlocks: 3
; VGPRBlocks: 6
; NumSGPRsForWavesPerEU: 28
; NumVGPRsForWavesPerEU: 52
; AccumOffset: 52
; Occupancy: 8
; WaveLimiterHint : 1
; COMPUTE_PGM_RSRC2:SCRATCH_EN: 0
; COMPUTE_PGM_RSRC2:USER_SGPR: 2
; COMPUTE_PGM_RSRC2:TRAP_HANDLER: 0
; COMPUTE_PGM_RSRC2:TGID_X_EN: 1
; COMPUTE_PGM_RSRC2:TGID_Y_EN: 0
; COMPUTE_PGM_RSRC2:TGID_Z_EN: 0
; COMPUTE_PGM_RSRC2:TIDIG_COMP_CNT: 0
; COMPUTE_PGM_RSRC3_GFX90A:ACCUM_OFFSET: 12
; COMPUTE_PGM_RSRC3_GFX90A:TG_SPLIT: 0
	.section	.text._ZN9rocsparseL18bsrxmvn_3x3_kernelILj256ELj16EdlldddEEvT3_20rocsparse_direction_NS_24const_host_device_scalarIT1_EES1_PKS1_PKT2_SA_S7_PKT4_PKT5_S5_PT6_21rocsparse_index_base_b,"axG",@progbits,_ZN9rocsparseL18bsrxmvn_3x3_kernelILj256ELj16EdlldddEEvT3_20rocsparse_direction_NS_24const_host_device_scalarIT1_EES1_PKS1_PKT2_SA_S7_PKT4_PKT5_S5_PT6_21rocsparse_index_base_b,comdat
	.globl	_ZN9rocsparseL18bsrxmvn_3x3_kernelILj256ELj16EdlldddEEvT3_20rocsparse_direction_NS_24const_host_device_scalarIT1_EES1_PKS1_PKT2_SA_S7_PKT4_PKT5_S5_PT6_21rocsparse_index_base_b ; -- Begin function _ZN9rocsparseL18bsrxmvn_3x3_kernelILj256ELj16EdlldddEEvT3_20rocsparse_direction_NS_24const_host_device_scalarIT1_EES1_PKS1_PKT2_SA_S7_PKT4_PKT5_S5_PT6_21rocsparse_index_base_b
	.p2align	8
	.type	_ZN9rocsparseL18bsrxmvn_3x3_kernelILj256ELj16EdlldddEEvT3_20rocsparse_direction_NS_24const_host_device_scalarIT1_EES1_PKS1_PKT2_SA_S7_PKT4_PKT5_S5_PT6_21rocsparse_index_base_b,@function
_ZN9rocsparseL18bsrxmvn_3x3_kernelILj256ELj16EdlldddEEvT3_20rocsparse_direction_NS_24const_host_device_scalarIT1_EES1_PKS1_PKT2_SA_S7_PKT4_PKT5_S5_PT6_21rocsparse_index_base_b: ; @_ZN9rocsparseL18bsrxmvn_3x3_kernelILj256ELj16EdlldddEEvT3_20rocsparse_direction_NS_24const_host_device_scalarIT1_EES1_PKS1_PKT2_SA_S7_PKT4_PKT5_S5_PT6_21rocsparse_index_base_b
; %bb.0:
	s_load_dwordx2 s[12:13], s[0:1], 0x60
	s_load_dwordx4 s[4:7], s[0:1], 0x10
	s_load_dwordx2 s[8:9], s[0:1], 0x50
	s_waitcnt lgkmcnt(0)
	s_bitcmp1_b32 s13, 0
	s_cselect_b64 s[14:15], -1, 0
	s_xor_b64 s[10:11], s[14:15], -1
	s_and_b64 vcc, exec, s[14:15]
	v_mov_b64_e32 v[6:7], s[4:5]
	s_cbranch_vccnz .LBB47_2
; %bb.1:
	v_mov_b64_e32 v[2:3], s[4:5]
	flat_load_dwordx2 v[6:7], v[2:3]
.LBB47_2:
	s_andn2_b64 vcc, exec, s[10:11]
	v_mov_b64_e32 v[4:5], s[8:9]
	s_cbranch_vccnz .LBB47_4
; %bb.3:
	v_mov_b64_e32 v[2:3], s[8:9]
	flat_load_dwordx2 v[4:5], v[2:3]
.LBB47_4:
	s_waitcnt vmcnt(0) lgkmcnt(0)
	v_cmp_neq_f64_e32 vcc, 0, v[6:7]
	v_cmp_neq_f64_e64 s[4:5], 1.0, v[4:5]
	s_mov_b64 s[8:9], 0
	s_or_b64 s[4:5], vcc, s[4:5]
	s_and_saveexec_b64 s[10:11], s[4:5]
	s_cbranch_execz .LBB47_10
; %bb.5:
	s_load_dwordx2 s[4:5], s[0:1], 0x20
	v_lshrrev_b32_e32 v1, 4, v0
	v_lshl_or_b32 v2, s2, 4, v1
	v_mov_b32_e32 v3, 0
	s_mov_b64 s[2:3], 0
	s_waitcnt lgkmcnt(0)
	s_cmp_lg_u64 s[4:5], 0
	s_cbranch_scc0 .LBB47_11
; %bb.6:
	v_cmp_gt_i64_e32 vcc, s[6:7], v[2:3]
                                        ; implicit-def: $vgpr8_vgpr9
	s_and_saveexec_b64 s[6:7], vcc
	s_xor_b64 s[6:7], exec, s[6:7]
                                        ; implicit-def: $sgpr14_sgpr15
	s_cbranch_execz .LBB47_8
; %bb.7:
	v_lshl_add_u64 v[8:9], v[2:3], 3, s[4:5]
	global_load_dwordx2 v[8:9], v[8:9], off
	s_mov_b64 s[2:3], exec
	s_mov_b32 s15, 0
	s_waitcnt vmcnt(0)
	v_subrev_co_u32_e32 v8, vcc, s12, v8
	s_nop 1
	v_subbrev_co_u32_e32 v9, vcc, 0, v9, vcc
.LBB47_8:
	s_or_b64 exec, exec, s[6:7]
	s_mov_b64 s[8:9], s[2:3]
.LBB47_9:
	s_and_b64 exec, exec, s[8:9]
	s_cbranch_execnz .LBB47_15
.LBB47_10:
	s_endpgm
.LBB47_11:
                                        ; implicit-def: $vgpr8_vgpr9
                                        ; implicit-def: $sgpr14_sgpr15
	s_cbranch_execz .LBB47_9
; %bb.12:
	s_load_dwordx2 s[2:3], s[0:1], 0x0
                                        ; implicit-def: $vgpr8_vgpr9
	s_waitcnt lgkmcnt(0)
	v_cmp_gt_i64_e32 vcc, s[2:3], v[2:3]
	s_and_saveexec_b64 s[2:3], vcc
                                        ; implicit-def: $sgpr14_sgpr15
; %bb.13:
	s_mov_b32 s15, 0
	s_or_b64 s[8:9], s[8:9], exec
	v_mov_b64_e32 v[8:9], v[2:3]
; %bb.14:
	s_or_b64 exec, exec, s[2:3]
	s_and_b64 exec, exec, s[8:9]
	s_cbranch_execz .LBB47_10
.LBB47_15:
	s_load_dwordx8 s[4:11], s[0:1], 0x28
	v_lshlrev_b64 v[2:3], 3, v[8:9]
	s_load_dword s2, s[0:1], 0x8
	v_mov_b32_e32 v16, s15
	v_and_b32_e32 v0, 15, v0
	s_waitcnt lgkmcnt(0)
	v_lshl_add_u64 v[10:11], s[4:5], 0, v[2:3]
	global_load_dwordx2 v[12:13], v[10:11], off
	s_cmp_eq_u64 s[6:7], 0
	v_lshl_add_u64 v[2:3], s[6:7], 0, v[2:3]
	v_lshl_add_u64 v[10:11], v[10:11], 0, 8
	s_cselect_b64 vcc, -1, 0
	v_cndmask_b32_e32 v3, v3, v11, vcc
	v_cndmask_b32_e32 v2, v2, v10, vcc
	global_load_dwordx2 v[2:3], v[2:3], off
	v_mov_b32_e32 v1, 0
	s_load_dwordx2 s[4:5], s[0:1], 0x48
	s_movk_i32 s6, 0x48
	v_mov_b64_e32 v[14:15], s[10:11]
	s_cmp_eq_u32 s2, 1
	s_waitcnt vmcnt(1)
	v_subrev_co_u32_e32 v10, vcc, s12, v12
	s_nop 1
	v_subb_co_u32_e32 v11, vcc, v13, v16, vcc
	v_lshl_add_u64 v[10:11], v[10:11], 0, v[0:1]
	v_mad_u64_u32 v[14:15], s[2:3], v10, s6, v[14:15]
	s_waitcnt vmcnt(0)
	v_subrev_co_u32_e32 v12, vcc, s12, v2
	v_mov_b32_e32 v2, v15
	s_nop 0
	v_subb_co_u32_e32 v13, vcc, v3, v16, vcc
	v_mad_u64_u32 v[2:3], s[2:3], v11, s6, v[2:3]
	v_mov_b32_e32 v15, v2
	v_cmp_lt_i64_e64 s[2:3], v[10:11], v[12:13]
	s_cbranch_scc1 .LBB47_21
; %bb.16:
	v_mov_b64_e32 v[2:3], 0
	s_mov_b64 s[6:7], 0
	v_mov_b64_e32 v[16:17], v[2:3]
	v_mov_b64_e32 v[18:19], v[2:3]
	s_and_saveexec_b64 s[10:11], s[2:3]
	s_cbranch_execz .LBB47_20
; %bb.17:
	v_mov_b64_e32 v[2:3], 0
	v_lshl_add_u64 v[20:21], v[10:11], 3, s[8:9]
	s_mov_b64 s[16:17], 0
	v_mov_b32_e32 v1, s15
	s_mov_b64 s[18:19], 0x480
	s_mov_b64 s[20:21], 0x80
	v_mov_b64_e32 v[22:23], v[14:15]
	v_mov_b64_e32 v[24:25], v[10:11]
	;; [unrolled: 1-line block ×4, first 2 shown]
.LBB47_18:                              ; =>This Inner Loop Header: Depth=1
	global_load_dwordx2 v[38:39], v[20:21], off
	global_load_dwordx4 v[26:29], v[22:23], off offset:48
	global_load_dwordx4 v[30:33], v[22:23], off offset:16
	global_load_dwordx4 v[34:37], v[22:23], off
	v_lshl_add_u64 v[24:25], v[24:25], 0, 16
	v_lshl_add_u64 v[20:21], v[20:21], 0, s[20:21]
	s_waitcnt vmcnt(3)
	v_subrev_co_u32_e32 v38, vcc, s12, v38
	s_waitcnt lgkmcnt(0)
	v_mad_u64_u32 v[46:47], s[22:23], v38, 24, s[4:5]
	v_subb_co_u32_e32 v39, vcc, v39, v1, vcc
	v_mov_b32_e32 v38, v47
	v_mad_u64_u32 v[38:39], s[22:23], v39, 24, v[38:39]
	v_mov_b32_e32 v47, v38
	global_load_dwordx4 v[38:41], v[46:47], off
	global_load_dwordx2 v[48:49], v[46:47], off offset:16
	global_load_dwordx4 v[42:45], v[22:23], off offset:32
	global_load_dwordx2 v[50:51], v[22:23], off offset:64
	v_cmp_ge_i64_e32 vcc, v[24:25], v[12:13]
	v_lshl_add_u64 v[22:23], v[22:23], 0, s[18:19]
	s_or_b64 s[16:17], vcc, s[16:17]
	s_waitcnt vmcnt(3)
	v_fmac_f64_e32 v[18:19], v[34:35], v[38:39]
	v_fmac_f64_e32 v[16:17], v[32:33], v[38:39]
	v_fmac_f64_e32 v[2:3], v[26:27], v[38:39]
	v_fmac_f64_e32 v[18:19], v[36:37], v[40:41]
	s_waitcnt vmcnt(1)
	v_fmac_f64_e32 v[16:17], v[42:43], v[40:41]
	v_fmac_f64_e32 v[2:3], v[28:29], v[40:41]
	;; [unrolled: 1-line block ×4, first 2 shown]
	s_waitcnt vmcnt(0)
	v_fmac_f64_e32 v[2:3], v[50:51], v[48:49]
	s_andn2_b64 exec, exec, s[16:17]
	s_cbranch_execnz .LBB47_18
; %bb.19:
	s_or_b64 exec, exec, s[16:17]
.LBB47_20:
	s_or_b64 exec, exec, s[10:11]
	s_andn2_b64 vcc, exec, s[6:7]
	s_cbranch_vccz .LBB47_22
	s_branch .LBB47_27
.LBB47_21:
                                        ; implicit-def: $vgpr2_vgpr3
                                        ; implicit-def: $vgpr16_vgpr17
                                        ; implicit-def: $vgpr18_vgpr19
.LBB47_22:
	v_mov_b64_e32 v[2:3], 0
	v_mov_b64_e32 v[16:17], v[2:3]
	;; [unrolled: 1-line block ×3, first 2 shown]
	s_and_saveexec_b64 s[6:7], s[2:3]
	s_cbranch_execz .LBB47_26
; %bb.23:
	v_mov_b64_e32 v[2:3], 0
	v_lshl_add_u64 v[20:21], v[10:11], 3, s[8:9]
	s_mov_b64 s[2:3], 0
	v_mov_b32_e32 v1, s15
	s_mov_b64 s[8:9], 0x480
	s_mov_b64 s[10:11], 0x80
	v_mov_b64_e32 v[16:17], v[2:3]
	v_mov_b64_e32 v[18:19], v[2:3]
.LBB47_24:                              ; =>This Inner Loop Header: Depth=1
	global_load_dwordx2 v[34:35], v[20:21], off
	global_load_dwordx4 v[22:25], v[14:15], off offset:32
	global_load_dwordx4 v[26:29], v[14:15], off offset:16
	global_load_dwordx4 v[30:33], v[14:15], off
	v_lshl_add_u64 v[10:11], v[10:11], 0, 16
	v_lshl_add_u64 v[20:21], v[20:21], 0, s[10:11]
	s_waitcnt vmcnt(3)
	v_subrev_co_u32_e32 v34, vcc, s12, v34
	s_waitcnt lgkmcnt(0)
	v_mad_u64_u32 v[42:43], s[14:15], v34, 24, s[4:5]
	v_subb_co_u32_e32 v35, vcc, v35, v1, vcc
	v_mov_b32_e32 v34, v43
	v_mad_u64_u32 v[34:35], s[14:15], v35, 24, v[34:35]
	v_mov_b32_e32 v43, v34
	global_load_dwordx4 v[34:37], v[42:43], off
	global_load_dwordx2 v[44:45], v[42:43], off offset:16
	global_load_dwordx4 v[38:41], v[14:15], off offset:48
	global_load_dwordx2 v[46:47], v[14:15], off offset:64
	v_cmp_ge_i64_e32 vcc, v[10:11], v[12:13]
	v_lshl_add_u64 v[14:15], v[14:15], 0, s[8:9]
	s_or_b64 s[2:3], vcc, s[2:3]
	s_waitcnt vmcnt(3)
	v_fmac_f64_e32 v[18:19], v[30:31], v[34:35]
	v_fmac_f64_e32 v[16:17], v[32:33], v[34:35]
	;; [unrolled: 1-line block ×6, first 2 shown]
	s_waitcnt vmcnt(1)
	v_fmac_f64_e32 v[18:19], v[38:39], v[44:45]
	v_fmac_f64_e32 v[16:17], v[40:41], v[44:45]
	s_waitcnt vmcnt(0)
	v_fmac_f64_e32 v[2:3], v[46:47], v[44:45]
	s_andn2_b64 exec, exec, s[2:3]
	s_cbranch_execnz .LBB47_24
; %bb.25:
	s_or_b64 exec, exec, s[2:3]
.LBB47_26:
	s_or_b64 exec, exec, s[6:7]
.LBB47_27:
	v_mov_b32_dpp v10, v18 row_shr:1 row_mask:0xf bank_mask:0xf
	v_mov_b32_dpp v11, v19 row_shr:1 row_mask:0xf bank_mask:0xf
	v_add_f64 v[10:11], v[18:19], v[10:11]
	v_mov_b32_dpp v14, v16 row_shr:1 row_mask:0xf bank_mask:0xf
	v_mov_b32_dpp v15, v17 row_shr:1 row_mask:0xf bank_mask:0xf
	;; [unrolled: 1-line block ×4, first 2 shown]
	v_add_f64 v[14:15], v[16:17], v[14:15]
	v_add_f64 v[2:3], v[2:3], v[18:19]
	v_mov_b32_dpp v12, v10 row_shr:2 row_mask:0xf bank_mask:0xf
	v_mov_b32_dpp v13, v11 row_shr:2 row_mask:0xf bank_mask:0xf
	;; [unrolled: 1-line block ×6, first 2 shown]
	v_add_f64 v[10:11], v[10:11], v[12:13]
	v_add_f64 v[14:15], v[14:15], v[16:17]
	;; [unrolled: 1-line block ×3, first 2 shown]
	v_mov_b32_dpp v12, v10 row_shr:4 row_mask:0xf bank_mask:0xe
	v_mov_b32_dpp v13, v11 row_shr:4 row_mask:0xf bank_mask:0xe
	;; [unrolled: 1-line block ×6, first 2 shown]
	v_add_f64 v[10:11], v[10:11], v[12:13]
	v_add_f64 v[14:15], v[14:15], v[16:17]
	v_add_f64 v[2:3], v[2:3], v[18:19]
	v_mov_b32_dpp v12, v10 row_shr:8 row_mask:0xf bank_mask:0xc
	v_mov_b32_dpp v13, v11 row_shr:8 row_mask:0xf bank_mask:0xc
	;; [unrolled: 1-line block ×6, first 2 shown]
	v_cmp_eq_u32_e32 vcc, 15, v0
	s_and_b64 exec, exec, vcc
	s_cbranch_execz .LBB47_10
; %bb.28:
	s_load_dwordx2 s[0:1], s[0:1], 0x58
	v_add_f64 v[0:1], v[10:11], v[12:13]
	v_add_f64 v[10:11], v[14:15], v[16:17]
	;; [unrolled: 1-line block ×3, first 2 shown]
	v_cmp_eq_f64_e32 vcc, 0, v[4:5]
	v_mul_f64 v[0:1], v[6:7], v[0:1]
	v_mul_f64 v[2:3], v[6:7], v[10:11]
	;; [unrolled: 1-line block ×3, first 2 shown]
	s_and_saveexec_b64 s[2:3], vcc
	s_xor_b64 s[2:3], exec, s[2:3]
	s_cbranch_execz .LBB47_30
; %bb.29:
	s_waitcnt lgkmcnt(0)
	v_mad_u64_u32 v[4:5], s[4:5], v8, 24, s[0:1]
	v_mov_b32_e32 v8, v5
	v_mad_u64_u32 v[8:9], s[4:5], v9, 24, v[8:9]
	v_mov_b32_e32 v5, v8
	global_store_dwordx4 v[4:5], v[0:3], off
	global_store_dwordx2 v[4:5], v[6:7], off offset:16
                                        ; implicit-def: $vgpr8_vgpr9
                                        ; implicit-def: $vgpr4_vgpr5
                                        ; implicit-def: $vgpr0_vgpr1
                                        ; implicit-def: $vgpr6_vgpr7
.LBB47_30:
	s_andn2_saveexec_b64 s[2:3], s[2:3]
	s_cbranch_execz .LBB47_10
; %bb.31:
	s_waitcnt lgkmcnt(0)
	v_mad_u64_u32 v[12:13], s[0:1], v8, 24, s[0:1]
	v_mov_b32_e32 v8, v13
	v_mad_u64_u32 v[8:9], s[0:1], v9, 24, v[8:9]
	v_mov_b32_e32 v13, v8
	global_load_dwordx4 v[8:11], v[12:13], off
	global_load_dwordx2 v[14:15], v[12:13], off offset:16
	s_waitcnt vmcnt(1)
	v_fmac_f64_e32 v[0:1], v[4:5], v[8:9]
	v_fmac_f64_e32 v[2:3], v[4:5], v[10:11]
	s_waitcnt vmcnt(0)
	v_fmac_f64_e32 v[6:7], v[4:5], v[14:15]
	global_store_dwordx4 v[12:13], v[0:3], off
	global_store_dwordx2 v[12:13], v[6:7], off offset:16
	s_endpgm
	.section	.rodata,"a",@progbits
	.p2align	6, 0x0
	.amdhsa_kernel _ZN9rocsparseL18bsrxmvn_3x3_kernelILj256ELj16EdlldddEEvT3_20rocsparse_direction_NS_24const_host_device_scalarIT1_EES1_PKS1_PKT2_SA_S7_PKT4_PKT5_S5_PT6_21rocsparse_index_base_b
		.amdhsa_group_segment_fixed_size 0
		.amdhsa_private_segment_fixed_size 0
		.amdhsa_kernarg_size 104
		.amdhsa_user_sgpr_count 2
		.amdhsa_user_sgpr_dispatch_ptr 0
		.amdhsa_user_sgpr_queue_ptr 0
		.amdhsa_user_sgpr_kernarg_segment_ptr 1
		.amdhsa_user_sgpr_dispatch_id 0
		.amdhsa_user_sgpr_kernarg_preload_length 0
		.amdhsa_user_sgpr_kernarg_preload_offset 0
		.amdhsa_user_sgpr_private_segment_size 0
		.amdhsa_uses_dynamic_stack 0
		.amdhsa_enable_private_segment 0
		.amdhsa_system_sgpr_workgroup_id_x 1
		.amdhsa_system_sgpr_workgroup_id_y 0
		.amdhsa_system_sgpr_workgroup_id_z 0
		.amdhsa_system_sgpr_workgroup_info 0
		.amdhsa_system_vgpr_workitem_id 0
		.amdhsa_next_free_vgpr 52
		.amdhsa_next_free_sgpr 24
		.amdhsa_accum_offset 52
		.amdhsa_reserve_vcc 1
		.amdhsa_float_round_mode_32 0
		.amdhsa_float_round_mode_16_64 0
		.amdhsa_float_denorm_mode_32 3
		.amdhsa_float_denorm_mode_16_64 3
		.amdhsa_dx10_clamp 1
		.amdhsa_ieee_mode 1
		.amdhsa_fp16_overflow 0
		.amdhsa_tg_split 0
		.amdhsa_exception_fp_ieee_invalid_op 0
		.amdhsa_exception_fp_denorm_src 0
		.amdhsa_exception_fp_ieee_div_zero 0
		.amdhsa_exception_fp_ieee_overflow 0
		.amdhsa_exception_fp_ieee_underflow 0
		.amdhsa_exception_fp_ieee_inexact 0
		.amdhsa_exception_int_div_zero 0
	.end_amdhsa_kernel
	.section	.text._ZN9rocsparseL18bsrxmvn_3x3_kernelILj256ELj16EdlldddEEvT3_20rocsparse_direction_NS_24const_host_device_scalarIT1_EES1_PKS1_PKT2_SA_S7_PKT4_PKT5_S5_PT6_21rocsparse_index_base_b,"axG",@progbits,_ZN9rocsparseL18bsrxmvn_3x3_kernelILj256ELj16EdlldddEEvT3_20rocsparse_direction_NS_24const_host_device_scalarIT1_EES1_PKS1_PKT2_SA_S7_PKT4_PKT5_S5_PT6_21rocsparse_index_base_b,comdat
.Lfunc_end47:
	.size	_ZN9rocsparseL18bsrxmvn_3x3_kernelILj256ELj16EdlldddEEvT3_20rocsparse_direction_NS_24const_host_device_scalarIT1_EES1_PKS1_PKT2_SA_S7_PKT4_PKT5_S5_PT6_21rocsparse_index_base_b, .Lfunc_end47-_ZN9rocsparseL18bsrxmvn_3x3_kernelILj256ELj16EdlldddEEvT3_20rocsparse_direction_NS_24const_host_device_scalarIT1_EES1_PKS1_PKT2_SA_S7_PKT4_PKT5_S5_PT6_21rocsparse_index_base_b
                                        ; -- End function
	.section	.AMDGPU.csdata,"",@progbits
; Kernel info:
; codeLenInByte = 1512
; NumSgprs: 30
; NumVgprs: 52
; NumAgprs: 0
; TotalNumVgprs: 52
; ScratchSize: 0
; MemoryBound: 1
; FloatMode: 240
; IeeeMode: 1
; LDSByteSize: 0 bytes/workgroup (compile time only)
; SGPRBlocks: 3
; VGPRBlocks: 6
; NumSGPRsForWavesPerEU: 30
; NumVGPRsForWavesPerEU: 52
; AccumOffset: 52
; Occupancy: 8
; WaveLimiterHint : 1
; COMPUTE_PGM_RSRC2:SCRATCH_EN: 0
; COMPUTE_PGM_RSRC2:USER_SGPR: 2
; COMPUTE_PGM_RSRC2:TRAP_HANDLER: 0
; COMPUTE_PGM_RSRC2:TGID_X_EN: 1
; COMPUTE_PGM_RSRC2:TGID_Y_EN: 0
; COMPUTE_PGM_RSRC2:TGID_Z_EN: 0
; COMPUTE_PGM_RSRC2:TIDIG_COMP_CNT: 0
; COMPUTE_PGM_RSRC3_GFX90A:ACCUM_OFFSET: 12
; COMPUTE_PGM_RSRC3_GFX90A:TG_SPLIT: 0
	.section	.text._ZN9rocsparseL18bsrxmvn_3x3_kernelILj256ELj32EdlldddEEvT3_20rocsparse_direction_NS_24const_host_device_scalarIT1_EES1_PKS1_PKT2_SA_S7_PKT4_PKT5_S5_PT6_21rocsparse_index_base_b,"axG",@progbits,_ZN9rocsparseL18bsrxmvn_3x3_kernelILj256ELj32EdlldddEEvT3_20rocsparse_direction_NS_24const_host_device_scalarIT1_EES1_PKS1_PKT2_SA_S7_PKT4_PKT5_S5_PT6_21rocsparse_index_base_b,comdat
	.globl	_ZN9rocsparseL18bsrxmvn_3x3_kernelILj256ELj32EdlldddEEvT3_20rocsparse_direction_NS_24const_host_device_scalarIT1_EES1_PKS1_PKT2_SA_S7_PKT4_PKT5_S5_PT6_21rocsparse_index_base_b ; -- Begin function _ZN9rocsparseL18bsrxmvn_3x3_kernelILj256ELj32EdlldddEEvT3_20rocsparse_direction_NS_24const_host_device_scalarIT1_EES1_PKS1_PKT2_SA_S7_PKT4_PKT5_S5_PT6_21rocsparse_index_base_b
	.p2align	8
	.type	_ZN9rocsparseL18bsrxmvn_3x3_kernelILj256ELj32EdlldddEEvT3_20rocsparse_direction_NS_24const_host_device_scalarIT1_EES1_PKS1_PKT2_SA_S7_PKT4_PKT5_S5_PT6_21rocsparse_index_base_b,@function
_ZN9rocsparseL18bsrxmvn_3x3_kernelILj256ELj32EdlldddEEvT3_20rocsparse_direction_NS_24const_host_device_scalarIT1_EES1_PKS1_PKT2_SA_S7_PKT4_PKT5_S5_PT6_21rocsparse_index_base_b: ; @_ZN9rocsparseL18bsrxmvn_3x3_kernelILj256ELj32EdlldddEEvT3_20rocsparse_direction_NS_24const_host_device_scalarIT1_EES1_PKS1_PKT2_SA_S7_PKT4_PKT5_S5_PT6_21rocsparse_index_base_b
; %bb.0:
	s_load_dwordx2 s[12:13], s[0:1], 0x60
	s_load_dwordx4 s[4:7], s[0:1], 0x10
	s_load_dwordx2 s[8:9], s[0:1], 0x50
	s_waitcnt lgkmcnt(0)
	s_bitcmp1_b32 s13, 0
	s_cselect_b64 s[14:15], -1, 0
	s_xor_b64 s[10:11], s[14:15], -1
	s_and_b64 vcc, exec, s[14:15]
	v_mov_b64_e32 v[6:7], s[4:5]
	s_cbranch_vccnz .LBB48_2
; %bb.1:
	v_mov_b64_e32 v[2:3], s[4:5]
	flat_load_dwordx2 v[6:7], v[2:3]
.LBB48_2:
	s_andn2_b64 vcc, exec, s[10:11]
	v_mov_b64_e32 v[4:5], s[8:9]
	s_cbranch_vccnz .LBB48_4
; %bb.3:
	v_mov_b64_e32 v[2:3], s[8:9]
	flat_load_dwordx2 v[4:5], v[2:3]
.LBB48_4:
	s_waitcnt vmcnt(0) lgkmcnt(0)
	v_cmp_neq_f64_e32 vcc, 0, v[6:7]
	v_cmp_neq_f64_e64 s[4:5], 1.0, v[4:5]
	s_mov_b64 s[8:9], 0
	s_or_b64 s[4:5], vcc, s[4:5]
	s_and_saveexec_b64 s[10:11], s[4:5]
	s_cbranch_execz .LBB48_10
; %bb.5:
	s_load_dwordx2 s[4:5], s[0:1], 0x20
	v_lshrrev_b32_e32 v1, 5, v0
	v_lshl_or_b32 v2, s2, 3, v1
	v_mov_b32_e32 v3, 0
	s_mov_b64 s[2:3], 0
	s_waitcnt lgkmcnt(0)
	s_cmp_lg_u64 s[4:5], 0
	s_cbranch_scc0 .LBB48_11
; %bb.6:
	v_cmp_gt_i64_e32 vcc, s[6:7], v[2:3]
                                        ; implicit-def: $vgpr8_vgpr9
	s_and_saveexec_b64 s[6:7], vcc
	s_xor_b64 s[6:7], exec, s[6:7]
                                        ; implicit-def: $sgpr14_sgpr15
	s_cbranch_execz .LBB48_8
; %bb.7:
	v_lshl_add_u64 v[8:9], v[2:3], 3, s[4:5]
	global_load_dwordx2 v[8:9], v[8:9], off
	s_mov_b64 s[2:3], exec
	s_mov_b32 s15, 0
	s_waitcnt vmcnt(0)
	v_subrev_co_u32_e32 v8, vcc, s12, v8
	s_nop 1
	v_subbrev_co_u32_e32 v9, vcc, 0, v9, vcc
.LBB48_8:
	s_or_b64 exec, exec, s[6:7]
	s_mov_b64 s[8:9], s[2:3]
.LBB48_9:
	s_and_b64 exec, exec, s[8:9]
	s_cbranch_execnz .LBB48_15
.LBB48_10:
	s_endpgm
.LBB48_11:
                                        ; implicit-def: $vgpr8_vgpr9
                                        ; implicit-def: $sgpr14_sgpr15
	s_cbranch_execz .LBB48_9
; %bb.12:
	s_load_dwordx2 s[2:3], s[0:1], 0x0
                                        ; implicit-def: $vgpr8_vgpr9
	s_waitcnt lgkmcnt(0)
	v_cmp_gt_i64_e32 vcc, s[2:3], v[2:3]
	s_and_saveexec_b64 s[2:3], vcc
                                        ; implicit-def: $sgpr14_sgpr15
; %bb.13:
	s_mov_b32 s15, 0
	s_or_b64 s[8:9], s[8:9], exec
	v_mov_b64_e32 v[8:9], v[2:3]
; %bb.14:
	s_or_b64 exec, exec, s[2:3]
	s_and_b64 exec, exec, s[8:9]
	s_cbranch_execz .LBB48_10
.LBB48_15:
	s_load_dwordx8 s[4:11], s[0:1], 0x28
	v_lshlrev_b64 v[2:3], 3, v[8:9]
	s_load_dword s2, s[0:1], 0x8
	v_mov_b32_e32 v15, s15
	v_and_b32_e32 v0, 31, v0
	s_waitcnt lgkmcnt(0)
	v_lshl_add_u64 v[10:11], s[4:5], 0, v[2:3]
	global_load_dwordx2 v[12:13], v[10:11], off
	s_cmp_eq_u64 s[6:7], 0
	v_lshl_add_u64 v[2:3], s[6:7], 0, v[2:3]
	v_lshl_add_u64 v[10:11], v[10:11], 0, 8
	s_cselect_b64 vcc, -1, 0
	v_cndmask_b32_e32 v3, v3, v11, vcc
	v_cndmask_b32_e32 v2, v2, v10, vcc
	global_load_dwordx2 v[2:3], v[2:3], off
	v_mov_b32_e32 v1, 0
	s_load_dwordx2 s[4:5], s[0:1], 0x48
	s_movk_i32 s6, 0x48
	v_mov_b64_e32 v[10:11], s[10:11]
	s_cmp_eq_u32 s2, 1
	s_waitcnt vmcnt(1)
	v_subrev_co_u32_e32 v12, vcc, s12, v12
	s_nop 1
	v_subb_co_u32_e32 v13, vcc, v13, v15, vcc
	v_lshl_add_u64 v[12:13], v[12:13], 0, v[0:1]
	v_mad_u64_u32 v[16:17], s[2:3], v12, s6, v[10:11]
	s_waitcnt vmcnt(0)
	v_subrev_co_u32_e32 v14, vcc, s12, v2
	v_mov_b32_e32 v2, v17
	s_nop 0
	v_subb_co_u32_e32 v15, vcc, v3, v15, vcc
	v_mad_u64_u32 v[2:3], s[2:3], v13, s6, v[2:3]
	v_mov_b32_e32 v17, v2
	v_cmp_lt_i64_e64 s[2:3], v[12:13], v[14:15]
	s_cbranch_scc1 .LBB48_21
; %bb.16:
	v_mov_b64_e32 v[2:3], 0
	s_mov_b64 s[6:7], 0
	v_mov_b64_e32 v[10:11], v[2:3]
	v_mov_b64_e32 v[18:19], v[2:3]
	s_and_saveexec_b64 s[10:11], s[2:3]
	s_cbranch_execz .LBB48_20
; %bb.17:
	v_mov_b64_e32 v[2:3], 0
	v_lshl_add_u64 v[20:21], v[12:13], 3, s[8:9]
	s_mov_b64 s[16:17], 0
	v_mov_b32_e32 v1, s15
	s_mov_b64 s[18:19], 0x900
	s_mov_b64 s[20:21], 0x100
	v_mov_b64_e32 v[22:23], v[16:17]
	v_mov_b64_e32 v[24:25], v[12:13]
	;; [unrolled: 1-line block ×4, first 2 shown]
.LBB48_18:                              ; =>This Inner Loop Header: Depth=1
	global_load_dwordx2 v[38:39], v[20:21], off
	global_load_dwordx4 v[26:29], v[22:23], off offset:48
	global_load_dwordx4 v[30:33], v[22:23], off offset:16
	global_load_dwordx4 v[34:37], v[22:23], off
	v_lshl_add_u64 v[24:25], v[24:25], 0, 32
	v_lshl_add_u64 v[20:21], v[20:21], 0, s[20:21]
	s_waitcnt vmcnt(3)
	v_subrev_co_u32_e32 v38, vcc, s12, v38
	s_waitcnt lgkmcnt(0)
	v_mad_u64_u32 v[46:47], s[22:23], v38, 24, s[4:5]
	v_subb_co_u32_e32 v39, vcc, v39, v1, vcc
	v_mov_b32_e32 v38, v47
	v_mad_u64_u32 v[38:39], s[22:23], v39, 24, v[38:39]
	v_mov_b32_e32 v47, v38
	global_load_dwordx4 v[38:41], v[46:47], off
	global_load_dwordx2 v[48:49], v[46:47], off offset:16
	global_load_dwordx4 v[42:45], v[22:23], off offset:32
	global_load_dwordx2 v[50:51], v[22:23], off offset:64
	v_cmp_ge_i64_e32 vcc, v[24:25], v[14:15]
	v_lshl_add_u64 v[22:23], v[22:23], 0, s[18:19]
	s_or_b64 s[16:17], vcc, s[16:17]
	s_waitcnt vmcnt(3)
	v_fmac_f64_e32 v[18:19], v[34:35], v[38:39]
	v_fmac_f64_e32 v[10:11], v[32:33], v[38:39]
	;; [unrolled: 1-line block ×4, first 2 shown]
	s_waitcnt vmcnt(1)
	v_fmac_f64_e32 v[10:11], v[42:43], v[40:41]
	v_fmac_f64_e32 v[2:3], v[28:29], v[40:41]
	;; [unrolled: 1-line block ×4, first 2 shown]
	s_waitcnt vmcnt(0)
	v_fmac_f64_e32 v[2:3], v[50:51], v[48:49]
	s_andn2_b64 exec, exec, s[16:17]
	s_cbranch_execnz .LBB48_18
; %bb.19:
	s_or_b64 exec, exec, s[16:17]
.LBB48_20:
	s_or_b64 exec, exec, s[10:11]
	s_andn2_b64 vcc, exec, s[6:7]
	s_cbranch_vccz .LBB48_22
	s_branch .LBB48_27
.LBB48_21:
                                        ; implicit-def: $vgpr2_vgpr3
                                        ; implicit-def: $vgpr10_vgpr11
                                        ; implicit-def: $vgpr18_vgpr19
.LBB48_22:
	v_mov_b64_e32 v[2:3], 0
	v_mov_b64_e32 v[10:11], v[2:3]
	;; [unrolled: 1-line block ×3, first 2 shown]
	s_and_saveexec_b64 s[6:7], s[2:3]
	s_cbranch_execz .LBB48_26
; %bb.23:
	v_mov_b64_e32 v[2:3], 0
	v_lshl_add_u64 v[20:21], v[12:13], 3, s[8:9]
	s_mov_b64 s[2:3], 0
	v_mov_b32_e32 v1, s15
	s_mov_b64 s[8:9], 0x900
	s_mov_b64 s[10:11], 0x100
	v_mov_b64_e32 v[10:11], v[2:3]
	v_mov_b64_e32 v[18:19], v[2:3]
.LBB48_24:                              ; =>This Inner Loop Header: Depth=1
	global_load_dwordx2 v[34:35], v[20:21], off
	global_load_dwordx4 v[22:25], v[16:17], off offset:32
	global_load_dwordx4 v[26:29], v[16:17], off offset:16
	global_load_dwordx4 v[30:33], v[16:17], off
	v_lshl_add_u64 v[12:13], v[12:13], 0, 32
	v_lshl_add_u64 v[20:21], v[20:21], 0, s[10:11]
	s_waitcnt vmcnt(3)
	v_subrev_co_u32_e32 v34, vcc, s12, v34
	s_waitcnt lgkmcnt(0)
	v_mad_u64_u32 v[42:43], s[14:15], v34, 24, s[4:5]
	v_subb_co_u32_e32 v35, vcc, v35, v1, vcc
	v_mov_b32_e32 v34, v43
	v_mad_u64_u32 v[34:35], s[14:15], v35, 24, v[34:35]
	v_mov_b32_e32 v43, v34
	global_load_dwordx4 v[34:37], v[42:43], off
	global_load_dwordx2 v[44:45], v[42:43], off offset:16
	global_load_dwordx4 v[38:41], v[16:17], off offset:48
	global_load_dwordx2 v[46:47], v[16:17], off offset:64
	v_cmp_ge_i64_e32 vcc, v[12:13], v[14:15]
	v_lshl_add_u64 v[16:17], v[16:17], 0, s[8:9]
	s_or_b64 s[2:3], vcc, s[2:3]
	s_waitcnt vmcnt(3)
	v_fmac_f64_e32 v[18:19], v[30:31], v[34:35]
	v_fmac_f64_e32 v[10:11], v[32:33], v[34:35]
	;; [unrolled: 1-line block ×6, first 2 shown]
	s_waitcnt vmcnt(1)
	v_fmac_f64_e32 v[18:19], v[38:39], v[44:45]
	v_fmac_f64_e32 v[10:11], v[40:41], v[44:45]
	s_waitcnt vmcnt(0)
	v_fmac_f64_e32 v[2:3], v[46:47], v[44:45]
	s_andn2_b64 exec, exec, s[2:3]
	s_cbranch_execnz .LBB48_24
; %bb.25:
	s_or_b64 exec, exec, s[2:3]
.LBB48_26:
	s_or_b64 exec, exec, s[6:7]
.LBB48_27:
	v_mov_b32_dpp v12, v18 row_shr:1 row_mask:0xf bank_mask:0xf
	v_mov_b32_dpp v13, v19 row_shr:1 row_mask:0xf bank_mask:0xf
	v_add_f64 v[12:13], v[18:19], v[12:13]
	v_mov_b32_dpp v16, v10 row_shr:1 row_mask:0xf bank_mask:0xf
	v_mov_b32_dpp v17, v11 row_shr:1 row_mask:0xf bank_mask:0xf
	;; [unrolled: 1-line block ×4, first 2 shown]
	v_add_f64 v[10:11], v[10:11], v[16:17]
	v_add_f64 v[2:3], v[2:3], v[18:19]
	v_mov_b32_dpp v14, v12 row_shr:2 row_mask:0xf bank_mask:0xf
	v_mov_b32_dpp v15, v13 row_shr:2 row_mask:0xf bank_mask:0xf
	v_mov_b32_dpp v16, v10 row_shr:2 row_mask:0xf bank_mask:0xf
	v_mov_b32_dpp v17, v11 row_shr:2 row_mask:0xf bank_mask:0xf
	v_mov_b32_dpp v18, v2 row_shr:2 row_mask:0xf bank_mask:0xf
	v_mov_b32_dpp v19, v3 row_shr:2 row_mask:0xf bank_mask:0xf
	v_add_f64 v[12:13], v[12:13], v[14:15]
	v_add_f64 v[10:11], v[10:11], v[16:17]
	v_add_f64 v[2:3], v[2:3], v[18:19]
	v_mov_b32_dpp v14, v12 row_shr:4 row_mask:0xf bank_mask:0xe
	v_mov_b32_dpp v15, v13 row_shr:4 row_mask:0xf bank_mask:0xe
	v_mov_b32_dpp v16, v10 row_shr:4 row_mask:0xf bank_mask:0xe
	v_mov_b32_dpp v17, v11 row_shr:4 row_mask:0xf bank_mask:0xe
	v_mov_b32_dpp v18, v2 row_shr:4 row_mask:0xf bank_mask:0xe
	v_mov_b32_dpp v19, v3 row_shr:4 row_mask:0xf bank_mask:0xe
	v_add_f64 v[12:13], v[12:13], v[14:15]
	;; [unrolled: 9-line block ×3, first 2 shown]
	v_add_f64 v[10:11], v[10:11], v[16:17]
	v_add_f64 v[2:3], v[2:3], v[18:19]
	v_mov_b32_dpp v14, v12 row_bcast:15 row_mask:0xa bank_mask:0xf
	v_mov_b32_dpp v15, v13 row_bcast:15 row_mask:0xa bank_mask:0xf
	;; [unrolled: 1-line block ×6, first 2 shown]
	v_cmp_eq_u32_e32 vcc, 31, v0
	s_and_b64 exec, exec, vcc
	s_cbranch_execz .LBB48_10
; %bb.28:
	s_load_dwordx2 s[0:1], s[0:1], 0x58
	v_add_f64 v[0:1], v[12:13], v[14:15]
	v_add_f64 v[10:11], v[10:11], v[16:17]
	;; [unrolled: 1-line block ×3, first 2 shown]
	v_cmp_eq_f64_e32 vcc, 0, v[4:5]
	v_mul_f64 v[0:1], v[6:7], v[0:1]
	v_mul_f64 v[2:3], v[6:7], v[10:11]
	;; [unrolled: 1-line block ×3, first 2 shown]
	s_and_saveexec_b64 s[2:3], vcc
	s_xor_b64 s[2:3], exec, s[2:3]
	s_cbranch_execz .LBB48_30
; %bb.29:
	s_waitcnt lgkmcnt(0)
	v_mad_u64_u32 v[4:5], s[4:5], v8, 24, s[0:1]
	v_mov_b32_e32 v8, v5
	v_mad_u64_u32 v[8:9], s[4:5], v9, 24, v[8:9]
	v_mov_b32_e32 v5, v8
	global_store_dwordx4 v[4:5], v[0:3], off
	global_store_dwordx2 v[4:5], v[6:7], off offset:16
                                        ; implicit-def: $vgpr8_vgpr9
                                        ; implicit-def: $vgpr4_vgpr5
                                        ; implicit-def: $vgpr0_vgpr1
                                        ; implicit-def: $vgpr6_vgpr7
.LBB48_30:
	s_andn2_saveexec_b64 s[2:3], s[2:3]
	s_cbranch_execz .LBB48_10
; %bb.31:
	s_waitcnt lgkmcnt(0)
	v_mad_u64_u32 v[12:13], s[0:1], v8, 24, s[0:1]
	v_mov_b32_e32 v8, v13
	v_mad_u64_u32 v[8:9], s[0:1], v9, 24, v[8:9]
	v_mov_b32_e32 v13, v8
	global_load_dwordx4 v[8:11], v[12:13], off
	global_load_dwordx2 v[14:15], v[12:13], off offset:16
	s_waitcnt vmcnt(1)
	v_fmac_f64_e32 v[0:1], v[4:5], v[8:9]
	v_fmac_f64_e32 v[2:3], v[4:5], v[10:11]
	s_waitcnt vmcnt(0)
	v_fmac_f64_e32 v[6:7], v[4:5], v[14:15]
	global_store_dwordx4 v[12:13], v[0:3], off
	global_store_dwordx2 v[12:13], v[6:7], off offset:16
	s_endpgm
	.section	.rodata,"a",@progbits
	.p2align	6, 0x0
	.amdhsa_kernel _ZN9rocsparseL18bsrxmvn_3x3_kernelILj256ELj32EdlldddEEvT3_20rocsparse_direction_NS_24const_host_device_scalarIT1_EES1_PKS1_PKT2_SA_S7_PKT4_PKT5_S5_PT6_21rocsparse_index_base_b
		.amdhsa_group_segment_fixed_size 0
		.amdhsa_private_segment_fixed_size 0
		.amdhsa_kernarg_size 104
		.amdhsa_user_sgpr_count 2
		.amdhsa_user_sgpr_dispatch_ptr 0
		.amdhsa_user_sgpr_queue_ptr 0
		.amdhsa_user_sgpr_kernarg_segment_ptr 1
		.amdhsa_user_sgpr_dispatch_id 0
		.amdhsa_user_sgpr_kernarg_preload_length 0
		.amdhsa_user_sgpr_kernarg_preload_offset 0
		.amdhsa_user_sgpr_private_segment_size 0
		.amdhsa_uses_dynamic_stack 0
		.amdhsa_enable_private_segment 0
		.amdhsa_system_sgpr_workgroup_id_x 1
		.amdhsa_system_sgpr_workgroup_id_y 0
		.amdhsa_system_sgpr_workgroup_id_z 0
		.amdhsa_system_sgpr_workgroup_info 0
		.amdhsa_system_vgpr_workitem_id 0
		.amdhsa_next_free_vgpr 52
		.amdhsa_next_free_sgpr 24
		.amdhsa_accum_offset 52
		.amdhsa_reserve_vcc 1
		.amdhsa_float_round_mode_32 0
		.amdhsa_float_round_mode_16_64 0
		.amdhsa_float_denorm_mode_32 3
		.amdhsa_float_denorm_mode_16_64 3
		.amdhsa_dx10_clamp 1
		.amdhsa_ieee_mode 1
		.amdhsa_fp16_overflow 0
		.amdhsa_tg_split 0
		.amdhsa_exception_fp_ieee_invalid_op 0
		.amdhsa_exception_fp_denorm_src 0
		.amdhsa_exception_fp_ieee_div_zero 0
		.amdhsa_exception_fp_ieee_overflow 0
		.amdhsa_exception_fp_ieee_underflow 0
		.amdhsa_exception_fp_ieee_inexact 0
		.amdhsa_exception_int_div_zero 0
	.end_amdhsa_kernel
	.section	.text._ZN9rocsparseL18bsrxmvn_3x3_kernelILj256ELj32EdlldddEEvT3_20rocsparse_direction_NS_24const_host_device_scalarIT1_EES1_PKS1_PKT2_SA_S7_PKT4_PKT5_S5_PT6_21rocsparse_index_base_b,"axG",@progbits,_ZN9rocsparseL18bsrxmvn_3x3_kernelILj256ELj32EdlldddEEvT3_20rocsparse_direction_NS_24const_host_device_scalarIT1_EES1_PKS1_PKT2_SA_S7_PKT4_PKT5_S5_PT6_21rocsparse_index_base_b,comdat
.Lfunc_end48:
	.size	_ZN9rocsparseL18bsrxmvn_3x3_kernelILj256ELj32EdlldddEEvT3_20rocsparse_direction_NS_24const_host_device_scalarIT1_EES1_PKS1_PKT2_SA_S7_PKT4_PKT5_S5_PT6_21rocsparse_index_base_b, .Lfunc_end48-_ZN9rocsparseL18bsrxmvn_3x3_kernelILj256ELj32EdlldddEEvT3_20rocsparse_direction_NS_24const_host_device_scalarIT1_EES1_PKS1_PKT2_SA_S7_PKT4_PKT5_S5_PT6_21rocsparse_index_base_b
                                        ; -- End function
	.section	.AMDGPU.csdata,"",@progbits
; Kernel info:
; codeLenInByte = 1584
; NumSgprs: 30
; NumVgprs: 52
; NumAgprs: 0
; TotalNumVgprs: 52
; ScratchSize: 0
; MemoryBound: 1
; FloatMode: 240
; IeeeMode: 1
; LDSByteSize: 0 bytes/workgroup (compile time only)
; SGPRBlocks: 3
; VGPRBlocks: 6
; NumSGPRsForWavesPerEU: 30
; NumVGPRsForWavesPerEU: 52
; AccumOffset: 52
; Occupancy: 8
; WaveLimiterHint : 1
; COMPUTE_PGM_RSRC2:SCRATCH_EN: 0
; COMPUTE_PGM_RSRC2:USER_SGPR: 2
; COMPUTE_PGM_RSRC2:TRAP_HANDLER: 0
; COMPUTE_PGM_RSRC2:TGID_X_EN: 1
; COMPUTE_PGM_RSRC2:TGID_Y_EN: 0
; COMPUTE_PGM_RSRC2:TGID_Z_EN: 0
; COMPUTE_PGM_RSRC2:TIDIG_COMP_CNT: 0
; COMPUTE_PGM_RSRC3_GFX90A:ACCUM_OFFSET: 12
; COMPUTE_PGM_RSRC3_GFX90A:TG_SPLIT: 0
	.section	.text._ZN9rocsparseL18bsrxmvn_3x3_kernelILj256ELj64EdlldddEEvT3_20rocsparse_direction_NS_24const_host_device_scalarIT1_EES1_PKS1_PKT2_SA_S7_PKT4_PKT5_S5_PT6_21rocsparse_index_base_b,"axG",@progbits,_ZN9rocsparseL18bsrxmvn_3x3_kernelILj256ELj64EdlldddEEvT3_20rocsparse_direction_NS_24const_host_device_scalarIT1_EES1_PKS1_PKT2_SA_S7_PKT4_PKT5_S5_PT6_21rocsparse_index_base_b,comdat
	.globl	_ZN9rocsparseL18bsrxmvn_3x3_kernelILj256ELj64EdlldddEEvT3_20rocsparse_direction_NS_24const_host_device_scalarIT1_EES1_PKS1_PKT2_SA_S7_PKT4_PKT5_S5_PT6_21rocsparse_index_base_b ; -- Begin function _ZN9rocsparseL18bsrxmvn_3x3_kernelILj256ELj64EdlldddEEvT3_20rocsparse_direction_NS_24const_host_device_scalarIT1_EES1_PKS1_PKT2_SA_S7_PKT4_PKT5_S5_PT6_21rocsparse_index_base_b
	.p2align	8
	.type	_ZN9rocsparseL18bsrxmvn_3x3_kernelILj256ELj64EdlldddEEvT3_20rocsparse_direction_NS_24const_host_device_scalarIT1_EES1_PKS1_PKT2_SA_S7_PKT4_PKT5_S5_PT6_21rocsparse_index_base_b,@function
_ZN9rocsparseL18bsrxmvn_3x3_kernelILj256ELj64EdlldddEEvT3_20rocsparse_direction_NS_24const_host_device_scalarIT1_EES1_PKS1_PKT2_SA_S7_PKT4_PKT5_S5_PT6_21rocsparse_index_base_b: ; @_ZN9rocsparseL18bsrxmvn_3x3_kernelILj256ELj64EdlldddEEvT3_20rocsparse_direction_NS_24const_host_device_scalarIT1_EES1_PKS1_PKT2_SA_S7_PKT4_PKT5_S5_PT6_21rocsparse_index_base_b
; %bb.0:
	s_load_dwordx2 s[12:13], s[0:1], 0x60
	s_load_dwordx4 s[4:7], s[0:1], 0x10
	s_load_dwordx2 s[8:9], s[0:1], 0x50
	s_waitcnt lgkmcnt(0)
	s_bitcmp1_b32 s13, 0
	s_cselect_b64 s[14:15], -1, 0
	s_xor_b64 s[10:11], s[14:15], -1
	s_and_b64 vcc, exec, s[14:15]
	v_mov_b64_e32 v[6:7], s[4:5]
	s_cbranch_vccnz .LBB49_2
; %bb.1:
	v_mov_b64_e32 v[2:3], s[4:5]
	flat_load_dwordx2 v[6:7], v[2:3]
.LBB49_2:
	s_andn2_b64 vcc, exec, s[10:11]
	v_mov_b64_e32 v[4:5], s[8:9]
	s_cbranch_vccnz .LBB49_4
; %bb.3:
	v_mov_b64_e32 v[2:3], s[8:9]
	flat_load_dwordx2 v[4:5], v[2:3]
.LBB49_4:
	s_waitcnt vmcnt(0) lgkmcnt(0)
	v_cmp_neq_f64_e32 vcc, 0, v[6:7]
	v_cmp_neq_f64_e64 s[4:5], 1.0, v[4:5]
	s_mov_b64 s[8:9], 0
	s_or_b64 s[4:5], vcc, s[4:5]
	s_and_saveexec_b64 s[10:11], s[4:5]
	s_cbranch_execz .LBB49_10
; %bb.5:
	s_load_dwordx2 s[4:5], s[0:1], 0x20
	v_lshrrev_b32_e32 v1, 6, v0
	v_lshl_or_b32 v2, s2, 2, v1
	v_mov_b32_e32 v3, 0
	s_mov_b64 s[2:3], 0
	s_waitcnt lgkmcnt(0)
	s_cmp_lg_u64 s[4:5], 0
	s_cbranch_scc0 .LBB49_11
; %bb.6:
	v_cmp_gt_i64_e32 vcc, s[6:7], v[2:3]
                                        ; implicit-def: $vgpr8_vgpr9
	s_and_saveexec_b64 s[6:7], vcc
	s_xor_b64 s[6:7], exec, s[6:7]
                                        ; implicit-def: $sgpr14_sgpr15
	s_cbranch_execz .LBB49_8
; %bb.7:
	v_lshl_add_u64 v[8:9], v[2:3], 3, s[4:5]
	global_load_dwordx2 v[8:9], v[8:9], off
	s_mov_b64 s[2:3], exec
	s_mov_b32 s15, 0
	s_waitcnt vmcnt(0)
	v_subrev_co_u32_e32 v8, vcc, s12, v8
	s_nop 1
	v_subbrev_co_u32_e32 v9, vcc, 0, v9, vcc
.LBB49_8:
	s_or_b64 exec, exec, s[6:7]
	s_mov_b64 s[8:9], s[2:3]
.LBB49_9:
	s_and_b64 exec, exec, s[8:9]
	s_cbranch_execnz .LBB49_15
.LBB49_10:
	s_endpgm
.LBB49_11:
                                        ; implicit-def: $vgpr8_vgpr9
                                        ; implicit-def: $sgpr14_sgpr15
	s_cbranch_execz .LBB49_9
; %bb.12:
	s_load_dwordx2 s[2:3], s[0:1], 0x0
                                        ; implicit-def: $vgpr8_vgpr9
	s_waitcnt lgkmcnt(0)
	v_cmp_gt_i64_e32 vcc, s[2:3], v[2:3]
	s_and_saveexec_b64 s[2:3], vcc
                                        ; implicit-def: $sgpr14_sgpr15
; %bb.13:
	s_mov_b32 s15, 0
	s_or_b64 s[8:9], s[8:9], exec
	v_mov_b64_e32 v[8:9], v[2:3]
; %bb.14:
	s_or_b64 exec, exec, s[2:3]
	s_and_b64 exec, exec, s[8:9]
	s_cbranch_execz .LBB49_10
.LBB49_15:
	s_load_dwordx8 s[4:11], s[0:1], 0x28
	v_lshlrev_b64 v[2:3], 3, v[8:9]
	s_load_dword s2, s[0:1], 0x8
	v_mov_b32_e32 v15, s15
	v_and_b32_e32 v0, 63, v0
	s_waitcnt lgkmcnt(0)
	v_lshl_add_u64 v[10:11], s[4:5], 0, v[2:3]
	global_load_dwordx2 v[12:13], v[10:11], off
	s_cmp_eq_u64 s[6:7], 0
	v_lshl_add_u64 v[2:3], s[6:7], 0, v[2:3]
	v_lshl_add_u64 v[10:11], v[10:11], 0, 8
	s_cselect_b64 vcc, -1, 0
	v_cndmask_b32_e32 v3, v3, v11, vcc
	v_cndmask_b32_e32 v2, v2, v10, vcc
	global_load_dwordx2 v[2:3], v[2:3], off
	v_mov_b32_e32 v1, 0
	s_load_dwordx2 s[4:5], s[0:1], 0x48
	s_movk_i32 s6, 0x48
	v_mov_b64_e32 v[10:11], s[10:11]
	s_cmp_eq_u32 s2, 1
	s_waitcnt vmcnt(1)
	v_subrev_co_u32_e32 v12, vcc, s12, v12
	s_nop 1
	v_subb_co_u32_e32 v13, vcc, v13, v15, vcc
	v_lshl_add_u64 v[12:13], v[12:13], 0, v[0:1]
	v_mad_u64_u32 v[16:17], s[2:3], v12, s6, v[10:11]
	s_waitcnt vmcnt(0)
	v_subrev_co_u32_e32 v14, vcc, s12, v2
	v_mov_b32_e32 v2, v17
	s_nop 0
	v_subb_co_u32_e32 v15, vcc, v3, v15, vcc
	v_mad_u64_u32 v[2:3], s[2:3], v13, s6, v[2:3]
	v_mov_b32_e32 v17, v2
	v_cmp_lt_i64_e64 s[2:3], v[12:13], v[14:15]
	s_cbranch_scc1 .LBB49_21
; %bb.16:
	v_mov_b64_e32 v[2:3], 0
	s_mov_b64 s[6:7], 0
	v_mov_b64_e32 v[10:11], v[2:3]
	v_mov_b64_e32 v[18:19], v[2:3]
	s_and_saveexec_b64 s[10:11], s[2:3]
	s_cbranch_execz .LBB49_20
; %bb.17:
	v_mov_b64_e32 v[2:3], 0
	v_lshl_add_u64 v[20:21], v[12:13], 3, s[8:9]
	s_mov_b64 s[16:17], 0
	v_mov_b32_e32 v1, s15
	s_mov_b64 s[18:19], 0x1200
	s_mov_b64 s[20:21], 0x200
	v_mov_b64_e32 v[22:23], v[16:17]
	v_mov_b64_e32 v[24:25], v[12:13]
	;; [unrolled: 1-line block ×4, first 2 shown]
.LBB49_18:                              ; =>This Inner Loop Header: Depth=1
	global_load_dwordx2 v[38:39], v[20:21], off
	global_load_dwordx4 v[26:29], v[22:23], off offset:48
	global_load_dwordx4 v[30:33], v[22:23], off offset:16
	global_load_dwordx4 v[34:37], v[22:23], off
	v_lshl_add_u64 v[24:25], v[24:25], 0, 64
	v_lshl_add_u64 v[20:21], v[20:21], 0, s[20:21]
	s_waitcnt vmcnt(3)
	v_subrev_co_u32_e32 v38, vcc, s12, v38
	s_waitcnt lgkmcnt(0)
	v_mad_u64_u32 v[46:47], s[22:23], v38, 24, s[4:5]
	v_subb_co_u32_e32 v39, vcc, v39, v1, vcc
	v_mov_b32_e32 v38, v47
	v_mad_u64_u32 v[38:39], s[22:23], v39, 24, v[38:39]
	v_mov_b32_e32 v47, v38
	global_load_dwordx4 v[38:41], v[46:47], off
	global_load_dwordx2 v[48:49], v[46:47], off offset:16
	global_load_dwordx4 v[42:45], v[22:23], off offset:32
	global_load_dwordx2 v[50:51], v[22:23], off offset:64
	v_cmp_ge_i64_e32 vcc, v[24:25], v[14:15]
	v_lshl_add_u64 v[22:23], v[22:23], 0, s[18:19]
	s_or_b64 s[16:17], vcc, s[16:17]
	s_waitcnt vmcnt(3)
	v_fmac_f64_e32 v[18:19], v[34:35], v[38:39]
	v_fmac_f64_e32 v[10:11], v[32:33], v[38:39]
	;; [unrolled: 1-line block ×4, first 2 shown]
	s_waitcnt vmcnt(1)
	v_fmac_f64_e32 v[10:11], v[42:43], v[40:41]
	v_fmac_f64_e32 v[2:3], v[28:29], v[40:41]
	;; [unrolled: 1-line block ×4, first 2 shown]
	s_waitcnt vmcnt(0)
	v_fmac_f64_e32 v[2:3], v[50:51], v[48:49]
	s_andn2_b64 exec, exec, s[16:17]
	s_cbranch_execnz .LBB49_18
; %bb.19:
	s_or_b64 exec, exec, s[16:17]
.LBB49_20:
	s_or_b64 exec, exec, s[10:11]
	s_andn2_b64 vcc, exec, s[6:7]
	s_cbranch_vccz .LBB49_22
	s_branch .LBB49_27
.LBB49_21:
                                        ; implicit-def: $vgpr2_vgpr3
                                        ; implicit-def: $vgpr10_vgpr11
                                        ; implicit-def: $vgpr18_vgpr19
.LBB49_22:
	v_mov_b64_e32 v[2:3], 0
	v_mov_b64_e32 v[10:11], v[2:3]
	;; [unrolled: 1-line block ×3, first 2 shown]
	s_and_saveexec_b64 s[6:7], s[2:3]
	s_cbranch_execz .LBB49_26
; %bb.23:
	v_mov_b64_e32 v[2:3], 0
	v_lshl_add_u64 v[20:21], v[12:13], 3, s[8:9]
	s_mov_b64 s[2:3], 0
	v_mov_b32_e32 v1, s15
	s_mov_b64 s[8:9], 0x1200
	s_mov_b64 s[10:11], 0x200
	v_mov_b64_e32 v[10:11], v[2:3]
	v_mov_b64_e32 v[18:19], v[2:3]
.LBB49_24:                              ; =>This Inner Loop Header: Depth=1
	global_load_dwordx2 v[34:35], v[20:21], off
	global_load_dwordx4 v[22:25], v[16:17], off offset:32
	global_load_dwordx4 v[26:29], v[16:17], off offset:16
	global_load_dwordx4 v[30:33], v[16:17], off
	v_lshl_add_u64 v[12:13], v[12:13], 0, 64
	v_lshl_add_u64 v[20:21], v[20:21], 0, s[10:11]
	s_waitcnt vmcnt(3)
	v_subrev_co_u32_e32 v34, vcc, s12, v34
	s_waitcnt lgkmcnt(0)
	v_mad_u64_u32 v[42:43], s[14:15], v34, 24, s[4:5]
	v_subb_co_u32_e32 v35, vcc, v35, v1, vcc
	v_mov_b32_e32 v34, v43
	v_mad_u64_u32 v[34:35], s[14:15], v35, 24, v[34:35]
	v_mov_b32_e32 v43, v34
	global_load_dwordx4 v[34:37], v[42:43], off
	global_load_dwordx2 v[44:45], v[42:43], off offset:16
	global_load_dwordx4 v[38:41], v[16:17], off offset:48
	global_load_dwordx2 v[46:47], v[16:17], off offset:64
	v_cmp_ge_i64_e32 vcc, v[12:13], v[14:15]
	v_lshl_add_u64 v[16:17], v[16:17], 0, s[8:9]
	s_or_b64 s[2:3], vcc, s[2:3]
	s_waitcnt vmcnt(3)
	v_fmac_f64_e32 v[18:19], v[30:31], v[34:35]
	v_fmac_f64_e32 v[10:11], v[32:33], v[34:35]
	;; [unrolled: 1-line block ×6, first 2 shown]
	s_waitcnt vmcnt(1)
	v_fmac_f64_e32 v[18:19], v[38:39], v[44:45]
	v_fmac_f64_e32 v[10:11], v[40:41], v[44:45]
	s_waitcnt vmcnt(0)
	v_fmac_f64_e32 v[2:3], v[46:47], v[44:45]
	s_andn2_b64 exec, exec, s[2:3]
	s_cbranch_execnz .LBB49_24
; %bb.25:
	s_or_b64 exec, exec, s[2:3]
.LBB49_26:
	s_or_b64 exec, exec, s[6:7]
.LBB49_27:
	v_mov_b32_dpp v12, v18 row_shr:1 row_mask:0xf bank_mask:0xf
	v_mov_b32_dpp v13, v19 row_shr:1 row_mask:0xf bank_mask:0xf
	v_add_f64 v[12:13], v[18:19], v[12:13]
	v_mov_b32_dpp v16, v10 row_shr:1 row_mask:0xf bank_mask:0xf
	v_mov_b32_dpp v17, v11 row_shr:1 row_mask:0xf bank_mask:0xf
	;; [unrolled: 1-line block ×4, first 2 shown]
	v_add_f64 v[10:11], v[10:11], v[16:17]
	v_add_f64 v[2:3], v[2:3], v[18:19]
	v_mov_b32_dpp v14, v12 row_shr:2 row_mask:0xf bank_mask:0xf
	v_mov_b32_dpp v15, v13 row_shr:2 row_mask:0xf bank_mask:0xf
	v_mov_b32_dpp v16, v10 row_shr:2 row_mask:0xf bank_mask:0xf
	v_mov_b32_dpp v17, v11 row_shr:2 row_mask:0xf bank_mask:0xf
	v_mov_b32_dpp v18, v2 row_shr:2 row_mask:0xf bank_mask:0xf
	v_mov_b32_dpp v19, v3 row_shr:2 row_mask:0xf bank_mask:0xf
	v_add_f64 v[12:13], v[12:13], v[14:15]
	v_add_f64 v[10:11], v[10:11], v[16:17]
	v_add_f64 v[2:3], v[2:3], v[18:19]
	v_mov_b32_dpp v14, v12 row_shr:4 row_mask:0xf bank_mask:0xe
	v_mov_b32_dpp v15, v13 row_shr:4 row_mask:0xf bank_mask:0xe
	v_mov_b32_dpp v16, v10 row_shr:4 row_mask:0xf bank_mask:0xe
	v_mov_b32_dpp v17, v11 row_shr:4 row_mask:0xf bank_mask:0xe
	v_mov_b32_dpp v18, v2 row_shr:4 row_mask:0xf bank_mask:0xe
	v_mov_b32_dpp v19, v3 row_shr:4 row_mask:0xf bank_mask:0xe
	v_add_f64 v[12:13], v[12:13], v[14:15]
	;; [unrolled: 9-line block ×3, first 2 shown]
	v_add_f64 v[10:11], v[10:11], v[16:17]
	v_add_f64 v[2:3], v[2:3], v[18:19]
	v_mov_b32_dpp v14, v12 row_bcast:15 row_mask:0xa bank_mask:0xf
	v_mov_b32_dpp v15, v13 row_bcast:15 row_mask:0xa bank_mask:0xf
	;; [unrolled: 1-line block ×6, first 2 shown]
	v_add_f64 v[12:13], v[12:13], v[14:15]
	v_add_f64 v[10:11], v[10:11], v[16:17]
	;; [unrolled: 1-line block ×3, first 2 shown]
	v_mov_b32_dpp v14, v12 row_bcast:31 row_mask:0xc bank_mask:0xf
	v_mov_b32_dpp v15, v13 row_bcast:31 row_mask:0xc bank_mask:0xf
	;; [unrolled: 1-line block ×6, first 2 shown]
	v_cmp_eq_u32_e32 vcc, 63, v0
	s_and_b64 exec, exec, vcc
	s_cbranch_execz .LBB49_10
; %bb.28:
	s_load_dwordx2 s[0:1], s[0:1], 0x58
	v_add_f64 v[0:1], v[12:13], v[14:15]
	v_add_f64 v[10:11], v[10:11], v[16:17]
	;; [unrolled: 1-line block ×3, first 2 shown]
	v_cmp_eq_f64_e32 vcc, 0, v[4:5]
	v_mul_f64 v[0:1], v[6:7], v[0:1]
	v_mul_f64 v[2:3], v[6:7], v[10:11]
	;; [unrolled: 1-line block ×3, first 2 shown]
	s_and_saveexec_b64 s[2:3], vcc
	s_xor_b64 s[2:3], exec, s[2:3]
	s_cbranch_execz .LBB49_30
; %bb.29:
	s_waitcnt lgkmcnt(0)
	v_mad_u64_u32 v[4:5], s[4:5], v8, 24, s[0:1]
	v_mov_b32_e32 v8, v5
	v_mad_u64_u32 v[8:9], s[4:5], v9, 24, v[8:9]
	v_mov_b32_e32 v5, v8
	global_store_dwordx4 v[4:5], v[0:3], off
	global_store_dwordx2 v[4:5], v[6:7], off offset:16
                                        ; implicit-def: $vgpr8_vgpr9
                                        ; implicit-def: $vgpr4_vgpr5
                                        ; implicit-def: $vgpr0_vgpr1
                                        ; implicit-def: $vgpr6_vgpr7
.LBB49_30:
	s_andn2_saveexec_b64 s[2:3], s[2:3]
	s_cbranch_execz .LBB49_10
; %bb.31:
	s_waitcnt lgkmcnt(0)
	v_mad_u64_u32 v[12:13], s[0:1], v8, 24, s[0:1]
	v_mov_b32_e32 v8, v13
	v_mad_u64_u32 v[8:9], s[0:1], v9, 24, v[8:9]
	v_mov_b32_e32 v13, v8
	global_load_dwordx4 v[8:11], v[12:13], off
	global_load_dwordx2 v[14:15], v[12:13], off offset:16
	s_waitcnt vmcnt(1)
	v_fmac_f64_e32 v[0:1], v[4:5], v[8:9]
	v_fmac_f64_e32 v[2:3], v[4:5], v[10:11]
	s_waitcnt vmcnt(0)
	v_fmac_f64_e32 v[6:7], v[4:5], v[14:15]
	global_store_dwordx4 v[12:13], v[0:3], off
	global_store_dwordx2 v[12:13], v[6:7], off offset:16
	s_endpgm
	.section	.rodata,"a",@progbits
	.p2align	6, 0x0
	.amdhsa_kernel _ZN9rocsparseL18bsrxmvn_3x3_kernelILj256ELj64EdlldddEEvT3_20rocsparse_direction_NS_24const_host_device_scalarIT1_EES1_PKS1_PKT2_SA_S7_PKT4_PKT5_S5_PT6_21rocsparse_index_base_b
		.amdhsa_group_segment_fixed_size 0
		.amdhsa_private_segment_fixed_size 0
		.amdhsa_kernarg_size 104
		.amdhsa_user_sgpr_count 2
		.amdhsa_user_sgpr_dispatch_ptr 0
		.amdhsa_user_sgpr_queue_ptr 0
		.amdhsa_user_sgpr_kernarg_segment_ptr 1
		.amdhsa_user_sgpr_dispatch_id 0
		.amdhsa_user_sgpr_kernarg_preload_length 0
		.amdhsa_user_sgpr_kernarg_preload_offset 0
		.amdhsa_user_sgpr_private_segment_size 0
		.amdhsa_uses_dynamic_stack 0
		.amdhsa_enable_private_segment 0
		.amdhsa_system_sgpr_workgroup_id_x 1
		.amdhsa_system_sgpr_workgroup_id_y 0
		.amdhsa_system_sgpr_workgroup_id_z 0
		.amdhsa_system_sgpr_workgroup_info 0
		.amdhsa_system_vgpr_workitem_id 0
		.amdhsa_next_free_vgpr 52
		.amdhsa_next_free_sgpr 24
		.amdhsa_accum_offset 52
		.amdhsa_reserve_vcc 1
		.amdhsa_float_round_mode_32 0
		.amdhsa_float_round_mode_16_64 0
		.amdhsa_float_denorm_mode_32 3
		.amdhsa_float_denorm_mode_16_64 3
		.amdhsa_dx10_clamp 1
		.amdhsa_ieee_mode 1
		.amdhsa_fp16_overflow 0
		.amdhsa_tg_split 0
		.amdhsa_exception_fp_ieee_invalid_op 0
		.amdhsa_exception_fp_denorm_src 0
		.amdhsa_exception_fp_ieee_div_zero 0
		.amdhsa_exception_fp_ieee_overflow 0
		.amdhsa_exception_fp_ieee_underflow 0
		.amdhsa_exception_fp_ieee_inexact 0
		.amdhsa_exception_int_div_zero 0
	.end_amdhsa_kernel
	.section	.text._ZN9rocsparseL18bsrxmvn_3x3_kernelILj256ELj64EdlldddEEvT3_20rocsparse_direction_NS_24const_host_device_scalarIT1_EES1_PKS1_PKT2_SA_S7_PKT4_PKT5_S5_PT6_21rocsparse_index_base_b,"axG",@progbits,_ZN9rocsparseL18bsrxmvn_3x3_kernelILj256ELj64EdlldddEEvT3_20rocsparse_direction_NS_24const_host_device_scalarIT1_EES1_PKS1_PKT2_SA_S7_PKT4_PKT5_S5_PT6_21rocsparse_index_base_b,comdat
.Lfunc_end49:
	.size	_ZN9rocsparseL18bsrxmvn_3x3_kernelILj256ELj64EdlldddEEvT3_20rocsparse_direction_NS_24const_host_device_scalarIT1_EES1_PKS1_PKT2_SA_S7_PKT4_PKT5_S5_PT6_21rocsparse_index_base_b, .Lfunc_end49-_ZN9rocsparseL18bsrxmvn_3x3_kernelILj256ELj64EdlldddEEvT3_20rocsparse_direction_NS_24const_host_device_scalarIT1_EES1_PKS1_PKT2_SA_S7_PKT4_PKT5_S5_PT6_21rocsparse_index_base_b
                                        ; -- End function
	.section	.AMDGPU.csdata,"",@progbits
; Kernel info:
; codeLenInByte = 1656
; NumSgprs: 30
; NumVgprs: 52
; NumAgprs: 0
; TotalNumVgprs: 52
; ScratchSize: 0
; MemoryBound: 1
; FloatMode: 240
; IeeeMode: 1
; LDSByteSize: 0 bytes/workgroup (compile time only)
; SGPRBlocks: 3
; VGPRBlocks: 6
; NumSGPRsForWavesPerEU: 30
; NumVGPRsForWavesPerEU: 52
; AccumOffset: 52
; Occupancy: 8
; WaveLimiterHint : 1
; COMPUTE_PGM_RSRC2:SCRATCH_EN: 0
; COMPUTE_PGM_RSRC2:USER_SGPR: 2
; COMPUTE_PGM_RSRC2:TRAP_HANDLER: 0
; COMPUTE_PGM_RSRC2:TGID_X_EN: 1
; COMPUTE_PGM_RSRC2:TGID_Y_EN: 0
; COMPUTE_PGM_RSRC2:TGID_Z_EN: 0
; COMPUTE_PGM_RSRC2:TIDIG_COMP_CNT: 0
; COMPUTE_PGM_RSRC3_GFX90A:ACCUM_OFFSET: 12
; COMPUTE_PGM_RSRC3_GFX90A:TG_SPLIT: 0
	.section	.text._ZN9rocsparseL18bsrxmvn_3x3_kernelILj256ELj4E21rocsparse_complex_numIfEllS2_S2_S2_EEvT3_20rocsparse_direction_NS_24const_host_device_scalarIT1_EES3_PKS3_PKT2_SC_S9_PKT4_PKT5_S7_PT6_21rocsparse_index_base_b,"axG",@progbits,_ZN9rocsparseL18bsrxmvn_3x3_kernelILj256ELj4E21rocsparse_complex_numIfEllS2_S2_S2_EEvT3_20rocsparse_direction_NS_24const_host_device_scalarIT1_EES3_PKS3_PKT2_SC_S9_PKT4_PKT5_S7_PT6_21rocsparse_index_base_b,comdat
	.globl	_ZN9rocsparseL18bsrxmvn_3x3_kernelILj256ELj4E21rocsparse_complex_numIfEllS2_S2_S2_EEvT3_20rocsparse_direction_NS_24const_host_device_scalarIT1_EES3_PKS3_PKT2_SC_S9_PKT4_PKT5_S7_PT6_21rocsparse_index_base_b ; -- Begin function _ZN9rocsparseL18bsrxmvn_3x3_kernelILj256ELj4E21rocsparse_complex_numIfEllS2_S2_S2_EEvT3_20rocsparse_direction_NS_24const_host_device_scalarIT1_EES3_PKS3_PKT2_SC_S9_PKT4_PKT5_S7_PT6_21rocsparse_index_base_b
	.p2align	8
	.type	_ZN9rocsparseL18bsrxmvn_3x3_kernelILj256ELj4E21rocsparse_complex_numIfEllS2_S2_S2_EEvT3_20rocsparse_direction_NS_24const_host_device_scalarIT1_EES3_PKS3_PKT2_SC_S9_PKT4_PKT5_S7_PT6_21rocsparse_index_base_b,@function
_ZN9rocsparseL18bsrxmvn_3x3_kernelILj256ELj4E21rocsparse_complex_numIfEllS2_S2_S2_EEvT3_20rocsparse_direction_NS_24const_host_device_scalarIT1_EES3_PKS3_PKT2_SC_S9_PKT4_PKT5_S7_PT6_21rocsparse_index_base_b: ; @_ZN9rocsparseL18bsrxmvn_3x3_kernelILj256ELj4E21rocsparse_complex_numIfEllS2_S2_S2_EEvT3_20rocsparse_direction_NS_24const_host_device_scalarIT1_EES3_PKS3_PKT2_SC_S9_PKT4_PKT5_S7_PT6_21rocsparse_index_base_b
; %bb.0:
	s_load_dwordx2 s[12:13], s[0:1], 0x60
	s_load_dwordx4 s[8:11], s[0:1], 0x10
	s_load_dwordx2 s[6:7], s[0:1], 0x50
	s_waitcnt lgkmcnt(0)
	s_bitcmp1_b32 s13, 0
	s_cselect_b64 s[4:5], -1, 0
	s_xor_b64 s[14:15], s[4:5], -1
	s_and_b64 vcc, exec, s[4:5]
	v_mov_b32_e32 v2, s8
	s_cbranch_vccnz .LBB50_2
; %bb.1:
	v_mov_b64_e32 v[2:3], s[8:9]
	flat_load_dword v2, v[2:3]
.LBB50_2:
	v_cndmask_b32_e64 v1, 0, 1, s[14:15]
	v_cmp_ne_u32_e64 s[4:5], 1, v1
	s_andn2_b64 vcc, exec, s[14:15]
	v_mov_b32_e32 v3, s9
	s_cbranch_vccz .LBB50_15
; %bb.3:
	s_and_b64 vcc, exec, s[4:5]
	v_mov_b32_e32 v4, s6
	s_cbranch_vccz .LBB50_16
.LBB50_4:
	s_and_b64 vcc, exec, s[4:5]
	v_mov_b32_e32 v5, s7
	s_cbranch_vccnz .LBB50_6
.LBB50_5:
	v_mov_b64_e32 v[6:7], s[6:7]
	flat_load_dword v5, v[6:7] offset:4
.LBB50_6:
	s_waitcnt vmcnt(0) lgkmcnt(0)
	v_and_b32_e32 v1, 0x7fffffff, v2
	v_cmp_eq_u32_e32 vcc, 0, v1
	v_cmp_eq_f32_e64 s[4:5], 0, v3
	s_and_b64 s[8:9], vcc, s[4:5]
	s_mov_b64 s[4:5], -1
	s_and_saveexec_b64 s[6:7], s[8:9]
; %bb.7:
	v_and_b32_e32 v1, 0x7fffffff, v5
	v_cmp_neq_f32_e32 vcc, 1.0, v4
	v_cmp_ne_u32_e64 s[4:5], 0, v1
	s_or_b64 s[4:5], vcc, s[4:5]
	s_orn2_b64 s[4:5], s[4:5], exec
; %bb.8:
	s_or_b64 exec, exec, s[6:7]
	s_and_saveexec_b64 s[6:7], s[4:5]
	s_cbranch_execz .LBB50_14
; %bb.9:
	s_load_dwordx2 s[4:5], s[0:1], 0x20
	v_lshrrev_b32_e32 v1, 2, v0
	v_lshl_or_b32 v8, s2, 6, v1
	v_mov_b32_e32 v9, 0
	s_mov_b64 s[2:3], 0
	s_waitcnt lgkmcnt(0)
	s_cmp_lg_u64 s[4:5], 0
	s_cbranch_scc0 .LBB50_17
; %bb.10:
	v_cmp_gt_i64_e32 vcc, s[10:11], v[8:9]
                                        ; implicit-def: $vgpr6_vgpr7
	s_and_saveexec_b64 s[6:7], vcc
	s_xor_b64 s[6:7], exec, s[6:7]
                                        ; implicit-def: $sgpr14_sgpr15
	s_cbranch_execz .LBB50_12
; %bb.11:
	v_lshl_add_u64 v[6:7], v[8:9], 3, s[4:5]
	global_load_dwordx2 v[6:7], v[6:7], off
	s_mov_b64 s[2:3], exec
	s_mov_b32 s15, 0
	s_waitcnt vmcnt(0)
	v_subrev_co_u32_e32 v6, vcc, s12, v6
	s_nop 1
	v_subbrev_co_u32_e32 v7, vcc, 0, v7, vcc
.LBB50_12:
	s_or_b64 exec, exec, s[6:7]
.LBB50_13:
	s_and_b64 exec, exec, s[2:3]
	s_cbranch_execnz .LBB50_21
.LBB50_14:
	s_endpgm
.LBB50_15:
	v_mov_b64_e32 v[4:5], s[8:9]
	flat_load_dword v3, v[4:5] offset:4
	s_and_b64 vcc, exec, s[4:5]
	v_mov_b32_e32 v4, s6
	s_cbranch_vccnz .LBB50_4
.LBB50_16:
	v_mov_b64_e32 v[4:5], s[6:7]
	flat_load_dword v4, v[4:5]
	s_and_b64 vcc, exec, s[4:5]
	v_mov_b32_e32 v5, s7
	s_cbranch_vccz .LBB50_5
	s_branch .LBB50_6
.LBB50_17:
                                        ; implicit-def: $vgpr6_vgpr7
                                        ; implicit-def: $sgpr14_sgpr15
	s_cbranch_execz .LBB50_13
; %bb.18:
	s_load_dwordx2 s[4:5], s[0:1], 0x0
                                        ; implicit-def: $vgpr6_vgpr7
	s_waitcnt lgkmcnt(0)
	v_cmp_gt_i64_e32 vcc, s[4:5], v[8:9]
	s_and_saveexec_b64 s[4:5], vcc
                                        ; implicit-def: $sgpr14_sgpr15
; %bb.19:
	s_mov_b32 s15, 0
	s_or_b64 s[2:3], s[2:3], exec
	v_mov_b64_e32 v[6:7], v[8:9]
; %bb.20:
	s_or_b64 exec, exec, s[4:5]
	s_and_b64 exec, exec, s[2:3]
	s_cbranch_execz .LBB50_14
.LBB50_21:
	s_load_dwordx8 s[4:11], s[0:1], 0x28
	v_lshlrev_b64 v[8:9], 3, v[6:7]
	s_load_dword s2, s[0:1], 0x8
	v_mov_b32_e32 v16, s15
	v_and_b32_e32 v0, 3, v0
	s_waitcnt lgkmcnt(0)
	v_lshl_add_u64 v[10:11], s[4:5], 0, v[8:9]
	global_load_dwordx2 v[12:13], v[10:11], off
	s_cmp_eq_u64 s[6:7], 0
	v_lshl_add_u64 v[8:9], s[6:7], 0, v[8:9]
	v_lshl_add_u64 v[10:11], v[10:11], 0, 8
	s_cselect_b64 vcc, -1, 0
	v_cndmask_b32_e32 v9, v9, v11, vcc
	v_cndmask_b32_e32 v8, v8, v10, vcc
	global_load_dwordx2 v[10:11], v[8:9], off
	v_mov_b32_e32 v1, 0
	s_load_dwordx2 s[4:5], s[0:1], 0x48
	s_movk_i32 s6, 0x48
	v_mov_b64_e32 v[14:15], s[10:11]
	s_cmp_eq_u32 s2, 1
	s_waitcnt vmcnt(1)
	v_subrev_co_u32_e32 v8, vcc, s12, v12
	s_nop 1
	v_subb_co_u32_e32 v9, vcc, v13, v16, vcc
	v_lshl_add_u64 v[8:9], v[8:9], 0, v[0:1]
	v_mad_u64_u32 v[12:13], s[2:3], v8, s6, v[14:15]
	s_waitcnt vmcnt(0)
	v_subrev_co_u32_e32 v10, vcc, s12, v10
	v_mov_b32_e32 v14, v13
	s_nop 0
	v_subb_co_u32_e32 v11, vcc, v11, v16, vcc
	v_mad_u64_u32 v[14:15], s[2:3], v9, s6, v[14:15]
	v_mov_b32_e32 v13, v14
	v_cmp_lt_i64_e64 s[2:3], v[8:9], v[10:11]
	s_cbranch_scc1 .LBB50_27
; %bb.22:
	v_mov_b32_e32 v18, v1
	v_mov_b32_e32 v17, v1
	;; [unrolled: 1-line block ×5, first 2 shown]
	s_and_saveexec_b64 s[6:7], s[2:3]
	s_cbranch_execz .LBB50_26
; %bb.23:
	v_mov_b32_e32 v14, 0
	v_lshl_add_u64 v[20:21], v[8:9], 3, s[8:9]
	s_mov_b64 s[10:11], 0
	v_mov_b32_e32 v1, s15
	s_mov_b64 s[16:17], 0x120
	v_mov_b64_e32 v[22:23], v[8:9]
	v_mov_b64_e32 v[24:25], v[12:13]
	v_mov_b32_e32 v15, v14
	v_mov_b32_e32 v16, v14
	;; [unrolled: 1-line block ×5, first 2 shown]
.LBB50_24:                              ; =>This Inner Loop Header: Depth=1
	global_load_dwordx2 v[38:39], v[20:21], off
	global_load_dwordx4 v[26:29], v[24:25], off offset:48
	global_load_dwordx4 v[30:33], v[24:25], off offset:16
	global_load_dwordx4 v[34:37], v[24:25], off
	v_lshl_add_u64 v[22:23], v[22:23], 0, 4
	v_lshl_add_u64 v[20:21], v[20:21], 0, 32
	s_waitcnt vmcnt(3)
	v_subrev_co_u32_e32 v38, vcc, s12, v38
	s_waitcnt lgkmcnt(0)
	v_mad_u64_u32 v[46:47], s[18:19], v38, 24, s[4:5]
	v_subb_co_u32_e32 v39, vcc, v39, v1, vcc
	v_mov_b32_e32 v38, v47
	v_mad_u64_u32 v[38:39], s[18:19], v39, 24, v[38:39]
	v_mov_b32_e32 v47, v38
	global_load_dwordx2 v[48:49], v[46:47], off offset:16
	global_load_dwordx4 v[38:41], v[46:47], off
	global_load_dwordx4 v[42:45], v[24:25], off offset:32
	global_load_dwordx2 v[50:51], v[24:25], off offset:64
	s_waitcnt vmcnt(5)
	v_xor_b32_e32 v52, 0x80000000, v33
	v_mov_b32_e32 v53, v32
	s_waitcnt vmcnt(4)
	v_xor_b32_e32 v46, 0x80000000, v37
	v_mov_b32_e32 v47, v36
	v_xor_b32_e32 v56, 0x80000000, v29
	v_mov_b32_e32 v57, v28
	v_cmp_ge_i64_e32 vcc, v[22:23], v[10:11]
	v_lshl_add_u64 v[24:25], v[24:25], 0, s[16:17]
	s_or_b64 s[10:11], vcc, s[10:11]
	s_waitcnt vmcnt(2)
	v_pk_fma_f32 v[18:19], v[34:35], v[38:39], v[18:19] op_sel_hi:[1,0,1]
	v_pk_fma_f32 v[14:15], v[32:33], v[38:39], v[14:15] op_sel_hi:[1,0,1]
	;; [unrolled: 1-line block ×3, first 2 shown]
	v_pk_fma_f32 v[18:19], v[34:35], v[38:39], v[18:19] op_sel:[1,1,0] op_sel_hi:[0,1,1] neg_lo:[1,0,0]
	v_pk_fma_f32 v[14:15], v[52:53], v[38:39], v[14:15] op_sel:[0,1,0]
	v_pk_fma_f32 v[16:17], v[26:27], v[38:39], v[16:17] op_sel:[1,1,0] op_sel_hi:[0,1,1] neg_lo:[1,0,0]
	v_mov_b32_e32 v58, v41
	v_pk_fma_f32 v[18:19], v[36:37], v[40:41], v[18:19] op_sel_hi:[1,0,1]
	s_waitcnt vmcnt(1)
	v_pk_fma_f32 v[14:15], v[42:43], v[40:41], v[14:15] op_sel_hi:[1,0,1]
	v_pk_fma_f32 v[16:17], v[28:29], v[40:41], v[16:17] op_sel_hi:[1,0,1]
	v_pk_fma_f32 v[18:19], v[46:47], v[58:59], v[18:19] op_sel_hi:[1,0,1]
	v_pk_fma_f32 v[14:15], v[42:43], v[58:59], v[14:15] op_sel:[1,0,0] op_sel_hi:[0,0,1] neg_lo:[1,0,0]
	v_pk_fma_f32 v[16:17], v[56:57], v[58:59], v[16:17] op_sel_hi:[1,0,1]
	v_xor_b32_e32 v54, 0x80000000, v45
	v_mov_b32_e32 v55, v44
	v_pk_fma_f32 v[18:19], v[30:31], v[48:49], v[18:19] op_sel_hi:[1,0,1]
	v_pk_fma_f32 v[14:15], v[44:45], v[48:49], v[14:15] op_sel_hi:[1,0,1]
	s_waitcnt vmcnt(0)
	v_pk_fma_f32 v[16:17], v[50:51], v[48:49], v[16:17] op_sel_hi:[1,0,1]
	v_pk_fma_f32 v[18:19], v[30:31], v[48:49], v[18:19] op_sel:[1,1,0] op_sel_hi:[0,1,1] neg_lo:[1,0,0]
	v_pk_fma_f32 v[14:15], v[54:55], v[48:49], v[14:15] op_sel:[0,1,0]
	v_pk_fma_f32 v[16:17], v[50:51], v[48:49], v[16:17] op_sel:[1,1,0] op_sel_hi:[0,1,1] neg_lo:[1,0,0]
	s_andn2_b64 exec, exec, s[10:11]
	s_cbranch_execnz .LBB50_24
; %bb.25:
	s_or_b64 exec, exec, s[10:11]
	v_mov_b32_e32 v1, v19
.LBB50_26:
	s_or_b64 exec, exec, s[6:7]
	v_mov_b32_e32 v19, v1
	s_cbranch_execz .LBB50_28
	s_branch .LBB50_33
.LBB50_27:
                                        ; implicit-def: $vgpr19
                                        ; implicit-def: $vgpr17
                                        ; implicit-def: $vgpr15
.LBB50_28:
	v_mov_b32_e32 v19, 0
	v_mov_b32_e32 v18, v19
	;; [unrolled: 1-line block ×6, first 2 shown]
	s_and_saveexec_b64 s[6:7], s[2:3]
	s_cbranch_execz .LBB50_32
; %bb.29:
	v_mov_b32_e32 v14, 0
	v_lshl_add_u64 v[20:21], v[8:9], 3, s[8:9]
	s_mov_b64 s[2:3], 0
	v_mov_b32_e32 v1, s15
	s_mov_b64 s[8:9], 0x120
	v_mov_b32_e32 v15, v14
	v_mov_b32_e32 v16, v14
	;; [unrolled: 1-line block ×5, first 2 shown]
.LBB50_30:                              ; =>This Inner Loop Header: Depth=1
	global_load_dwordx2 v[34:35], v[20:21], off
	global_load_dwordx4 v[22:25], v[12:13], off offset:48
	global_load_dwordx4 v[26:29], v[12:13], off offset:16
	global_load_dwordx4 v[30:33], v[12:13], off
	v_lshl_add_u64 v[8:9], v[8:9], 0, 4
	v_lshl_add_u64 v[20:21], v[20:21], 0, 32
	s_waitcnt vmcnt(3)
	v_subrev_co_u32_e32 v34, vcc, s12, v34
	s_waitcnt lgkmcnt(0)
	v_mad_u64_u32 v[42:43], s[10:11], v34, 24, s[4:5]
	v_subb_co_u32_e32 v35, vcc, v35, v1, vcc
	v_mov_b32_e32 v34, v43
	v_mad_u64_u32 v[34:35], s[10:11], v35, 24, v[34:35]
	v_mov_b32_e32 v43, v34
	global_load_dwordx2 v[44:45], v[42:43], off offset:16
	global_load_dwordx4 v[34:37], v[42:43], off
	global_load_dwordx4 v[38:41], v[12:13], off offset:32
	global_load_dwordx2 v[46:47], v[12:13], off offset:64
	s_waitcnt vmcnt(4)
	v_xor_b32_e32 v48, 0x80000000, v33
	v_mov_b32_e32 v49, v32
	v_xor_b32_e32 v42, 0x80000000, v29
	v_mov_b32_e32 v43, v28
	v_cmp_ge_i64_e32 vcc, v[8:9], v[10:11]
	v_xor_b32_e32 v50, 0x80000000, v25
	v_mov_b32_e32 v51, v24
	v_lshl_add_u64 v[12:13], v[12:13], 0, s[8:9]
	s_or_b64 s[2:3], vcc, s[2:3]
	s_waitcnt vmcnt(2)
	v_pk_fma_f32 v[18:19], v[30:31], v[34:35], v[18:19] op_sel_hi:[1,0,1]
	v_pk_fma_f32 v[14:15], v[32:33], v[34:35], v[14:15] op_sel_hi:[1,0,1]
	;; [unrolled: 1-line block ×3, first 2 shown]
	v_pk_fma_f32 v[18:19], v[30:31], v[34:35], v[18:19] op_sel:[1,1,0] op_sel_hi:[0,1,1] neg_lo:[1,0,0]
	v_pk_fma_f32 v[14:15], v[48:49], v[34:35], v[14:15] op_sel:[0,1,0]
	v_pk_fma_f32 v[16:17], v[26:27], v[34:35], v[16:17] op_sel:[1,1,0] op_sel_hi:[0,1,1] neg_lo:[1,0,0]
	s_waitcnt vmcnt(1)
	v_xor_b32_e32 v52, 0x80000000, v41
	v_mov_b32_e32 v53, v40
	v_mov_b32_e32 v54, v37
	v_pk_fma_f32 v[18:19], v[28:29], v[36:37], v[18:19] op_sel_hi:[1,0,1]
	v_pk_fma_f32 v[14:15], v[38:39], v[36:37], v[14:15] op_sel_hi:[1,0,1]
	;; [unrolled: 1-line block ×4, first 2 shown]
	v_pk_fma_f32 v[14:15], v[38:39], v[54:55], v[14:15] op_sel:[1,0,0] op_sel_hi:[0,0,1] neg_lo:[1,0,0]
	v_pk_fma_f32 v[16:17], v[52:53], v[54:55], v[16:17] op_sel_hi:[1,0,1]
	v_pk_fma_f32 v[18:19], v[22:23], v[44:45], v[18:19] op_sel_hi:[1,0,1]
	;; [unrolled: 1-line block ×3, first 2 shown]
	s_waitcnt vmcnt(0)
	v_pk_fma_f32 v[16:17], v[46:47], v[44:45], v[16:17] op_sel_hi:[1,0,1]
	v_pk_fma_f32 v[18:19], v[22:23], v[44:45], v[18:19] op_sel:[1,1,0] op_sel_hi:[0,1,1] neg_lo:[1,0,0]
	v_pk_fma_f32 v[14:15], v[50:51], v[44:45], v[14:15] op_sel:[0,1,0]
	v_pk_fma_f32 v[16:17], v[46:47], v[44:45], v[16:17] op_sel:[1,1,0] op_sel_hi:[0,1,1] neg_lo:[1,0,0]
	s_andn2_b64 exec, exec, s[2:3]
	s_cbranch_execnz .LBB50_30
; %bb.31:
	s_or_b64 exec, exec, s[2:3]
.LBB50_32:
	s_or_b64 exec, exec, s[6:7]
.LBB50_33:
	v_mov_b32_dpp v11, v14 row_shr:1 row_mask:0xf bank_mask:0xf
	v_mov_b32_dpp v12, v15 row_shr:1 row_mask:0xf bank_mask:0xf
	;; [unrolled: 1-line block ×3, first 2 shown]
	v_add_f32_e32 v11, v14, v11
	v_add_f32_e32 v14, v15, v12
	v_mov_b32_dpp v12, v16 row_shr:1 row_mask:0xf bank_mask:0xf
	v_add_f32_e32 v1, v18, v1
	v_mov_b32_dpp v9, v19 row_shr:1 row_mask:0xf bank_mask:0xf
	;; [unrolled: 2-line block ×3, first 2 shown]
	v_add_f32_e32 v9, v19, v9
	v_add_f32_e32 v17, v17, v12
	v_mov_b32_dpp v8, v1 row_shr:2 row_mask:0xf bank_mask:0xf
	v_mov_b32_dpp v10, v9 row_shr:2 row_mask:0xf bank_mask:0xf
	;; [unrolled: 1-line block ×6, first 2 shown]
	v_cmp_eq_u32_e32 vcc, 3, v0
	s_and_b64 exec, exec, vcc
	s_cbranch_execz .LBB50_14
; %bb.34:
	s_load_dwordx2 s[2:3], s[0:1], 0x58
	v_add_f32_e32 v12, v1, v8
	v_and_b32_e32 v1, 0x7fffffff, v4
	v_cmp_eq_u32_e32 vcc, 0, v1
	v_cmp_eq_f32_e64 s[0:1], 0, v5
	v_add_f32_e32 v16, v9, v10
	v_add_f32_e32 v10, v11, v13
	;; [unrolled: 1-line block ×5, first 2 shown]
	s_and_b64 s[0:1], vcc, s[0:1]
	s_waitcnt lgkmcnt(0)
	s_and_saveexec_b64 s[4:5], s[0:1]
	s_xor_b64 s[0:1], exec, s[4:5]
	s_cbranch_execz .LBB50_36
; %bb.35:
	v_mad_u64_u32 v[20:21], s[4:5], v6, 24, s[2:3]
	v_mov_b32_e32 v4, v21
	v_xor_b32_e32 v18, 0x80000000, v3
	v_mad_u64_u32 v[4:5], s[4:5], v7, 24, v[4:5]
	v_mov_b32_e32 v19, v2
	v_mov_b32_e32 v21, v4
	v_pk_mul_f32 v[4:5], v[16:17], v[18:19] op_sel_hi:[0,1]
	v_pk_mul_f32 v[6:7], v[14:15], v[18:19] op_sel_hi:[0,1]
	v_pk_fma_f32 v[4:5], v[2:3], v[12:13], v[4:5] op_sel_hi:[1,0,1]
	v_pk_fma_f32 v[6:7], v[2:3], v[10:11], v[6:7] op_sel_hi:[1,0,1]
	global_store_dwordx4 v[20:21], v[4:7], off
                                        ; implicit-def: $vgpr6_vgpr7
                                        ; implicit-def: $vgpr12
                                        ; implicit-def: $vgpr16
                                        ; implicit-def: $vgpr10
                                        ; implicit-def: $vgpr14
	s_nop 1
	v_pk_mul_f32 v[4:5], v[8:9], v[18:19] op_sel_hi:[0,1]
	v_pk_fma_f32 v[0:1], v[2:3], v[0:1], v[4:5] op_sel_hi:[1,0,1]
	global_store_dwordx2 v[20:21], v[0:1], off offset:16
                                        ; implicit-def: $vgpr3
                                        ; implicit-def: $vgpr4
                                        ; implicit-def: $vgpr0
                                        ; implicit-def: $vgpr8
.LBB50_36:
	s_andn2_saveexec_b64 s[0:1], s[0:1]
	s_cbranch_execz .LBB50_14
; %bb.37:
	v_mad_u64_u32 v[22:23], s[0:1], v6, 24, s[2:3]
	v_mov_b32_e32 v6, v23
	v_mad_u64_u32 v[6:7], s[0:1], v7, 24, v[6:7]
	v_mov_b32_e32 v23, v6
	global_load_dwordx4 v[18:21], v[22:23], off
	global_load_dwordx2 v[6:7], v[22:23], off offset:16
	v_xor_b32_e32 v24, 0x80000000, v3
	v_mov_b32_e32 v25, v2
	v_pk_mul_f32 v[16:17], v[16:17], v[24:25] op_sel_hi:[0,1]
	v_pk_mul_f32 v[14:15], v[14:15], v[24:25] op_sel_hi:[0,1]
	;; [unrolled: 1-line block ×3, first 2 shown]
	v_pk_fma_f32 v[12:13], v[2:3], v[12:13], v[16:17] op_sel_hi:[1,0,1]
	v_pk_fma_f32 v[10:11], v[2:3], v[10:11], v[14:15] op_sel_hi:[1,0,1]
	v_xor_b32_e32 v26, 0x80000000, v5
	v_mov_b32_e32 v27, v4
	v_pk_fma_f32 v[0:1], v[2:3], v[0:1], v[8:9] op_sel_hi:[1,0,1]
	s_waitcnt vmcnt(1)
	v_pk_fma_f32 v[2:3], v[4:5], v[18:19], v[12:13] op_sel_hi:[1,0,1]
	v_pk_fma_f32 v[8:9], v[4:5], v[20:21], v[10:11] op_sel_hi:[1,0,1]
	v_mov_b32_e32 v10, v21
	s_waitcnt vmcnt(0)
	v_pk_fma_f32 v[4:5], v[4:5], v[6:7], v[0:1] op_sel_hi:[1,0,1]
	v_pk_fma_f32 v[0:1], v[26:27], v[18:19], v[2:3] op_sel:[0,1,0]
	v_pk_fma_f32 v[2:3], v[26:27], v[10:11], v[8:9] op_sel_hi:[1,0,1]
	v_pk_fma_f32 v[4:5], v[26:27], v[6:7], v[4:5] op_sel:[0,1,0]
	global_store_dwordx4 v[22:23], v[0:3], off
	global_store_dwordx2 v[22:23], v[4:5], off offset:16
	s_endpgm
	.section	.rodata,"a",@progbits
	.p2align	6, 0x0
	.amdhsa_kernel _ZN9rocsparseL18bsrxmvn_3x3_kernelILj256ELj4E21rocsparse_complex_numIfEllS2_S2_S2_EEvT3_20rocsparse_direction_NS_24const_host_device_scalarIT1_EES3_PKS3_PKT2_SC_S9_PKT4_PKT5_S7_PT6_21rocsparse_index_base_b
		.amdhsa_group_segment_fixed_size 0
		.amdhsa_private_segment_fixed_size 0
		.amdhsa_kernarg_size 104
		.amdhsa_user_sgpr_count 2
		.amdhsa_user_sgpr_dispatch_ptr 0
		.amdhsa_user_sgpr_queue_ptr 0
		.amdhsa_user_sgpr_kernarg_segment_ptr 1
		.amdhsa_user_sgpr_dispatch_id 0
		.amdhsa_user_sgpr_kernarg_preload_length 0
		.amdhsa_user_sgpr_kernarg_preload_offset 0
		.amdhsa_user_sgpr_private_segment_size 0
		.amdhsa_uses_dynamic_stack 0
		.amdhsa_enable_private_segment 0
		.amdhsa_system_sgpr_workgroup_id_x 1
		.amdhsa_system_sgpr_workgroup_id_y 0
		.amdhsa_system_sgpr_workgroup_id_z 0
		.amdhsa_system_sgpr_workgroup_info 0
		.amdhsa_system_vgpr_workitem_id 0
		.amdhsa_next_free_vgpr 60
		.amdhsa_next_free_sgpr 20
		.amdhsa_accum_offset 60
		.amdhsa_reserve_vcc 1
		.amdhsa_float_round_mode_32 0
		.amdhsa_float_round_mode_16_64 0
		.amdhsa_float_denorm_mode_32 3
		.amdhsa_float_denorm_mode_16_64 3
		.amdhsa_dx10_clamp 1
		.amdhsa_ieee_mode 1
		.amdhsa_fp16_overflow 0
		.amdhsa_tg_split 0
		.amdhsa_exception_fp_ieee_invalid_op 0
		.amdhsa_exception_fp_denorm_src 0
		.amdhsa_exception_fp_ieee_div_zero 0
		.amdhsa_exception_fp_ieee_overflow 0
		.amdhsa_exception_fp_ieee_underflow 0
		.amdhsa_exception_fp_ieee_inexact 0
		.amdhsa_exception_int_div_zero 0
	.end_amdhsa_kernel
	.section	.text._ZN9rocsparseL18bsrxmvn_3x3_kernelILj256ELj4E21rocsparse_complex_numIfEllS2_S2_S2_EEvT3_20rocsparse_direction_NS_24const_host_device_scalarIT1_EES3_PKS3_PKT2_SC_S9_PKT4_PKT5_S7_PT6_21rocsparse_index_base_b,"axG",@progbits,_ZN9rocsparseL18bsrxmvn_3x3_kernelILj256ELj4E21rocsparse_complex_numIfEllS2_S2_S2_EEvT3_20rocsparse_direction_NS_24const_host_device_scalarIT1_EES3_PKS3_PKT2_SC_S9_PKT4_PKT5_S7_PT6_21rocsparse_index_base_b,comdat
.Lfunc_end50:
	.size	_ZN9rocsparseL18bsrxmvn_3x3_kernelILj256ELj4E21rocsparse_complex_numIfEllS2_S2_S2_EEvT3_20rocsparse_direction_NS_24const_host_device_scalarIT1_EES3_PKS3_PKT2_SC_S9_PKT4_PKT5_S7_PT6_21rocsparse_index_base_b, .Lfunc_end50-_ZN9rocsparseL18bsrxmvn_3x3_kernelILj256ELj4E21rocsparse_complex_numIfEllS2_S2_S2_EEvT3_20rocsparse_direction_NS_24const_host_device_scalarIT1_EES3_PKS3_PKT2_SC_S9_PKT4_PKT5_S7_PT6_21rocsparse_index_base_b
                                        ; -- End function
	.section	.AMDGPU.csdata,"",@progbits
; Kernel info:
; codeLenInByte = 2028
; NumSgprs: 26
; NumVgprs: 60
; NumAgprs: 0
; TotalNumVgprs: 60
; ScratchSize: 0
; MemoryBound: 0
; FloatMode: 240
; IeeeMode: 1
; LDSByteSize: 0 bytes/workgroup (compile time only)
; SGPRBlocks: 3
; VGPRBlocks: 7
; NumSGPRsForWavesPerEU: 26
; NumVGPRsForWavesPerEU: 60
; AccumOffset: 60
; Occupancy: 8
; WaveLimiterHint : 1
; COMPUTE_PGM_RSRC2:SCRATCH_EN: 0
; COMPUTE_PGM_RSRC2:USER_SGPR: 2
; COMPUTE_PGM_RSRC2:TRAP_HANDLER: 0
; COMPUTE_PGM_RSRC2:TGID_X_EN: 1
; COMPUTE_PGM_RSRC2:TGID_Y_EN: 0
; COMPUTE_PGM_RSRC2:TGID_Z_EN: 0
; COMPUTE_PGM_RSRC2:TIDIG_COMP_CNT: 0
; COMPUTE_PGM_RSRC3_GFX90A:ACCUM_OFFSET: 14
; COMPUTE_PGM_RSRC3_GFX90A:TG_SPLIT: 0
	.section	.text._ZN9rocsparseL18bsrxmvn_3x3_kernelILj256ELj8E21rocsparse_complex_numIfEllS2_S2_S2_EEvT3_20rocsparse_direction_NS_24const_host_device_scalarIT1_EES3_PKS3_PKT2_SC_S9_PKT4_PKT5_S7_PT6_21rocsparse_index_base_b,"axG",@progbits,_ZN9rocsparseL18bsrxmvn_3x3_kernelILj256ELj8E21rocsparse_complex_numIfEllS2_S2_S2_EEvT3_20rocsparse_direction_NS_24const_host_device_scalarIT1_EES3_PKS3_PKT2_SC_S9_PKT4_PKT5_S7_PT6_21rocsparse_index_base_b,comdat
	.globl	_ZN9rocsparseL18bsrxmvn_3x3_kernelILj256ELj8E21rocsparse_complex_numIfEllS2_S2_S2_EEvT3_20rocsparse_direction_NS_24const_host_device_scalarIT1_EES3_PKS3_PKT2_SC_S9_PKT4_PKT5_S7_PT6_21rocsparse_index_base_b ; -- Begin function _ZN9rocsparseL18bsrxmvn_3x3_kernelILj256ELj8E21rocsparse_complex_numIfEllS2_S2_S2_EEvT3_20rocsparse_direction_NS_24const_host_device_scalarIT1_EES3_PKS3_PKT2_SC_S9_PKT4_PKT5_S7_PT6_21rocsparse_index_base_b
	.p2align	8
	.type	_ZN9rocsparseL18bsrxmvn_3x3_kernelILj256ELj8E21rocsparse_complex_numIfEllS2_S2_S2_EEvT3_20rocsparse_direction_NS_24const_host_device_scalarIT1_EES3_PKS3_PKT2_SC_S9_PKT4_PKT5_S7_PT6_21rocsparse_index_base_b,@function
_ZN9rocsparseL18bsrxmvn_3x3_kernelILj256ELj8E21rocsparse_complex_numIfEllS2_S2_S2_EEvT3_20rocsparse_direction_NS_24const_host_device_scalarIT1_EES3_PKS3_PKT2_SC_S9_PKT4_PKT5_S7_PT6_21rocsparse_index_base_b: ; @_ZN9rocsparseL18bsrxmvn_3x3_kernelILj256ELj8E21rocsparse_complex_numIfEllS2_S2_S2_EEvT3_20rocsparse_direction_NS_24const_host_device_scalarIT1_EES3_PKS3_PKT2_SC_S9_PKT4_PKT5_S7_PT6_21rocsparse_index_base_b
; %bb.0:
	s_load_dwordx2 s[12:13], s[0:1], 0x60
	s_load_dwordx4 s[8:11], s[0:1], 0x10
	s_load_dwordx2 s[6:7], s[0:1], 0x50
	s_waitcnt lgkmcnt(0)
	s_bitcmp1_b32 s13, 0
	s_cselect_b64 s[4:5], -1, 0
	s_xor_b64 s[14:15], s[4:5], -1
	s_and_b64 vcc, exec, s[4:5]
	v_mov_b32_e32 v2, s8
	s_cbranch_vccnz .LBB51_2
; %bb.1:
	v_mov_b64_e32 v[2:3], s[8:9]
	flat_load_dword v2, v[2:3]
.LBB51_2:
	v_cndmask_b32_e64 v1, 0, 1, s[14:15]
	v_cmp_ne_u32_e64 s[4:5], 1, v1
	s_andn2_b64 vcc, exec, s[14:15]
	v_mov_b32_e32 v3, s9
	s_cbranch_vccz .LBB51_15
; %bb.3:
	s_and_b64 vcc, exec, s[4:5]
	v_mov_b32_e32 v4, s6
	s_cbranch_vccz .LBB51_16
.LBB51_4:
	s_and_b64 vcc, exec, s[4:5]
	v_mov_b32_e32 v5, s7
	s_cbranch_vccnz .LBB51_6
.LBB51_5:
	v_mov_b64_e32 v[6:7], s[6:7]
	flat_load_dword v5, v[6:7] offset:4
.LBB51_6:
	s_waitcnt vmcnt(0) lgkmcnt(0)
	v_and_b32_e32 v1, 0x7fffffff, v2
	v_cmp_eq_u32_e32 vcc, 0, v1
	v_cmp_eq_f32_e64 s[4:5], 0, v3
	s_and_b64 s[8:9], vcc, s[4:5]
	s_mov_b64 s[4:5], -1
	s_and_saveexec_b64 s[6:7], s[8:9]
; %bb.7:
	v_and_b32_e32 v1, 0x7fffffff, v5
	v_cmp_neq_f32_e32 vcc, 1.0, v4
	v_cmp_ne_u32_e64 s[4:5], 0, v1
	s_or_b64 s[4:5], vcc, s[4:5]
	s_orn2_b64 s[4:5], s[4:5], exec
; %bb.8:
	s_or_b64 exec, exec, s[6:7]
	s_and_saveexec_b64 s[6:7], s[4:5]
	s_cbranch_execz .LBB51_14
; %bb.9:
	s_load_dwordx2 s[4:5], s[0:1], 0x20
	v_lshrrev_b32_e32 v1, 3, v0
	v_lshl_or_b32 v8, s2, 5, v1
	v_mov_b32_e32 v9, 0
	s_mov_b64 s[2:3], 0
	s_waitcnt lgkmcnt(0)
	s_cmp_lg_u64 s[4:5], 0
	s_cbranch_scc0 .LBB51_17
; %bb.10:
	v_cmp_gt_i64_e32 vcc, s[10:11], v[8:9]
                                        ; implicit-def: $vgpr6_vgpr7
	s_and_saveexec_b64 s[6:7], vcc
	s_xor_b64 s[6:7], exec, s[6:7]
                                        ; implicit-def: $sgpr14_sgpr15
	s_cbranch_execz .LBB51_12
; %bb.11:
	v_lshl_add_u64 v[6:7], v[8:9], 3, s[4:5]
	global_load_dwordx2 v[6:7], v[6:7], off
	s_mov_b64 s[2:3], exec
	s_mov_b32 s15, 0
	s_waitcnt vmcnt(0)
	v_subrev_co_u32_e32 v6, vcc, s12, v6
	s_nop 1
	v_subbrev_co_u32_e32 v7, vcc, 0, v7, vcc
.LBB51_12:
	s_or_b64 exec, exec, s[6:7]
.LBB51_13:
	s_and_b64 exec, exec, s[2:3]
	s_cbranch_execnz .LBB51_21
.LBB51_14:
	s_endpgm
.LBB51_15:
	v_mov_b64_e32 v[4:5], s[8:9]
	flat_load_dword v3, v[4:5] offset:4
	s_and_b64 vcc, exec, s[4:5]
	v_mov_b32_e32 v4, s6
	s_cbranch_vccnz .LBB51_4
.LBB51_16:
	v_mov_b64_e32 v[4:5], s[6:7]
	flat_load_dword v4, v[4:5]
	s_and_b64 vcc, exec, s[4:5]
	v_mov_b32_e32 v5, s7
	s_cbranch_vccz .LBB51_5
	s_branch .LBB51_6
.LBB51_17:
                                        ; implicit-def: $vgpr6_vgpr7
                                        ; implicit-def: $sgpr14_sgpr15
	s_cbranch_execz .LBB51_13
; %bb.18:
	s_load_dwordx2 s[4:5], s[0:1], 0x0
                                        ; implicit-def: $vgpr6_vgpr7
	s_waitcnt lgkmcnt(0)
	v_cmp_gt_i64_e32 vcc, s[4:5], v[8:9]
	s_and_saveexec_b64 s[4:5], vcc
                                        ; implicit-def: $sgpr14_sgpr15
; %bb.19:
	s_mov_b32 s15, 0
	s_or_b64 s[2:3], s[2:3], exec
	v_mov_b64_e32 v[6:7], v[8:9]
; %bb.20:
	s_or_b64 exec, exec, s[4:5]
	s_and_b64 exec, exec, s[2:3]
	s_cbranch_execz .LBB51_14
.LBB51_21:
	s_load_dwordx8 s[4:11], s[0:1], 0x28
	v_lshlrev_b64 v[8:9], 3, v[6:7]
	s_load_dword s2, s[0:1], 0x8
	v_mov_b32_e32 v16, s15
	v_and_b32_e32 v0, 7, v0
	s_waitcnt lgkmcnt(0)
	v_lshl_add_u64 v[10:11], s[4:5], 0, v[8:9]
	global_load_dwordx2 v[12:13], v[10:11], off
	s_cmp_eq_u64 s[6:7], 0
	v_lshl_add_u64 v[8:9], s[6:7], 0, v[8:9]
	v_lshl_add_u64 v[10:11], v[10:11], 0, 8
	s_cselect_b64 vcc, -1, 0
	v_cndmask_b32_e32 v9, v9, v11, vcc
	v_cndmask_b32_e32 v8, v8, v10, vcc
	global_load_dwordx2 v[10:11], v[8:9], off
	v_mov_b32_e32 v1, 0
	s_load_dwordx2 s[4:5], s[0:1], 0x48
	s_movk_i32 s6, 0x48
	v_mov_b64_e32 v[14:15], s[10:11]
	s_cmp_eq_u32 s2, 1
	s_waitcnt vmcnt(1)
	v_subrev_co_u32_e32 v8, vcc, s12, v12
	s_nop 1
	v_subb_co_u32_e32 v9, vcc, v13, v16, vcc
	v_lshl_add_u64 v[8:9], v[8:9], 0, v[0:1]
	v_mad_u64_u32 v[12:13], s[2:3], v8, s6, v[14:15]
	s_waitcnt vmcnt(0)
	v_subrev_co_u32_e32 v10, vcc, s12, v10
	v_mov_b32_e32 v14, v13
	s_nop 0
	v_subb_co_u32_e32 v11, vcc, v11, v16, vcc
	v_mad_u64_u32 v[14:15], s[2:3], v9, s6, v[14:15]
	v_mov_b32_e32 v13, v14
	v_cmp_lt_i64_e64 s[2:3], v[8:9], v[10:11]
	s_cbranch_scc1 .LBB51_27
; %bb.22:
	v_mov_b32_e32 v18, v1
	v_mov_b32_e32 v17, v1
	;; [unrolled: 1-line block ×5, first 2 shown]
	s_and_saveexec_b64 s[6:7], s[2:3]
	s_cbranch_execz .LBB51_26
; %bb.23:
	v_mov_b32_e32 v14, 0
	v_lshl_add_u64 v[20:21], v[8:9], 3, s[8:9]
	s_mov_b64 s[10:11], 0
	v_mov_b32_e32 v1, s15
	s_mov_b64 s[16:17], 0x240
	v_mov_b64_e32 v[22:23], v[8:9]
	v_mov_b64_e32 v[24:25], v[12:13]
	v_mov_b32_e32 v15, v14
	v_mov_b32_e32 v16, v14
	;; [unrolled: 1-line block ×5, first 2 shown]
.LBB51_24:                              ; =>This Inner Loop Header: Depth=1
	global_load_dwordx2 v[38:39], v[20:21], off
	global_load_dwordx4 v[26:29], v[24:25], off offset:48
	global_load_dwordx4 v[30:33], v[24:25], off offset:16
	global_load_dwordx4 v[34:37], v[24:25], off
	v_lshl_add_u64 v[22:23], v[22:23], 0, 8
	v_lshl_add_u64 v[20:21], v[20:21], 0, 64
	s_waitcnt vmcnt(3)
	v_subrev_co_u32_e32 v38, vcc, s12, v38
	s_waitcnt lgkmcnt(0)
	v_mad_u64_u32 v[46:47], s[18:19], v38, 24, s[4:5]
	v_subb_co_u32_e32 v39, vcc, v39, v1, vcc
	v_mov_b32_e32 v38, v47
	v_mad_u64_u32 v[38:39], s[18:19], v39, 24, v[38:39]
	v_mov_b32_e32 v47, v38
	global_load_dwordx2 v[48:49], v[46:47], off offset:16
	global_load_dwordx4 v[38:41], v[46:47], off
	global_load_dwordx4 v[42:45], v[24:25], off offset:32
	global_load_dwordx2 v[50:51], v[24:25], off offset:64
	s_waitcnt vmcnt(5)
	v_xor_b32_e32 v52, 0x80000000, v33
	v_mov_b32_e32 v53, v32
	s_waitcnt vmcnt(4)
	v_xor_b32_e32 v46, 0x80000000, v37
	v_mov_b32_e32 v47, v36
	v_xor_b32_e32 v56, 0x80000000, v29
	v_mov_b32_e32 v57, v28
	v_cmp_ge_i64_e32 vcc, v[22:23], v[10:11]
	v_lshl_add_u64 v[24:25], v[24:25], 0, s[16:17]
	s_or_b64 s[10:11], vcc, s[10:11]
	s_waitcnt vmcnt(2)
	v_pk_fma_f32 v[18:19], v[34:35], v[38:39], v[18:19] op_sel_hi:[1,0,1]
	v_pk_fma_f32 v[14:15], v[32:33], v[38:39], v[14:15] op_sel_hi:[1,0,1]
	;; [unrolled: 1-line block ×3, first 2 shown]
	v_pk_fma_f32 v[18:19], v[34:35], v[38:39], v[18:19] op_sel:[1,1,0] op_sel_hi:[0,1,1] neg_lo:[1,0,0]
	v_pk_fma_f32 v[14:15], v[52:53], v[38:39], v[14:15] op_sel:[0,1,0]
	v_pk_fma_f32 v[16:17], v[26:27], v[38:39], v[16:17] op_sel:[1,1,0] op_sel_hi:[0,1,1] neg_lo:[1,0,0]
	v_mov_b32_e32 v58, v41
	v_pk_fma_f32 v[18:19], v[36:37], v[40:41], v[18:19] op_sel_hi:[1,0,1]
	s_waitcnt vmcnt(1)
	v_pk_fma_f32 v[14:15], v[42:43], v[40:41], v[14:15] op_sel_hi:[1,0,1]
	v_pk_fma_f32 v[16:17], v[28:29], v[40:41], v[16:17] op_sel_hi:[1,0,1]
	;; [unrolled: 1-line block ×3, first 2 shown]
	v_pk_fma_f32 v[14:15], v[42:43], v[58:59], v[14:15] op_sel:[1,0,0] op_sel_hi:[0,0,1] neg_lo:[1,0,0]
	v_pk_fma_f32 v[16:17], v[56:57], v[58:59], v[16:17] op_sel_hi:[1,0,1]
	v_xor_b32_e32 v54, 0x80000000, v45
	v_mov_b32_e32 v55, v44
	v_pk_fma_f32 v[18:19], v[30:31], v[48:49], v[18:19] op_sel_hi:[1,0,1]
	v_pk_fma_f32 v[14:15], v[44:45], v[48:49], v[14:15] op_sel_hi:[1,0,1]
	s_waitcnt vmcnt(0)
	v_pk_fma_f32 v[16:17], v[50:51], v[48:49], v[16:17] op_sel_hi:[1,0,1]
	v_pk_fma_f32 v[18:19], v[30:31], v[48:49], v[18:19] op_sel:[1,1,0] op_sel_hi:[0,1,1] neg_lo:[1,0,0]
	v_pk_fma_f32 v[14:15], v[54:55], v[48:49], v[14:15] op_sel:[0,1,0]
	v_pk_fma_f32 v[16:17], v[50:51], v[48:49], v[16:17] op_sel:[1,1,0] op_sel_hi:[0,1,1] neg_lo:[1,0,0]
	s_andn2_b64 exec, exec, s[10:11]
	s_cbranch_execnz .LBB51_24
; %bb.25:
	s_or_b64 exec, exec, s[10:11]
	v_mov_b32_e32 v1, v19
.LBB51_26:
	s_or_b64 exec, exec, s[6:7]
	v_mov_b32_e32 v19, v1
	s_cbranch_execz .LBB51_28
	s_branch .LBB51_33
.LBB51_27:
                                        ; implicit-def: $vgpr19
                                        ; implicit-def: $vgpr17
                                        ; implicit-def: $vgpr15
.LBB51_28:
	v_mov_b32_e32 v19, 0
	v_mov_b32_e32 v18, v19
	;; [unrolled: 1-line block ×6, first 2 shown]
	s_and_saveexec_b64 s[6:7], s[2:3]
	s_cbranch_execz .LBB51_32
; %bb.29:
	v_mov_b32_e32 v14, 0
	v_lshl_add_u64 v[20:21], v[8:9], 3, s[8:9]
	s_mov_b64 s[2:3], 0
	v_mov_b32_e32 v1, s15
	s_mov_b64 s[8:9], 0x240
	v_mov_b32_e32 v15, v14
	v_mov_b32_e32 v16, v14
	;; [unrolled: 1-line block ×5, first 2 shown]
.LBB51_30:                              ; =>This Inner Loop Header: Depth=1
	global_load_dwordx2 v[34:35], v[20:21], off
	global_load_dwordx4 v[22:25], v[12:13], off offset:48
	global_load_dwordx4 v[26:29], v[12:13], off offset:16
	global_load_dwordx4 v[30:33], v[12:13], off
	v_lshl_add_u64 v[8:9], v[8:9], 0, 8
	v_lshl_add_u64 v[20:21], v[20:21], 0, 64
	s_waitcnt vmcnt(3)
	v_subrev_co_u32_e32 v34, vcc, s12, v34
	s_waitcnt lgkmcnt(0)
	v_mad_u64_u32 v[42:43], s[10:11], v34, 24, s[4:5]
	v_subb_co_u32_e32 v35, vcc, v35, v1, vcc
	v_mov_b32_e32 v34, v43
	v_mad_u64_u32 v[34:35], s[10:11], v35, 24, v[34:35]
	v_mov_b32_e32 v43, v34
	global_load_dwordx2 v[44:45], v[42:43], off offset:16
	global_load_dwordx4 v[34:37], v[42:43], off
	global_load_dwordx4 v[38:41], v[12:13], off offset:32
	global_load_dwordx2 v[46:47], v[12:13], off offset:64
	s_waitcnt vmcnt(4)
	v_xor_b32_e32 v48, 0x80000000, v33
	v_mov_b32_e32 v49, v32
	v_xor_b32_e32 v42, 0x80000000, v29
	v_mov_b32_e32 v43, v28
	v_cmp_ge_i64_e32 vcc, v[8:9], v[10:11]
	v_xor_b32_e32 v50, 0x80000000, v25
	v_mov_b32_e32 v51, v24
	v_lshl_add_u64 v[12:13], v[12:13], 0, s[8:9]
	s_or_b64 s[2:3], vcc, s[2:3]
	s_waitcnt vmcnt(2)
	v_pk_fma_f32 v[18:19], v[30:31], v[34:35], v[18:19] op_sel_hi:[1,0,1]
	v_pk_fma_f32 v[14:15], v[32:33], v[34:35], v[14:15] op_sel_hi:[1,0,1]
	;; [unrolled: 1-line block ×3, first 2 shown]
	v_pk_fma_f32 v[18:19], v[30:31], v[34:35], v[18:19] op_sel:[1,1,0] op_sel_hi:[0,1,1] neg_lo:[1,0,0]
	v_pk_fma_f32 v[14:15], v[48:49], v[34:35], v[14:15] op_sel:[0,1,0]
	v_pk_fma_f32 v[16:17], v[26:27], v[34:35], v[16:17] op_sel:[1,1,0] op_sel_hi:[0,1,1] neg_lo:[1,0,0]
	s_waitcnt vmcnt(1)
	v_xor_b32_e32 v52, 0x80000000, v41
	v_mov_b32_e32 v53, v40
	v_mov_b32_e32 v54, v37
	v_pk_fma_f32 v[18:19], v[28:29], v[36:37], v[18:19] op_sel_hi:[1,0,1]
	v_pk_fma_f32 v[14:15], v[38:39], v[36:37], v[14:15] op_sel_hi:[1,0,1]
	v_pk_fma_f32 v[16:17], v[40:41], v[36:37], v[16:17] op_sel_hi:[1,0,1]
	v_pk_fma_f32 v[18:19], v[42:43], v[54:55], v[18:19] op_sel_hi:[1,0,1]
	v_pk_fma_f32 v[14:15], v[38:39], v[54:55], v[14:15] op_sel:[1,0,0] op_sel_hi:[0,0,1] neg_lo:[1,0,0]
	v_pk_fma_f32 v[16:17], v[52:53], v[54:55], v[16:17] op_sel_hi:[1,0,1]
	v_pk_fma_f32 v[18:19], v[22:23], v[44:45], v[18:19] op_sel_hi:[1,0,1]
	;; [unrolled: 1-line block ×3, first 2 shown]
	s_waitcnt vmcnt(0)
	v_pk_fma_f32 v[16:17], v[46:47], v[44:45], v[16:17] op_sel_hi:[1,0,1]
	v_pk_fma_f32 v[18:19], v[22:23], v[44:45], v[18:19] op_sel:[1,1,0] op_sel_hi:[0,1,1] neg_lo:[1,0,0]
	v_pk_fma_f32 v[14:15], v[50:51], v[44:45], v[14:15] op_sel:[0,1,0]
	v_pk_fma_f32 v[16:17], v[46:47], v[44:45], v[16:17] op_sel:[1,1,0] op_sel_hi:[0,1,1] neg_lo:[1,0,0]
	s_andn2_b64 exec, exec, s[2:3]
	s_cbranch_execnz .LBB51_30
; %bb.31:
	s_or_b64 exec, exec, s[2:3]
.LBB51_32:
	s_or_b64 exec, exec, s[6:7]
.LBB51_33:
	v_mov_b32_dpp v11, v14 row_shr:1 row_mask:0xf bank_mask:0xf
	v_add_f32_e32 v11, v14, v11
	v_mov_b32_dpp v1, v18 row_shr:1 row_mask:0xf bank_mask:0xf
	v_add_f32_e32 v1, v18, v1
	;; [unrolled: 2-line block ×3, first 2 shown]
	v_mov_b32_dpp v9, v19 row_shr:1 row_mask:0xf bank_mask:0xf
	v_mov_b32_dpp v12, v15 row_shr:1 row_mask:0xf bank_mask:0xf
	v_add_f32_e32 v12, v15, v12
	v_add_f32_e32 v9, v19, v9
	v_mov_b32_dpp v8, v1 row_shr:2 row_mask:0xf bank_mask:0xf
	v_mov_b32_dpp v14, v12 row_shr:2 row_mask:0xf bank_mask:0xf
	v_add_f32_e32 v14, v12, v14
	v_mov_b32_dpp v12, v16 row_shr:1 row_mask:0xf bank_mask:0xf
	v_add_f32_e32 v12, v16, v12
	;; [unrolled: 2-line block ×5, first 2 shown]
	v_add_f32_e32 v9, v9, v10
	v_mov_b32_dpp v8, v1 row_shr:4 row_mask:0xf bank_mask:0xe
	v_mov_b32_dpp v16, v12 row_shr:2 row_mask:0xf bank_mask:0xf
	v_add_f32_e32 v17, v12, v16
	v_mov_b32_dpp v10, v9 row_shr:4 row_mask:0xf bank_mask:0xe
	v_mov_b32_dpp v13, v11 row_shr:4 row_mask:0xf bank_mask:0xe
	;; [unrolled: 1-line block ×5, first 2 shown]
	v_cmp_eq_u32_e32 vcc, 7, v0
	s_and_b64 exec, exec, vcc
	s_cbranch_execz .LBB51_14
; %bb.34:
	s_load_dwordx2 s[2:3], s[0:1], 0x58
	v_add_f32_e32 v12, v1, v8
	v_and_b32_e32 v1, 0x7fffffff, v4
	v_cmp_eq_u32_e32 vcc, 0, v1
	v_cmp_eq_f32_e64 s[0:1], 0, v5
	v_add_f32_e32 v16, v9, v10
	v_add_f32_e32 v10, v11, v13
	;; [unrolled: 1-line block ×5, first 2 shown]
	s_and_b64 s[0:1], vcc, s[0:1]
	s_waitcnt lgkmcnt(0)
	s_and_saveexec_b64 s[4:5], s[0:1]
	s_xor_b64 s[0:1], exec, s[4:5]
	s_cbranch_execz .LBB51_36
; %bb.35:
	v_mad_u64_u32 v[20:21], s[4:5], v6, 24, s[2:3]
	v_mov_b32_e32 v4, v21
	v_xor_b32_e32 v18, 0x80000000, v3
	v_mad_u64_u32 v[4:5], s[4:5], v7, 24, v[4:5]
	v_mov_b32_e32 v19, v2
	v_mov_b32_e32 v21, v4
	v_pk_mul_f32 v[4:5], v[16:17], v[18:19] op_sel_hi:[0,1]
	v_pk_mul_f32 v[6:7], v[14:15], v[18:19] op_sel_hi:[0,1]
	v_pk_fma_f32 v[4:5], v[2:3], v[12:13], v[4:5] op_sel_hi:[1,0,1]
	v_pk_fma_f32 v[6:7], v[2:3], v[10:11], v[6:7] op_sel_hi:[1,0,1]
	global_store_dwordx4 v[20:21], v[4:7], off
                                        ; implicit-def: $vgpr6_vgpr7
                                        ; implicit-def: $vgpr12
                                        ; implicit-def: $vgpr16
                                        ; implicit-def: $vgpr10
                                        ; implicit-def: $vgpr14
	s_nop 1
	v_pk_mul_f32 v[4:5], v[8:9], v[18:19] op_sel_hi:[0,1]
	v_pk_fma_f32 v[0:1], v[2:3], v[0:1], v[4:5] op_sel_hi:[1,0,1]
	global_store_dwordx2 v[20:21], v[0:1], off offset:16
                                        ; implicit-def: $vgpr3
                                        ; implicit-def: $vgpr4
                                        ; implicit-def: $vgpr0
                                        ; implicit-def: $vgpr8
.LBB51_36:
	s_andn2_saveexec_b64 s[0:1], s[0:1]
	s_cbranch_execz .LBB51_14
; %bb.37:
	v_mad_u64_u32 v[22:23], s[0:1], v6, 24, s[2:3]
	v_mov_b32_e32 v6, v23
	v_mad_u64_u32 v[6:7], s[0:1], v7, 24, v[6:7]
	v_mov_b32_e32 v23, v6
	global_load_dwordx4 v[18:21], v[22:23], off
	global_load_dwordx2 v[6:7], v[22:23], off offset:16
	v_xor_b32_e32 v24, 0x80000000, v3
	v_mov_b32_e32 v25, v2
	v_pk_mul_f32 v[16:17], v[16:17], v[24:25] op_sel_hi:[0,1]
	v_pk_mul_f32 v[14:15], v[14:15], v[24:25] op_sel_hi:[0,1]
	;; [unrolled: 1-line block ×3, first 2 shown]
	v_pk_fma_f32 v[12:13], v[2:3], v[12:13], v[16:17] op_sel_hi:[1,0,1]
	v_pk_fma_f32 v[10:11], v[2:3], v[10:11], v[14:15] op_sel_hi:[1,0,1]
	v_xor_b32_e32 v26, 0x80000000, v5
	v_mov_b32_e32 v27, v4
	v_pk_fma_f32 v[0:1], v[2:3], v[0:1], v[8:9] op_sel_hi:[1,0,1]
	s_waitcnt vmcnt(1)
	v_pk_fma_f32 v[2:3], v[4:5], v[18:19], v[12:13] op_sel_hi:[1,0,1]
	v_pk_fma_f32 v[8:9], v[4:5], v[20:21], v[10:11] op_sel_hi:[1,0,1]
	v_mov_b32_e32 v10, v21
	s_waitcnt vmcnt(0)
	v_pk_fma_f32 v[4:5], v[4:5], v[6:7], v[0:1] op_sel_hi:[1,0,1]
	v_pk_fma_f32 v[0:1], v[26:27], v[18:19], v[2:3] op_sel:[0,1,0]
	v_pk_fma_f32 v[2:3], v[26:27], v[10:11], v[8:9] op_sel_hi:[1,0,1]
	v_pk_fma_f32 v[4:5], v[26:27], v[6:7], v[4:5] op_sel:[0,1,0]
	global_store_dwordx4 v[22:23], v[0:3], off
	global_store_dwordx2 v[22:23], v[4:5], off offset:16
	s_endpgm
	.section	.rodata,"a",@progbits
	.p2align	6, 0x0
	.amdhsa_kernel _ZN9rocsparseL18bsrxmvn_3x3_kernelILj256ELj8E21rocsparse_complex_numIfEllS2_S2_S2_EEvT3_20rocsparse_direction_NS_24const_host_device_scalarIT1_EES3_PKS3_PKT2_SC_S9_PKT4_PKT5_S7_PT6_21rocsparse_index_base_b
		.amdhsa_group_segment_fixed_size 0
		.amdhsa_private_segment_fixed_size 0
		.amdhsa_kernarg_size 104
		.amdhsa_user_sgpr_count 2
		.amdhsa_user_sgpr_dispatch_ptr 0
		.amdhsa_user_sgpr_queue_ptr 0
		.amdhsa_user_sgpr_kernarg_segment_ptr 1
		.amdhsa_user_sgpr_dispatch_id 0
		.amdhsa_user_sgpr_kernarg_preload_length 0
		.amdhsa_user_sgpr_kernarg_preload_offset 0
		.amdhsa_user_sgpr_private_segment_size 0
		.amdhsa_uses_dynamic_stack 0
		.amdhsa_enable_private_segment 0
		.amdhsa_system_sgpr_workgroup_id_x 1
		.amdhsa_system_sgpr_workgroup_id_y 0
		.amdhsa_system_sgpr_workgroup_id_z 0
		.amdhsa_system_sgpr_workgroup_info 0
		.amdhsa_system_vgpr_workitem_id 0
		.amdhsa_next_free_vgpr 60
		.amdhsa_next_free_sgpr 20
		.amdhsa_accum_offset 60
		.amdhsa_reserve_vcc 1
		.amdhsa_float_round_mode_32 0
		.amdhsa_float_round_mode_16_64 0
		.amdhsa_float_denorm_mode_32 3
		.amdhsa_float_denorm_mode_16_64 3
		.amdhsa_dx10_clamp 1
		.amdhsa_ieee_mode 1
		.amdhsa_fp16_overflow 0
		.amdhsa_tg_split 0
		.amdhsa_exception_fp_ieee_invalid_op 0
		.amdhsa_exception_fp_denorm_src 0
		.amdhsa_exception_fp_ieee_div_zero 0
		.amdhsa_exception_fp_ieee_overflow 0
		.amdhsa_exception_fp_ieee_underflow 0
		.amdhsa_exception_fp_ieee_inexact 0
		.amdhsa_exception_int_div_zero 0
	.end_amdhsa_kernel
	.section	.text._ZN9rocsparseL18bsrxmvn_3x3_kernelILj256ELj8E21rocsparse_complex_numIfEllS2_S2_S2_EEvT3_20rocsparse_direction_NS_24const_host_device_scalarIT1_EES3_PKS3_PKT2_SC_S9_PKT4_PKT5_S7_PT6_21rocsparse_index_base_b,"axG",@progbits,_ZN9rocsparseL18bsrxmvn_3x3_kernelILj256ELj8E21rocsparse_complex_numIfEllS2_S2_S2_EEvT3_20rocsparse_direction_NS_24const_host_device_scalarIT1_EES3_PKS3_PKT2_SC_S9_PKT4_PKT5_S7_PT6_21rocsparse_index_base_b,comdat
.Lfunc_end51:
	.size	_ZN9rocsparseL18bsrxmvn_3x3_kernelILj256ELj8E21rocsparse_complex_numIfEllS2_S2_S2_EEvT3_20rocsparse_direction_NS_24const_host_device_scalarIT1_EES3_PKS3_PKT2_SC_S9_PKT4_PKT5_S7_PT6_21rocsparse_index_base_b, .Lfunc_end51-_ZN9rocsparseL18bsrxmvn_3x3_kernelILj256ELj8E21rocsparse_complex_numIfEllS2_S2_S2_EEvT3_20rocsparse_direction_NS_24const_host_device_scalarIT1_EES3_PKS3_PKT2_SC_S9_PKT4_PKT5_S7_PT6_21rocsparse_index_base_b
                                        ; -- End function
	.section	.AMDGPU.csdata,"",@progbits
; Kernel info:
; codeLenInByte = 2100
; NumSgprs: 26
; NumVgprs: 60
; NumAgprs: 0
; TotalNumVgprs: 60
; ScratchSize: 0
; MemoryBound: 0
; FloatMode: 240
; IeeeMode: 1
; LDSByteSize: 0 bytes/workgroup (compile time only)
; SGPRBlocks: 3
; VGPRBlocks: 7
; NumSGPRsForWavesPerEU: 26
; NumVGPRsForWavesPerEU: 60
; AccumOffset: 60
; Occupancy: 8
; WaveLimiterHint : 1
; COMPUTE_PGM_RSRC2:SCRATCH_EN: 0
; COMPUTE_PGM_RSRC2:USER_SGPR: 2
; COMPUTE_PGM_RSRC2:TRAP_HANDLER: 0
; COMPUTE_PGM_RSRC2:TGID_X_EN: 1
; COMPUTE_PGM_RSRC2:TGID_Y_EN: 0
; COMPUTE_PGM_RSRC2:TGID_Z_EN: 0
; COMPUTE_PGM_RSRC2:TIDIG_COMP_CNT: 0
; COMPUTE_PGM_RSRC3_GFX90A:ACCUM_OFFSET: 14
; COMPUTE_PGM_RSRC3_GFX90A:TG_SPLIT: 0
	.section	.text._ZN9rocsparseL18bsrxmvn_3x3_kernelILj256ELj16E21rocsparse_complex_numIfEllS2_S2_S2_EEvT3_20rocsparse_direction_NS_24const_host_device_scalarIT1_EES3_PKS3_PKT2_SC_S9_PKT4_PKT5_S7_PT6_21rocsparse_index_base_b,"axG",@progbits,_ZN9rocsparseL18bsrxmvn_3x3_kernelILj256ELj16E21rocsparse_complex_numIfEllS2_S2_S2_EEvT3_20rocsparse_direction_NS_24const_host_device_scalarIT1_EES3_PKS3_PKT2_SC_S9_PKT4_PKT5_S7_PT6_21rocsparse_index_base_b,comdat
	.globl	_ZN9rocsparseL18bsrxmvn_3x3_kernelILj256ELj16E21rocsparse_complex_numIfEllS2_S2_S2_EEvT3_20rocsparse_direction_NS_24const_host_device_scalarIT1_EES3_PKS3_PKT2_SC_S9_PKT4_PKT5_S7_PT6_21rocsparse_index_base_b ; -- Begin function _ZN9rocsparseL18bsrxmvn_3x3_kernelILj256ELj16E21rocsparse_complex_numIfEllS2_S2_S2_EEvT3_20rocsparse_direction_NS_24const_host_device_scalarIT1_EES3_PKS3_PKT2_SC_S9_PKT4_PKT5_S7_PT6_21rocsparse_index_base_b
	.p2align	8
	.type	_ZN9rocsparseL18bsrxmvn_3x3_kernelILj256ELj16E21rocsparse_complex_numIfEllS2_S2_S2_EEvT3_20rocsparse_direction_NS_24const_host_device_scalarIT1_EES3_PKS3_PKT2_SC_S9_PKT4_PKT5_S7_PT6_21rocsparse_index_base_b,@function
_ZN9rocsparseL18bsrxmvn_3x3_kernelILj256ELj16E21rocsparse_complex_numIfEllS2_S2_S2_EEvT3_20rocsparse_direction_NS_24const_host_device_scalarIT1_EES3_PKS3_PKT2_SC_S9_PKT4_PKT5_S7_PT6_21rocsparse_index_base_b: ; @_ZN9rocsparseL18bsrxmvn_3x3_kernelILj256ELj16E21rocsparse_complex_numIfEllS2_S2_S2_EEvT3_20rocsparse_direction_NS_24const_host_device_scalarIT1_EES3_PKS3_PKT2_SC_S9_PKT4_PKT5_S7_PT6_21rocsparse_index_base_b
; %bb.0:
	s_load_dwordx2 s[12:13], s[0:1], 0x60
	s_load_dwordx4 s[8:11], s[0:1], 0x10
	s_load_dwordx2 s[6:7], s[0:1], 0x50
	s_waitcnt lgkmcnt(0)
	s_bitcmp1_b32 s13, 0
	s_cselect_b64 s[4:5], -1, 0
	s_xor_b64 s[14:15], s[4:5], -1
	s_and_b64 vcc, exec, s[4:5]
	v_mov_b32_e32 v2, s8
	s_cbranch_vccnz .LBB52_2
; %bb.1:
	v_mov_b64_e32 v[2:3], s[8:9]
	flat_load_dword v2, v[2:3]
.LBB52_2:
	v_cndmask_b32_e64 v1, 0, 1, s[14:15]
	v_cmp_ne_u32_e64 s[4:5], 1, v1
	s_andn2_b64 vcc, exec, s[14:15]
	v_mov_b32_e32 v3, s9
	s_cbranch_vccz .LBB52_15
; %bb.3:
	s_and_b64 vcc, exec, s[4:5]
	v_mov_b32_e32 v4, s6
	s_cbranch_vccz .LBB52_16
.LBB52_4:
	s_and_b64 vcc, exec, s[4:5]
	v_mov_b32_e32 v5, s7
	s_cbranch_vccnz .LBB52_6
.LBB52_5:
	v_mov_b64_e32 v[6:7], s[6:7]
	flat_load_dword v5, v[6:7] offset:4
.LBB52_6:
	s_waitcnt vmcnt(0) lgkmcnt(0)
	v_and_b32_e32 v1, 0x7fffffff, v2
	v_cmp_eq_u32_e32 vcc, 0, v1
	v_cmp_eq_f32_e64 s[4:5], 0, v3
	s_and_b64 s[8:9], vcc, s[4:5]
	s_mov_b64 s[4:5], -1
	s_and_saveexec_b64 s[6:7], s[8:9]
; %bb.7:
	v_and_b32_e32 v1, 0x7fffffff, v5
	v_cmp_neq_f32_e32 vcc, 1.0, v4
	v_cmp_ne_u32_e64 s[4:5], 0, v1
	s_or_b64 s[4:5], vcc, s[4:5]
	s_orn2_b64 s[4:5], s[4:5], exec
; %bb.8:
	s_or_b64 exec, exec, s[6:7]
	s_and_saveexec_b64 s[6:7], s[4:5]
	s_cbranch_execz .LBB52_14
; %bb.9:
	s_load_dwordx2 s[4:5], s[0:1], 0x20
	v_lshrrev_b32_e32 v1, 4, v0
	v_lshl_or_b32 v8, s2, 4, v1
	v_mov_b32_e32 v9, 0
	s_mov_b64 s[2:3], 0
	s_waitcnt lgkmcnt(0)
	s_cmp_lg_u64 s[4:5], 0
	s_cbranch_scc0 .LBB52_17
; %bb.10:
	v_cmp_gt_i64_e32 vcc, s[10:11], v[8:9]
                                        ; implicit-def: $vgpr6_vgpr7
	s_and_saveexec_b64 s[6:7], vcc
	s_xor_b64 s[6:7], exec, s[6:7]
                                        ; implicit-def: $sgpr14_sgpr15
	s_cbranch_execz .LBB52_12
; %bb.11:
	v_lshl_add_u64 v[6:7], v[8:9], 3, s[4:5]
	global_load_dwordx2 v[6:7], v[6:7], off
	s_mov_b64 s[2:3], exec
	s_mov_b32 s15, 0
	s_waitcnt vmcnt(0)
	v_subrev_co_u32_e32 v6, vcc, s12, v6
	s_nop 1
	v_subbrev_co_u32_e32 v7, vcc, 0, v7, vcc
.LBB52_12:
	s_or_b64 exec, exec, s[6:7]
.LBB52_13:
	s_and_b64 exec, exec, s[2:3]
	s_cbranch_execnz .LBB52_21
.LBB52_14:
	s_endpgm
.LBB52_15:
	v_mov_b64_e32 v[4:5], s[8:9]
	flat_load_dword v3, v[4:5] offset:4
	s_and_b64 vcc, exec, s[4:5]
	v_mov_b32_e32 v4, s6
	s_cbranch_vccnz .LBB52_4
.LBB52_16:
	v_mov_b64_e32 v[4:5], s[6:7]
	flat_load_dword v4, v[4:5]
	s_and_b64 vcc, exec, s[4:5]
	v_mov_b32_e32 v5, s7
	s_cbranch_vccz .LBB52_5
	s_branch .LBB52_6
.LBB52_17:
                                        ; implicit-def: $vgpr6_vgpr7
                                        ; implicit-def: $sgpr14_sgpr15
	s_cbranch_execz .LBB52_13
; %bb.18:
	s_load_dwordx2 s[4:5], s[0:1], 0x0
                                        ; implicit-def: $vgpr6_vgpr7
	s_waitcnt lgkmcnt(0)
	v_cmp_gt_i64_e32 vcc, s[4:5], v[8:9]
	s_and_saveexec_b64 s[4:5], vcc
                                        ; implicit-def: $sgpr14_sgpr15
; %bb.19:
	s_mov_b32 s15, 0
	s_or_b64 s[2:3], s[2:3], exec
	v_mov_b64_e32 v[6:7], v[8:9]
; %bb.20:
	s_or_b64 exec, exec, s[4:5]
	s_and_b64 exec, exec, s[2:3]
	s_cbranch_execz .LBB52_14
.LBB52_21:
	s_load_dwordx8 s[4:11], s[0:1], 0x28
	v_lshlrev_b64 v[8:9], 3, v[6:7]
	s_load_dword s2, s[0:1], 0x8
	v_mov_b32_e32 v16, s15
	v_and_b32_e32 v0, 15, v0
	s_waitcnt lgkmcnt(0)
	v_lshl_add_u64 v[10:11], s[4:5], 0, v[8:9]
	global_load_dwordx2 v[12:13], v[10:11], off
	s_cmp_eq_u64 s[6:7], 0
	v_lshl_add_u64 v[8:9], s[6:7], 0, v[8:9]
	v_lshl_add_u64 v[10:11], v[10:11], 0, 8
	s_cselect_b64 vcc, -1, 0
	v_cndmask_b32_e32 v9, v9, v11, vcc
	v_cndmask_b32_e32 v8, v8, v10, vcc
	global_load_dwordx2 v[10:11], v[8:9], off
	v_mov_b32_e32 v1, 0
	s_load_dwordx2 s[4:5], s[0:1], 0x48
	s_movk_i32 s6, 0x48
	v_mov_b64_e32 v[14:15], s[10:11]
	s_cmp_eq_u32 s2, 1
	s_waitcnt vmcnt(1)
	v_subrev_co_u32_e32 v8, vcc, s12, v12
	s_nop 1
	v_subb_co_u32_e32 v9, vcc, v13, v16, vcc
	v_lshl_add_u64 v[8:9], v[8:9], 0, v[0:1]
	v_mad_u64_u32 v[12:13], s[2:3], v8, s6, v[14:15]
	s_waitcnt vmcnt(0)
	v_subrev_co_u32_e32 v10, vcc, s12, v10
	v_mov_b32_e32 v14, v13
	s_nop 0
	v_subb_co_u32_e32 v11, vcc, v11, v16, vcc
	v_mad_u64_u32 v[14:15], s[2:3], v9, s6, v[14:15]
	v_mov_b32_e32 v13, v14
	v_cmp_lt_i64_e64 s[2:3], v[8:9], v[10:11]
	s_cbranch_scc1 .LBB52_27
; %bb.22:
	v_mov_b32_e32 v18, v1
	v_mov_b32_e32 v17, v1
	;; [unrolled: 1-line block ×5, first 2 shown]
	s_and_saveexec_b64 s[6:7], s[2:3]
	s_cbranch_execz .LBB52_26
; %bb.23:
	v_mov_b32_e32 v14, 0
	v_lshl_add_u64 v[20:21], v[8:9], 3, s[8:9]
	s_mov_b64 s[10:11], 0
	v_mov_b32_e32 v1, s15
	s_mov_b64 s[16:17], 0x80
	s_mov_b64 s[18:19], 0x480
	v_mov_b64_e32 v[22:23], v[8:9]
	v_mov_b64_e32 v[24:25], v[12:13]
	v_mov_b32_e32 v15, v14
	v_mov_b32_e32 v16, v14
	v_mov_b32_e32 v17, v14
	v_mov_b32_e32 v18, v14
	v_mov_b32_e32 v19, v14
.LBB52_24:                              ; =>This Inner Loop Header: Depth=1
	global_load_dwordx2 v[38:39], v[20:21], off
	global_load_dwordx4 v[26:29], v[24:25], off offset:48
	global_load_dwordx4 v[30:33], v[24:25], off offset:16
	global_load_dwordx4 v[34:37], v[24:25], off
	v_lshl_add_u64 v[22:23], v[22:23], 0, 16
	v_lshl_add_u64 v[20:21], v[20:21], 0, s[16:17]
	s_waitcnt vmcnt(3)
	v_subrev_co_u32_e32 v38, vcc, s12, v38
	s_waitcnt lgkmcnt(0)
	v_mad_u64_u32 v[46:47], s[20:21], v38, 24, s[4:5]
	v_subb_co_u32_e32 v39, vcc, v39, v1, vcc
	v_mov_b32_e32 v38, v47
	v_mad_u64_u32 v[38:39], s[20:21], v39, 24, v[38:39]
	v_mov_b32_e32 v47, v38
	global_load_dwordx2 v[48:49], v[46:47], off offset:16
	global_load_dwordx4 v[38:41], v[46:47], off
	global_load_dwordx4 v[42:45], v[24:25], off offset:32
	global_load_dwordx2 v[50:51], v[24:25], off offset:64
	s_waitcnt vmcnt(5)
	v_xor_b32_e32 v52, 0x80000000, v33
	v_mov_b32_e32 v53, v32
	s_waitcnt vmcnt(4)
	v_xor_b32_e32 v46, 0x80000000, v37
	v_mov_b32_e32 v47, v36
	v_xor_b32_e32 v56, 0x80000000, v29
	v_mov_b32_e32 v57, v28
	v_cmp_ge_i64_e32 vcc, v[22:23], v[10:11]
	v_lshl_add_u64 v[24:25], v[24:25], 0, s[18:19]
	s_or_b64 s[10:11], vcc, s[10:11]
	s_waitcnt vmcnt(2)
	v_pk_fma_f32 v[18:19], v[34:35], v[38:39], v[18:19] op_sel_hi:[1,0,1]
	v_pk_fma_f32 v[14:15], v[32:33], v[38:39], v[14:15] op_sel_hi:[1,0,1]
	;; [unrolled: 1-line block ×3, first 2 shown]
	v_pk_fma_f32 v[18:19], v[34:35], v[38:39], v[18:19] op_sel:[1,1,0] op_sel_hi:[0,1,1] neg_lo:[1,0,0]
	v_pk_fma_f32 v[14:15], v[52:53], v[38:39], v[14:15] op_sel:[0,1,0]
	v_pk_fma_f32 v[16:17], v[26:27], v[38:39], v[16:17] op_sel:[1,1,0] op_sel_hi:[0,1,1] neg_lo:[1,0,0]
	v_mov_b32_e32 v58, v41
	v_pk_fma_f32 v[18:19], v[36:37], v[40:41], v[18:19] op_sel_hi:[1,0,1]
	s_waitcnt vmcnt(1)
	v_pk_fma_f32 v[14:15], v[42:43], v[40:41], v[14:15] op_sel_hi:[1,0,1]
	v_pk_fma_f32 v[16:17], v[28:29], v[40:41], v[16:17] op_sel_hi:[1,0,1]
	;; [unrolled: 1-line block ×3, first 2 shown]
	v_pk_fma_f32 v[14:15], v[42:43], v[58:59], v[14:15] op_sel:[1,0,0] op_sel_hi:[0,0,1] neg_lo:[1,0,0]
	v_pk_fma_f32 v[16:17], v[56:57], v[58:59], v[16:17] op_sel_hi:[1,0,1]
	v_xor_b32_e32 v54, 0x80000000, v45
	v_mov_b32_e32 v55, v44
	v_pk_fma_f32 v[18:19], v[30:31], v[48:49], v[18:19] op_sel_hi:[1,0,1]
	v_pk_fma_f32 v[14:15], v[44:45], v[48:49], v[14:15] op_sel_hi:[1,0,1]
	s_waitcnt vmcnt(0)
	v_pk_fma_f32 v[16:17], v[50:51], v[48:49], v[16:17] op_sel_hi:[1,0,1]
	v_pk_fma_f32 v[18:19], v[30:31], v[48:49], v[18:19] op_sel:[1,1,0] op_sel_hi:[0,1,1] neg_lo:[1,0,0]
	v_pk_fma_f32 v[14:15], v[54:55], v[48:49], v[14:15] op_sel:[0,1,0]
	v_pk_fma_f32 v[16:17], v[50:51], v[48:49], v[16:17] op_sel:[1,1,0] op_sel_hi:[0,1,1] neg_lo:[1,0,0]
	s_andn2_b64 exec, exec, s[10:11]
	s_cbranch_execnz .LBB52_24
; %bb.25:
	s_or_b64 exec, exec, s[10:11]
	v_mov_b32_e32 v1, v19
.LBB52_26:
	s_or_b64 exec, exec, s[6:7]
	v_mov_b32_e32 v19, v1
	s_cbranch_execz .LBB52_28
	s_branch .LBB52_33
.LBB52_27:
                                        ; implicit-def: $vgpr19
                                        ; implicit-def: $vgpr17
                                        ; implicit-def: $vgpr15
.LBB52_28:
	v_mov_b32_e32 v19, 0
	v_mov_b32_e32 v18, v19
	;; [unrolled: 1-line block ×6, first 2 shown]
	s_and_saveexec_b64 s[6:7], s[2:3]
	s_cbranch_execz .LBB52_32
; %bb.29:
	v_mov_b32_e32 v14, 0
	v_lshl_add_u64 v[20:21], v[8:9], 3, s[8:9]
	s_mov_b64 s[2:3], 0
	v_mov_b32_e32 v1, s15
	s_mov_b64 s[8:9], 0x80
	s_mov_b64 s[10:11], 0x480
	v_mov_b32_e32 v15, v14
	v_mov_b32_e32 v16, v14
	;; [unrolled: 1-line block ×5, first 2 shown]
.LBB52_30:                              ; =>This Inner Loop Header: Depth=1
	global_load_dwordx2 v[34:35], v[20:21], off
	global_load_dwordx4 v[22:25], v[12:13], off offset:48
	global_load_dwordx4 v[26:29], v[12:13], off offset:16
	global_load_dwordx4 v[30:33], v[12:13], off
	v_lshl_add_u64 v[8:9], v[8:9], 0, 16
	v_lshl_add_u64 v[20:21], v[20:21], 0, s[8:9]
	s_waitcnt vmcnt(3)
	v_subrev_co_u32_e32 v34, vcc, s12, v34
	s_waitcnt lgkmcnt(0)
	v_mad_u64_u32 v[42:43], s[14:15], v34, 24, s[4:5]
	v_subb_co_u32_e32 v35, vcc, v35, v1, vcc
	v_mov_b32_e32 v34, v43
	v_mad_u64_u32 v[34:35], s[14:15], v35, 24, v[34:35]
	v_mov_b32_e32 v43, v34
	global_load_dwordx2 v[44:45], v[42:43], off offset:16
	global_load_dwordx4 v[34:37], v[42:43], off
	global_load_dwordx4 v[38:41], v[12:13], off offset:32
	global_load_dwordx2 v[46:47], v[12:13], off offset:64
	s_waitcnt vmcnt(4)
	v_xor_b32_e32 v48, 0x80000000, v33
	v_mov_b32_e32 v49, v32
	v_xor_b32_e32 v42, 0x80000000, v29
	v_mov_b32_e32 v43, v28
	v_cmp_ge_i64_e32 vcc, v[8:9], v[10:11]
	v_xor_b32_e32 v50, 0x80000000, v25
	v_mov_b32_e32 v51, v24
	v_lshl_add_u64 v[12:13], v[12:13], 0, s[10:11]
	s_or_b64 s[2:3], vcc, s[2:3]
	s_waitcnt vmcnt(2)
	v_pk_fma_f32 v[18:19], v[30:31], v[34:35], v[18:19] op_sel_hi:[1,0,1]
	v_pk_fma_f32 v[14:15], v[32:33], v[34:35], v[14:15] op_sel_hi:[1,0,1]
	;; [unrolled: 1-line block ×3, first 2 shown]
	v_pk_fma_f32 v[18:19], v[30:31], v[34:35], v[18:19] op_sel:[1,1,0] op_sel_hi:[0,1,1] neg_lo:[1,0,0]
	v_pk_fma_f32 v[14:15], v[48:49], v[34:35], v[14:15] op_sel:[0,1,0]
	v_pk_fma_f32 v[16:17], v[26:27], v[34:35], v[16:17] op_sel:[1,1,0] op_sel_hi:[0,1,1] neg_lo:[1,0,0]
	s_waitcnt vmcnt(1)
	v_xor_b32_e32 v52, 0x80000000, v41
	v_mov_b32_e32 v53, v40
	v_mov_b32_e32 v54, v37
	v_pk_fma_f32 v[18:19], v[28:29], v[36:37], v[18:19] op_sel_hi:[1,0,1]
	v_pk_fma_f32 v[14:15], v[38:39], v[36:37], v[14:15] op_sel_hi:[1,0,1]
	;; [unrolled: 1-line block ×4, first 2 shown]
	v_pk_fma_f32 v[14:15], v[38:39], v[54:55], v[14:15] op_sel:[1,0,0] op_sel_hi:[0,0,1] neg_lo:[1,0,0]
	v_pk_fma_f32 v[16:17], v[52:53], v[54:55], v[16:17] op_sel_hi:[1,0,1]
	v_pk_fma_f32 v[18:19], v[22:23], v[44:45], v[18:19] op_sel_hi:[1,0,1]
	;; [unrolled: 1-line block ×3, first 2 shown]
	s_waitcnt vmcnt(0)
	v_pk_fma_f32 v[16:17], v[46:47], v[44:45], v[16:17] op_sel_hi:[1,0,1]
	v_pk_fma_f32 v[18:19], v[22:23], v[44:45], v[18:19] op_sel:[1,1,0] op_sel_hi:[0,1,1] neg_lo:[1,0,0]
	v_pk_fma_f32 v[14:15], v[50:51], v[44:45], v[14:15] op_sel:[0,1,0]
	v_pk_fma_f32 v[16:17], v[46:47], v[44:45], v[16:17] op_sel:[1,1,0] op_sel_hi:[0,1,1] neg_lo:[1,0,0]
	s_andn2_b64 exec, exec, s[2:3]
	s_cbranch_execnz .LBB52_30
; %bb.31:
	s_or_b64 exec, exec, s[2:3]
.LBB52_32:
	s_or_b64 exec, exec, s[6:7]
.LBB52_33:
	v_mov_b32_dpp v11, v14 row_shr:1 row_mask:0xf bank_mask:0xf
	v_add_f32_e32 v11, v14, v11
	v_mov_b32_dpp v1, v18 row_shr:1 row_mask:0xf bank_mask:0xf
	v_add_f32_e32 v1, v18, v1
	;; [unrolled: 2-line block ×5, first 2 shown]
	v_mov_b32_dpp v8, v1 row_shr:2 row_mask:0xf bank_mask:0xf
	v_mov_b32_dpp v12, v15 row_shr:1 row_mask:0xf bank_mask:0xf
	v_add_f32_e32 v12, v15, v12
	v_mov_b32_dpp v10, v9 row_shr:2 row_mask:0xf bank_mask:0xf
	v_add_f32_e32 v1, v1, v8
	;; [unrolled: 2-line block ×3, first 2 shown]
	v_add_f32_e32 v9, v9, v10
	v_mov_b32_dpp v8, v1 row_shr:4 row_mask:0xf bank_mask:0xe
	v_mov_b32_dpp v14, v12 row_shr:4 row_mask:0xf bank_mask:0xe
	v_add_f32_e32 v14, v12, v14
	v_mov_b32_dpp v12, v16 row_shr:1 row_mask:0xf bank_mask:0xf
	v_add_f32_e32 v12, v16, v12
	;; [unrolled: 2-line block ×4, first 2 shown]
	v_add_f32_e32 v9, v9, v10
	v_mov_b32_dpp v8, v1 row_shr:8 row_mask:0xf bank_mask:0xc
	v_mov_b32_dpp v16, v12 row_shr:4 row_mask:0xf bank_mask:0xe
	v_add_f32_e32 v18, v12, v16
	v_mov_b32_dpp v12, v17 row_shr:1 row_mask:0xf bank_mask:0xf
	v_add_f32_e32 v12, v17, v12
	v_mov_b32_dpp v10, v9 row_shr:8 row_mask:0xf bank_mask:0xc
	v_mov_b32_dpp v13, v11 row_shr:8 row_mask:0xf bank_mask:0xc
	v_mov_b32_dpp v16, v12 row_shr:2 row_mask:0xf bank_mask:0xf
	v_add_f32_e32 v12, v12, v16
	v_mov_b32_dpp v15, v14 row_shr:8 row_mask:0xf bank_mask:0xc
	v_mov_b32_dpp v19, v18 row_shr:8 row_mask:0xf bank_mask:0xc
	;; [unrolled: 1-line block ×3, first 2 shown]
	v_add_f32_e32 v17, v12, v16
	v_cmp_eq_u32_e32 vcc, 15, v0
	s_nop 0
	v_mov_b32_dpp v20, v17 row_shr:8 row_mask:0xf bank_mask:0xc
	s_and_b64 exec, exec, vcc
	s_cbranch_execz .LBB52_14
; %bb.34:
	s_load_dwordx2 s[2:3], s[0:1], 0x58
	v_add_f32_e32 v12, v1, v8
	v_and_b32_e32 v1, 0x7fffffff, v4
	v_cmp_eq_u32_e32 vcc, 0, v1
	v_cmp_eq_f32_e64 s[0:1], 0, v5
	v_add_f32_e32 v16, v9, v10
	v_add_f32_e32 v10, v11, v13
	;; [unrolled: 1-line block ×5, first 2 shown]
	s_and_b64 s[0:1], vcc, s[0:1]
	s_waitcnt lgkmcnt(0)
	s_and_saveexec_b64 s[4:5], s[0:1]
	s_xor_b64 s[0:1], exec, s[4:5]
	s_cbranch_execz .LBB52_36
; %bb.35:
	v_mad_u64_u32 v[20:21], s[4:5], v6, 24, s[2:3]
	v_mov_b32_e32 v4, v21
	v_xor_b32_e32 v18, 0x80000000, v3
	v_mad_u64_u32 v[4:5], s[4:5], v7, 24, v[4:5]
	v_mov_b32_e32 v19, v2
	v_mov_b32_e32 v21, v4
	v_pk_mul_f32 v[4:5], v[16:17], v[18:19] op_sel_hi:[0,1]
	v_pk_mul_f32 v[6:7], v[14:15], v[18:19] op_sel_hi:[0,1]
	v_pk_fma_f32 v[4:5], v[2:3], v[12:13], v[4:5] op_sel_hi:[1,0,1]
	v_pk_fma_f32 v[6:7], v[2:3], v[10:11], v[6:7] op_sel_hi:[1,0,1]
	global_store_dwordx4 v[20:21], v[4:7], off
                                        ; implicit-def: $vgpr6_vgpr7
                                        ; implicit-def: $vgpr12
                                        ; implicit-def: $vgpr16
                                        ; implicit-def: $vgpr10
                                        ; implicit-def: $vgpr14
	s_nop 1
	v_pk_mul_f32 v[4:5], v[8:9], v[18:19] op_sel_hi:[0,1]
	v_pk_fma_f32 v[0:1], v[2:3], v[0:1], v[4:5] op_sel_hi:[1,0,1]
	global_store_dwordx2 v[20:21], v[0:1], off offset:16
                                        ; implicit-def: $vgpr3
                                        ; implicit-def: $vgpr4
                                        ; implicit-def: $vgpr0
                                        ; implicit-def: $vgpr8
.LBB52_36:
	s_andn2_saveexec_b64 s[0:1], s[0:1]
	s_cbranch_execz .LBB52_14
; %bb.37:
	v_mad_u64_u32 v[22:23], s[0:1], v6, 24, s[2:3]
	v_mov_b32_e32 v6, v23
	v_mad_u64_u32 v[6:7], s[0:1], v7, 24, v[6:7]
	v_mov_b32_e32 v23, v6
	global_load_dwordx4 v[18:21], v[22:23], off
	global_load_dwordx2 v[6:7], v[22:23], off offset:16
	v_xor_b32_e32 v24, 0x80000000, v3
	v_mov_b32_e32 v25, v2
	v_pk_mul_f32 v[16:17], v[16:17], v[24:25] op_sel_hi:[0,1]
	v_pk_mul_f32 v[14:15], v[14:15], v[24:25] op_sel_hi:[0,1]
	;; [unrolled: 1-line block ×3, first 2 shown]
	v_pk_fma_f32 v[12:13], v[2:3], v[12:13], v[16:17] op_sel_hi:[1,0,1]
	v_pk_fma_f32 v[10:11], v[2:3], v[10:11], v[14:15] op_sel_hi:[1,0,1]
	v_xor_b32_e32 v26, 0x80000000, v5
	v_mov_b32_e32 v27, v4
	v_pk_fma_f32 v[0:1], v[2:3], v[0:1], v[8:9] op_sel_hi:[1,0,1]
	s_waitcnt vmcnt(1)
	v_pk_fma_f32 v[2:3], v[4:5], v[18:19], v[12:13] op_sel_hi:[1,0,1]
	v_pk_fma_f32 v[8:9], v[4:5], v[20:21], v[10:11] op_sel_hi:[1,0,1]
	v_mov_b32_e32 v10, v21
	s_waitcnt vmcnt(0)
	v_pk_fma_f32 v[4:5], v[4:5], v[6:7], v[0:1] op_sel_hi:[1,0,1]
	v_pk_fma_f32 v[0:1], v[26:27], v[18:19], v[2:3] op_sel:[0,1,0]
	v_pk_fma_f32 v[2:3], v[26:27], v[10:11], v[8:9] op_sel_hi:[1,0,1]
	v_pk_fma_f32 v[4:5], v[26:27], v[6:7], v[4:5] op_sel:[0,1,0]
	global_store_dwordx4 v[22:23], v[0:3], off
	global_store_dwordx2 v[22:23], v[4:5], off offset:16
	s_endpgm
	.section	.rodata,"a",@progbits
	.p2align	6, 0x0
	.amdhsa_kernel _ZN9rocsparseL18bsrxmvn_3x3_kernelILj256ELj16E21rocsparse_complex_numIfEllS2_S2_S2_EEvT3_20rocsparse_direction_NS_24const_host_device_scalarIT1_EES3_PKS3_PKT2_SC_S9_PKT4_PKT5_S7_PT6_21rocsparse_index_base_b
		.amdhsa_group_segment_fixed_size 0
		.amdhsa_private_segment_fixed_size 0
		.amdhsa_kernarg_size 104
		.amdhsa_user_sgpr_count 2
		.amdhsa_user_sgpr_dispatch_ptr 0
		.amdhsa_user_sgpr_queue_ptr 0
		.amdhsa_user_sgpr_kernarg_segment_ptr 1
		.amdhsa_user_sgpr_dispatch_id 0
		.amdhsa_user_sgpr_kernarg_preload_length 0
		.amdhsa_user_sgpr_kernarg_preload_offset 0
		.amdhsa_user_sgpr_private_segment_size 0
		.amdhsa_uses_dynamic_stack 0
		.amdhsa_enable_private_segment 0
		.amdhsa_system_sgpr_workgroup_id_x 1
		.amdhsa_system_sgpr_workgroup_id_y 0
		.amdhsa_system_sgpr_workgroup_id_z 0
		.amdhsa_system_sgpr_workgroup_info 0
		.amdhsa_system_vgpr_workitem_id 0
		.amdhsa_next_free_vgpr 60
		.amdhsa_next_free_sgpr 22
		.amdhsa_accum_offset 60
		.amdhsa_reserve_vcc 1
		.amdhsa_float_round_mode_32 0
		.amdhsa_float_round_mode_16_64 0
		.amdhsa_float_denorm_mode_32 3
		.amdhsa_float_denorm_mode_16_64 3
		.amdhsa_dx10_clamp 1
		.amdhsa_ieee_mode 1
		.amdhsa_fp16_overflow 0
		.amdhsa_tg_split 0
		.amdhsa_exception_fp_ieee_invalid_op 0
		.amdhsa_exception_fp_denorm_src 0
		.amdhsa_exception_fp_ieee_div_zero 0
		.amdhsa_exception_fp_ieee_overflow 0
		.amdhsa_exception_fp_ieee_underflow 0
		.amdhsa_exception_fp_ieee_inexact 0
		.amdhsa_exception_int_div_zero 0
	.end_amdhsa_kernel
	.section	.text._ZN9rocsparseL18bsrxmvn_3x3_kernelILj256ELj16E21rocsparse_complex_numIfEllS2_S2_S2_EEvT3_20rocsparse_direction_NS_24const_host_device_scalarIT1_EES3_PKS3_PKT2_SC_S9_PKT4_PKT5_S7_PT6_21rocsparse_index_base_b,"axG",@progbits,_ZN9rocsparseL18bsrxmvn_3x3_kernelILj256ELj16E21rocsparse_complex_numIfEllS2_S2_S2_EEvT3_20rocsparse_direction_NS_24const_host_device_scalarIT1_EES3_PKS3_PKT2_SC_S9_PKT4_PKT5_S7_PT6_21rocsparse_index_base_b,comdat
.Lfunc_end52:
	.size	_ZN9rocsparseL18bsrxmvn_3x3_kernelILj256ELj16E21rocsparse_complex_numIfEllS2_S2_S2_EEvT3_20rocsparse_direction_NS_24const_host_device_scalarIT1_EES3_PKS3_PKT2_SC_S9_PKT4_PKT5_S7_PT6_21rocsparse_index_base_b, .Lfunc_end52-_ZN9rocsparseL18bsrxmvn_3x3_kernelILj256ELj16E21rocsparse_complex_numIfEllS2_S2_S2_EEvT3_20rocsparse_direction_NS_24const_host_device_scalarIT1_EES3_PKS3_PKT2_SC_S9_PKT4_PKT5_S7_PT6_21rocsparse_index_base_b
                                        ; -- End function
	.section	.AMDGPU.csdata,"",@progbits
; Kernel info:
; codeLenInByte = 2192
; NumSgprs: 28
; NumVgprs: 60
; NumAgprs: 0
; TotalNumVgprs: 60
; ScratchSize: 0
; MemoryBound: 0
; FloatMode: 240
; IeeeMode: 1
; LDSByteSize: 0 bytes/workgroup (compile time only)
; SGPRBlocks: 3
; VGPRBlocks: 7
; NumSGPRsForWavesPerEU: 28
; NumVGPRsForWavesPerEU: 60
; AccumOffset: 60
; Occupancy: 8
; WaveLimiterHint : 1
; COMPUTE_PGM_RSRC2:SCRATCH_EN: 0
; COMPUTE_PGM_RSRC2:USER_SGPR: 2
; COMPUTE_PGM_RSRC2:TRAP_HANDLER: 0
; COMPUTE_PGM_RSRC2:TGID_X_EN: 1
; COMPUTE_PGM_RSRC2:TGID_Y_EN: 0
; COMPUTE_PGM_RSRC2:TGID_Z_EN: 0
; COMPUTE_PGM_RSRC2:TIDIG_COMP_CNT: 0
; COMPUTE_PGM_RSRC3_GFX90A:ACCUM_OFFSET: 14
; COMPUTE_PGM_RSRC3_GFX90A:TG_SPLIT: 0
	.section	.text._ZN9rocsparseL18bsrxmvn_3x3_kernelILj256ELj32E21rocsparse_complex_numIfEllS2_S2_S2_EEvT3_20rocsparse_direction_NS_24const_host_device_scalarIT1_EES3_PKS3_PKT2_SC_S9_PKT4_PKT5_S7_PT6_21rocsparse_index_base_b,"axG",@progbits,_ZN9rocsparseL18bsrxmvn_3x3_kernelILj256ELj32E21rocsparse_complex_numIfEllS2_S2_S2_EEvT3_20rocsparse_direction_NS_24const_host_device_scalarIT1_EES3_PKS3_PKT2_SC_S9_PKT4_PKT5_S7_PT6_21rocsparse_index_base_b,comdat
	.globl	_ZN9rocsparseL18bsrxmvn_3x3_kernelILj256ELj32E21rocsparse_complex_numIfEllS2_S2_S2_EEvT3_20rocsparse_direction_NS_24const_host_device_scalarIT1_EES3_PKS3_PKT2_SC_S9_PKT4_PKT5_S7_PT6_21rocsparse_index_base_b ; -- Begin function _ZN9rocsparseL18bsrxmvn_3x3_kernelILj256ELj32E21rocsparse_complex_numIfEllS2_S2_S2_EEvT3_20rocsparse_direction_NS_24const_host_device_scalarIT1_EES3_PKS3_PKT2_SC_S9_PKT4_PKT5_S7_PT6_21rocsparse_index_base_b
	.p2align	8
	.type	_ZN9rocsparseL18bsrxmvn_3x3_kernelILj256ELj32E21rocsparse_complex_numIfEllS2_S2_S2_EEvT3_20rocsparse_direction_NS_24const_host_device_scalarIT1_EES3_PKS3_PKT2_SC_S9_PKT4_PKT5_S7_PT6_21rocsparse_index_base_b,@function
_ZN9rocsparseL18bsrxmvn_3x3_kernelILj256ELj32E21rocsparse_complex_numIfEllS2_S2_S2_EEvT3_20rocsparse_direction_NS_24const_host_device_scalarIT1_EES3_PKS3_PKT2_SC_S9_PKT4_PKT5_S7_PT6_21rocsparse_index_base_b: ; @_ZN9rocsparseL18bsrxmvn_3x3_kernelILj256ELj32E21rocsparse_complex_numIfEllS2_S2_S2_EEvT3_20rocsparse_direction_NS_24const_host_device_scalarIT1_EES3_PKS3_PKT2_SC_S9_PKT4_PKT5_S7_PT6_21rocsparse_index_base_b
; %bb.0:
	s_load_dwordx2 s[12:13], s[0:1], 0x60
	s_load_dwordx4 s[8:11], s[0:1], 0x10
	s_load_dwordx2 s[6:7], s[0:1], 0x50
	s_waitcnt lgkmcnt(0)
	s_bitcmp1_b32 s13, 0
	s_cselect_b64 s[4:5], -1, 0
	s_xor_b64 s[14:15], s[4:5], -1
	s_and_b64 vcc, exec, s[4:5]
	v_mov_b32_e32 v2, s8
	s_cbranch_vccnz .LBB53_2
; %bb.1:
	v_mov_b64_e32 v[2:3], s[8:9]
	flat_load_dword v2, v[2:3]
.LBB53_2:
	v_cndmask_b32_e64 v1, 0, 1, s[14:15]
	v_cmp_ne_u32_e64 s[4:5], 1, v1
	s_andn2_b64 vcc, exec, s[14:15]
	v_mov_b32_e32 v3, s9
	s_cbranch_vccz .LBB53_15
; %bb.3:
	s_and_b64 vcc, exec, s[4:5]
	v_mov_b32_e32 v4, s6
	s_cbranch_vccz .LBB53_16
.LBB53_4:
	s_and_b64 vcc, exec, s[4:5]
	v_mov_b32_e32 v5, s7
	s_cbranch_vccnz .LBB53_6
.LBB53_5:
	v_mov_b64_e32 v[6:7], s[6:7]
	flat_load_dword v5, v[6:7] offset:4
.LBB53_6:
	s_waitcnt vmcnt(0) lgkmcnt(0)
	v_and_b32_e32 v1, 0x7fffffff, v2
	v_cmp_eq_u32_e32 vcc, 0, v1
	v_cmp_eq_f32_e64 s[4:5], 0, v3
	s_and_b64 s[8:9], vcc, s[4:5]
	s_mov_b64 s[4:5], -1
	s_and_saveexec_b64 s[6:7], s[8:9]
; %bb.7:
	v_and_b32_e32 v1, 0x7fffffff, v5
	v_cmp_neq_f32_e32 vcc, 1.0, v4
	v_cmp_ne_u32_e64 s[4:5], 0, v1
	s_or_b64 s[4:5], vcc, s[4:5]
	s_orn2_b64 s[4:5], s[4:5], exec
; %bb.8:
	s_or_b64 exec, exec, s[6:7]
	s_and_saveexec_b64 s[6:7], s[4:5]
	s_cbranch_execz .LBB53_14
; %bb.9:
	s_load_dwordx2 s[4:5], s[0:1], 0x20
	v_lshrrev_b32_e32 v1, 5, v0
	v_lshl_or_b32 v8, s2, 3, v1
	v_mov_b32_e32 v9, 0
	s_mov_b64 s[2:3], 0
	s_waitcnt lgkmcnt(0)
	s_cmp_lg_u64 s[4:5], 0
	s_cbranch_scc0 .LBB53_17
; %bb.10:
	v_cmp_gt_i64_e32 vcc, s[10:11], v[8:9]
                                        ; implicit-def: $vgpr6_vgpr7
	s_and_saveexec_b64 s[6:7], vcc
	s_xor_b64 s[6:7], exec, s[6:7]
                                        ; implicit-def: $sgpr14_sgpr15
	s_cbranch_execz .LBB53_12
; %bb.11:
	v_lshl_add_u64 v[6:7], v[8:9], 3, s[4:5]
	global_load_dwordx2 v[6:7], v[6:7], off
	s_mov_b64 s[2:3], exec
	s_mov_b32 s15, 0
	s_waitcnt vmcnt(0)
	v_subrev_co_u32_e32 v6, vcc, s12, v6
	s_nop 1
	v_subbrev_co_u32_e32 v7, vcc, 0, v7, vcc
.LBB53_12:
	s_or_b64 exec, exec, s[6:7]
.LBB53_13:
	s_and_b64 exec, exec, s[2:3]
	s_cbranch_execnz .LBB53_21
.LBB53_14:
	s_endpgm
.LBB53_15:
	v_mov_b64_e32 v[4:5], s[8:9]
	flat_load_dword v3, v[4:5] offset:4
	s_and_b64 vcc, exec, s[4:5]
	v_mov_b32_e32 v4, s6
	s_cbranch_vccnz .LBB53_4
.LBB53_16:
	v_mov_b64_e32 v[4:5], s[6:7]
	flat_load_dword v4, v[4:5]
	s_and_b64 vcc, exec, s[4:5]
	v_mov_b32_e32 v5, s7
	s_cbranch_vccz .LBB53_5
	s_branch .LBB53_6
.LBB53_17:
                                        ; implicit-def: $vgpr6_vgpr7
                                        ; implicit-def: $sgpr14_sgpr15
	s_cbranch_execz .LBB53_13
; %bb.18:
	s_load_dwordx2 s[4:5], s[0:1], 0x0
                                        ; implicit-def: $vgpr6_vgpr7
	s_waitcnt lgkmcnt(0)
	v_cmp_gt_i64_e32 vcc, s[4:5], v[8:9]
	s_and_saveexec_b64 s[4:5], vcc
                                        ; implicit-def: $sgpr14_sgpr15
; %bb.19:
	s_mov_b32 s15, 0
	s_or_b64 s[2:3], s[2:3], exec
	v_mov_b64_e32 v[6:7], v[8:9]
; %bb.20:
	s_or_b64 exec, exec, s[4:5]
	s_and_b64 exec, exec, s[2:3]
	s_cbranch_execz .LBB53_14
.LBB53_21:
	s_load_dwordx8 s[4:11], s[0:1], 0x28
	v_lshlrev_b64 v[8:9], 3, v[6:7]
	s_load_dword s2, s[0:1], 0x8
	v_mov_b32_e32 v16, s15
	v_and_b32_e32 v0, 31, v0
	s_waitcnt lgkmcnt(0)
	v_lshl_add_u64 v[10:11], s[4:5], 0, v[8:9]
	global_load_dwordx2 v[12:13], v[10:11], off
	s_cmp_eq_u64 s[6:7], 0
	v_lshl_add_u64 v[8:9], s[6:7], 0, v[8:9]
	v_lshl_add_u64 v[10:11], v[10:11], 0, 8
	s_cselect_b64 vcc, -1, 0
	v_cndmask_b32_e32 v9, v9, v11, vcc
	v_cndmask_b32_e32 v8, v8, v10, vcc
	global_load_dwordx2 v[8:9], v[8:9], off
	v_mov_b32_e32 v1, 0
	s_load_dwordx2 s[4:5], s[0:1], 0x48
	s_movk_i32 s6, 0x48
	v_mov_b64_e32 v[14:15], s[10:11]
	s_cmp_eq_u32 s2, 1
	s_waitcnt vmcnt(1)
	v_subrev_co_u32_e32 v10, vcc, s12, v12
	s_nop 1
	v_subb_co_u32_e32 v11, vcc, v13, v16, vcc
	v_lshl_add_u64 v[10:11], v[10:11], 0, v[0:1]
	v_mad_u64_u32 v[14:15], s[2:3], v10, s6, v[14:15]
	s_waitcnt vmcnt(0)
	v_subrev_co_u32_e32 v12, vcc, s12, v8
	v_mov_b32_e32 v8, v15
	s_nop 0
	v_subb_co_u32_e32 v13, vcc, v9, v16, vcc
	v_mad_u64_u32 v[8:9], s[2:3], v11, s6, v[8:9]
	v_mov_b32_e32 v15, v8
	v_cmp_lt_i64_e64 s[2:3], v[10:11], v[12:13]
	s_cbranch_scc1 .LBB53_27
; %bb.22:
	v_mov_b32_e32 v18, v1
	v_mov_b32_e32 v9, v1
	;; [unrolled: 1-line block ×5, first 2 shown]
	s_and_saveexec_b64 s[6:7], s[2:3]
	s_cbranch_execz .LBB53_26
; %bb.23:
	v_mov_b32_e32 v16, 0
	v_lshl_add_u64 v[20:21], v[10:11], 3, s[8:9]
	s_mov_b64 s[10:11], 0
	v_mov_b32_e32 v1, s15
	s_mov_b64 s[16:17], 0x100
	s_mov_b64 s[18:19], 0x900
	v_mov_b64_e32 v[22:23], v[10:11]
	v_mov_b64_e32 v[24:25], v[14:15]
	v_mov_b32_e32 v17, v16
	v_mov_b32_e32 v8, v16
	;; [unrolled: 1-line block ×5, first 2 shown]
.LBB53_24:                              ; =>This Inner Loop Header: Depth=1
	global_load_dwordx2 v[38:39], v[20:21], off
	global_load_dwordx4 v[26:29], v[24:25], off offset:48
	global_load_dwordx4 v[30:33], v[24:25], off offset:16
	global_load_dwordx4 v[34:37], v[24:25], off
	v_lshl_add_u64 v[22:23], v[22:23], 0, 32
	v_lshl_add_u64 v[20:21], v[20:21], 0, s[16:17]
	s_waitcnt vmcnt(3)
	v_subrev_co_u32_e32 v38, vcc, s12, v38
	s_waitcnt lgkmcnt(0)
	v_mad_u64_u32 v[46:47], s[20:21], v38, 24, s[4:5]
	v_subb_co_u32_e32 v39, vcc, v39, v1, vcc
	v_mov_b32_e32 v38, v47
	v_mad_u64_u32 v[38:39], s[20:21], v39, 24, v[38:39]
	v_mov_b32_e32 v47, v38
	global_load_dwordx2 v[48:49], v[46:47], off offset:16
	global_load_dwordx4 v[38:41], v[46:47], off
	global_load_dwordx4 v[42:45], v[24:25], off offset:32
	global_load_dwordx2 v[50:51], v[24:25], off offset:64
	s_waitcnt vmcnt(5)
	v_xor_b32_e32 v52, 0x80000000, v33
	v_mov_b32_e32 v53, v32
	s_waitcnt vmcnt(4)
	v_xor_b32_e32 v46, 0x80000000, v37
	v_mov_b32_e32 v47, v36
	v_xor_b32_e32 v56, 0x80000000, v29
	v_mov_b32_e32 v57, v28
	v_cmp_ge_i64_e32 vcc, v[22:23], v[12:13]
	v_lshl_add_u64 v[24:25], v[24:25], 0, s[18:19]
	s_or_b64 s[10:11], vcc, s[10:11]
	s_waitcnt vmcnt(2)
	v_pk_fma_f32 v[18:19], v[34:35], v[38:39], v[18:19] op_sel_hi:[1,0,1]
	v_pk_fma_f32 v[16:17], v[32:33], v[38:39], v[16:17] op_sel_hi:[1,0,1]
	;; [unrolled: 1-line block ×3, first 2 shown]
	v_pk_fma_f32 v[18:19], v[34:35], v[38:39], v[18:19] op_sel:[1,1,0] op_sel_hi:[0,1,1] neg_lo:[1,0,0]
	v_pk_fma_f32 v[16:17], v[52:53], v[38:39], v[16:17] op_sel:[0,1,0]
	v_pk_fma_f32 v[8:9], v[26:27], v[38:39], v[8:9] op_sel:[1,1,0] op_sel_hi:[0,1,1] neg_lo:[1,0,0]
	v_mov_b32_e32 v58, v41
	v_pk_fma_f32 v[18:19], v[36:37], v[40:41], v[18:19] op_sel_hi:[1,0,1]
	s_waitcnt vmcnt(1)
	v_pk_fma_f32 v[16:17], v[42:43], v[40:41], v[16:17] op_sel_hi:[1,0,1]
	v_pk_fma_f32 v[8:9], v[28:29], v[40:41], v[8:9] op_sel_hi:[1,0,1]
	;; [unrolled: 1-line block ×3, first 2 shown]
	v_pk_fma_f32 v[16:17], v[42:43], v[58:59], v[16:17] op_sel:[1,0,0] op_sel_hi:[0,0,1] neg_lo:[1,0,0]
	v_pk_fma_f32 v[8:9], v[56:57], v[58:59], v[8:9] op_sel_hi:[1,0,1]
	v_xor_b32_e32 v54, 0x80000000, v45
	v_mov_b32_e32 v55, v44
	v_pk_fma_f32 v[18:19], v[30:31], v[48:49], v[18:19] op_sel_hi:[1,0,1]
	v_pk_fma_f32 v[16:17], v[44:45], v[48:49], v[16:17] op_sel_hi:[1,0,1]
	s_waitcnt vmcnt(0)
	v_pk_fma_f32 v[8:9], v[50:51], v[48:49], v[8:9] op_sel_hi:[1,0,1]
	v_pk_fma_f32 v[18:19], v[30:31], v[48:49], v[18:19] op_sel:[1,1,0] op_sel_hi:[0,1,1] neg_lo:[1,0,0]
	v_pk_fma_f32 v[16:17], v[54:55], v[48:49], v[16:17] op_sel:[0,1,0]
	v_pk_fma_f32 v[8:9], v[50:51], v[48:49], v[8:9] op_sel:[1,1,0] op_sel_hi:[0,1,1] neg_lo:[1,0,0]
	s_andn2_b64 exec, exec, s[10:11]
	s_cbranch_execnz .LBB53_24
; %bb.25:
	s_or_b64 exec, exec, s[10:11]
	v_mov_b32_e32 v1, v19
.LBB53_26:
	s_or_b64 exec, exec, s[6:7]
	v_mov_b32_e32 v19, v1
	s_cbranch_execz .LBB53_28
	s_branch .LBB53_33
.LBB53_27:
                                        ; implicit-def: $vgpr19
                                        ; implicit-def: $vgpr9
                                        ; implicit-def: $vgpr17
.LBB53_28:
	v_mov_b32_e32 v19, 0
	v_mov_b32_e32 v18, v19
	;; [unrolled: 1-line block ×6, first 2 shown]
	s_and_saveexec_b64 s[6:7], s[2:3]
	s_cbranch_execz .LBB53_32
; %bb.29:
	v_mov_b32_e32 v16, 0
	v_lshl_add_u64 v[20:21], v[10:11], 3, s[8:9]
	s_mov_b64 s[2:3], 0
	v_mov_b32_e32 v1, s15
	s_mov_b64 s[8:9], 0x100
	s_mov_b64 s[10:11], 0x900
	v_mov_b32_e32 v17, v16
	v_mov_b32_e32 v8, v16
	;; [unrolled: 1-line block ×5, first 2 shown]
.LBB53_30:                              ; =>This Inner Loop Header: Depth=1
	global_load_dwordx2 v[34:35], v[20:21], off
	global_load_dwordx4 v[22:25], v[14:15], off offset:48
	global_load_dwordx4 v[26:29], v[14:15], off offset:16
	global_load_dwordx4 v[30:33], v[14:15], off
	v_lshl_add_u64 v[10:11], v[10:11], 0, 32
	v_lshl_add_u64 v[20:21], v[20:21], 0, s[8:9]
	s_waitcnt vmcnt(3)
	v_subrev_co_u32_e32 v34, vcc, s12, v34
	s_waitcnt lgkmcnt(0)
	v_mad_u64_u32 v[42:43], s[14:15], v34, 24, s[4:5]
	v_subb_co_u32_e32 v35, vcc, v35, v1, vcc
	v_mov_b32_e32 v34, v43
	v_mad_u64_u32 v[34:35], s[14:15], v35, 24, v[34:35]
	v_mov_b32_e32 v43, v34
	global_load_dwordx2 v[44:45], v[42:43], off offset:16
	global_load_dwordx4 v[34:37], v[42:43], off
	global_load_dwordx4 v[38:41], v[14:15], off offset:32
	global_load_dwordx2 v[46:47], v[14:15], off offset:64
	s_waitcnt vmcnt(4)
	v_xor_b32_e32 v48, 0x80000000, v33
	v_mov_b32_e32 v49, v32
	v_xor_b32_e32 v42, 0x80000000, v29
	v_mov_b32_e32 v43, v28
	v_cmp_ge_i64_e32 vcc, v[10:11], v[12:13]
	v_xor_b32_e32 v50, 0x80000000, v25
	v_mov_b32_e32 v51, v24
	v_lshl_add_u64 v[14:15], v[14:15], 0, s[10:11]
	s_or_b64 s[2:3], vcc, s[2:3]
	s_waitcnt vmcnt(2)
	v_pk_fma_f32 v[18:19], v[30:31], v[34:35], v[18:19] op_sel_hi:[1,0,1]
	v_pk_fma_f32 v[16:17], v[32:33], v[34:35], v[16:17] op_sel_hi:[1,0,1]
	v_pk_fma_f32 v[8:9], v[26:27], v[34:35], v[8:9] op_sel_hi:[1,0,1]
	v_pk_fma_f32 v[18:19], v[30:31], v[34:35], v[18:19] op_sel:[1,1,0] op_sel_hi:[0,1,1] neg_lo:[1,0,0]
	v_pk_fma_f32 v[16:17], v[48:49], v[34:35], v[16:17] op_sel:[0,1,0]
	v_pk_fma_f32 v[8:9], v[26:27], v[34:35], v[8:9] op_sel:[1,1,0] op_sel_hi:[0,1,1] neg_lo:[1,0,0]
	s_waitcnt vmcnt(1)
	v_xor_b32_e32 v52, 0x80000000, v41
	v_mov_b32_e32 v53, v40
	v_mov_b32_e32 v54, v37
	v_pk_fma_f32 v[18:19], v[28:29], v[36:37], v[18:19] op_sel_hi:[1,0,1]
	v_pk_fma_f32 v[16:17], v[38:39], v[36:37], v[16:17] op_sel_hi:[1,0,1]
	;; [unrolled: 1-line block ×4, first 2 shown]
	v_pk_fma_f32 v[16:17], v[38:39], v[54:55], v[16:17] op_sel:[1,0,0] op_sel_hi:[0,0,1] neg_lo:[1,0,0]
	v_pk_fma_f32 v[8:9], v[52:53], v[54:55], v[8:9] op_sel_hi:[1,0,1]
	v_pk_fma_f32 v[18:19], v[22:23], v[44:45], v[18:19] op_sel_hi:[1,0,1]
	;; [unrolled: 1-line block ×3, first 2 shown]
	s_waitcnt vmcnt(0)
	v_pk_fma_f32 v[8:9], v[46:47], v[44:45], v[8:9] op_sel_hi:[1,0,1]
	v_pk_fma_f32 v[18:19], v[22:23], v[44:45], v[18:19] op_sel:[1,1,0] op_sel_hi:[0,1,1] neg_lo:[1,0,0]
	v_pk_fma_f32 v[16:17], v[50:51], v[44:45], v[16:17] op_sel:[0,1,0]
	v_pk_fma_f32 v[8:9], v[46:47], v[44:45], v[8:9] op_sel:[1,1,0] op_sel_hi:[0,1,1] neg_lo:[1,0,0]
	s_andn2_b64 exec, exec, s[2:3]
	s_cbranch_execnz .LBB53_30
; %bb.31:
	s_or_b64 exec, exec, s[2:3]
.LBB53_32:
	s_or_b64 exec, exec, s[6:7]
.LBB53_33:
	v_mov_b32_dpp v11, v19 row_shr:1 row_mask:0xf bank_mask:0xf
	v_add_f32_e32 v11, v19, v11
	v_mov_b32_dpp v1, v18 row_shr:1 row_mask:0xf bank_mask:0xf
	v_add_f32_e32 v1, v18, v1
	;; [unrolled: 2-line block ×7, first 2 shown]
	v_mov_b32_dpp v10, v1 row_shr:8 row_mask:0xf bank_mask:0xc
	v_mov_b32_dpp v12, v16 row_shr:1 row_mask:0xf bank_mask:0xf
	v_add_f32_e32 v12, v16, v12
	v_add_f32_e32 v1, v1, v10
	v_mov_b32_dpp v13, v11 row_bcast:15 row_mask:0xa bank_mask:0xf
	v_mov_b32_dpp v14, v12 row_shr:2 row_mask:0xf bank_mask:0xf
	v_add_f32_e32 v12, v12, v14
	v_mov_b32_dpp v10, v1 row_bcast:15 row_mask:0xa bank_mask:0xf
	v_cmp_eq_u32_e32 vcc, 31, v0
	v_mov_b32_dpp v14, v12 row_shr:4 row_mask:0xf bank_mask:0xe
	v_add_f32_e32 v12, v12, v14
	s_nop 1
	v_mov_b32_dpp v14, v12 row_shr:8 row_mask:0xf bank_mask:0xc
	v_add_f32_e32 v14, v12, v14
	v_mov_b32_dpp v12, v17 row_shr:1 row_mask:0xf bank_mask:0xf
	v_add_f32_e32 v12, v17, v12
	v_mov_b32_dpp v15, v14 row_bcast:15 row_mask:0xa bank_mask:0xf
	s_nop 0
	v_mov_b32_dpp v16, v12 row_shr:2 row_mask:0xf bank_mask:0xf
	v_add_f32_e32 v12, v12, v16
	s_nop 1
	v_mov_b32_dpp v16, v12 row_shr:4 row_mask:0xf bank_mask:0xe
	v_add_f32_e32 v12, v12, v16
	;; [unrolled: 3-line block ×3, first 2 shown]
	v_mov_b32_dpp v12, v8 row_shr:1 row_mask:0xf bank_mask:0xf
	v_add_f32_e32 v8, v8, v12
	v_mov_b32_dpp v18, v17 row_bcast:15 row_mask:0xa bank_mask:0xf
	s_nop 0
	v_mov_b32_dpp v12, v8 row_shr:2 row_mask:0xf bank_mask:0xf
	v_add_f32_e32 v8, v8, v12
	s_nop 1
	v_mov_b32_dpp v12, v8 row_shr:4 row_mask:0xf bank_mask:0xe
	v_add_f32_e32 v8, v8, v12
	;; [unrolled: 3-line block ×4, first 2 shown]
	v_mov_b32_dpp v19, v8 row_bcast:15 row_mask:0xa bank_mask:0xf
	s_nop 0
	v_mov_b32_dpp v12, v9 row_shr:2 row_mask:0xf bank_mask:0xf
	v_add_f32_e32 v9, v9, v12
	s_nop 1
	v_mov_b32_dpp v12, v9 row_shr:4 row_mask:0xf bank_mask:0xe
	v_add_f32_e32 v9, v9, v12
	;; [unrolled: 3-line block ×3, first 2 shown]
	s_nop 1
	v_mov_b32_dpp v20, v9 row_bcast:15 row_mask:0xa bank_mask:0xf
	s_and_b64 exec, exec, vcc
	s_cbranch_execz .LBB53_14
; %bb.34:
	s_load_dwordx2 s[2:3], s[0:1], 0x58
	v_add_f32_e32 v12, v1, v10
	v_and_b32_e32 v1, 0x7fffffff, v4
	v_cmp_eq_u32_e32 vcc, 0, v1
	v_cmp_eq_f32_e64 s[0:1], 0, v5
	v_add_f32_e32 v16, v11, v13
	v_add_f32_e32 v10, v14, v15
	;; [unrolled: 1-line block ×5, first 2 shown]
	s_and_b64 s[0:1], vcc, s[0:1]
	s_waitcnt lgkmcnt(0)
	s_and_saveexec_b64 s[4:5], s[0:1]
	s_xor_b64 s[0:1], exec, s[4:5]
	s_cbranch_execz .LBB53_36
; %bb.35:
	v_mad_u64_u32 v[20:21], s[4:5], v6, 24, s[2:3]
	v_mov_b32_e32 v4, v21
	v_xor_b32_e32 v18, 0x80000000, v3
	v_mad_u64_u32 v[4:5], s[4:5], v7, 24, v[4:5]
	v_mov_b32_e32 v19, v2
	v_mov_b32_e32 v21, v4
	v_pk_mul_f32 v[4:5], v[16:17], v[18:19] op_sel_hi:[0,1]
	v_pk_mul_f32 v[6:7], v[14:15], v[18:19] op_sel_hi:[0,1]
	v_pk_fma_f32 v[4:5], v[2:3], v[12:13], v[4:5] op_sel_hi:[1,0,1]
	v_pk_fma_f32 v[6:7], v[2:3], v[10:11], v[6:7] op_sel_hi:[1,0,1]
	global_store_dwordx4 v[20:21], v[4:7], off
                                        ; implicit-def: $vgpr6_vgpr7
                                        ; implicit-def: $vgpr12
                                        ; implicit-def: $vgpr16
                                        ; implicit-def: $vgpr10
                                        ; implicit-def: $vgpr14
	s_nop 1
	v_pk_mul_f32 v[4:5], v[8:9], v[18:19] op_sel_hi:[0,1]
	v_pk_fma_f32 v[0:1], v[2:3], v[0:1], v[4:5] op_sel_hi:[1,0,1]
	global_store_dwordx2 v[20:21], v[0:1], off offset:16
                                        ; implicit-def: $vgpr3
                                        ; implicit-def: $vgpr4
                                        ; implicit-def: $vgpr0
                                        ; implicit-def: $vgpr8
.LBB53_36:
	s_andn2_saveexec_b64 s[0:1], s[0:1]
	s_cbranch_execz .LBB53_14
; %bb.37:
	v_mad_u64_u32 v[22:23], s[0:1], v6, 24, s[2:3]
	v_mov_b32_e32 v6, v23
	v_mad_u64_u32 v[6:7], s[0:1], v7, 24, v[6:7]
	v_mov_b32_e32 v23, v6
	global_load_dwordx4 v[18:21], v[22:23], off
	global_load_dwordx2 v[6:7], v[22:23], off offset:16
	v_xor_b32_e32 v24, 0x80000000, v3
	v_mov_b32_e32 v25, v2
	v_pk_mul_f32 v[16:17], v[16:17], v[24:25] op_sel_hi:[0,1]
	v_pk_mul_f32 v[14:15], v[14:15], v[24:25] op_sel_hi:[0,1]
	;; [unrolled: 1-line block ×3, first 2 shown]
	v_pk_fma_f32 v[12:13], v[2:3], v[12:13], v[16:17] op_sel_hi:[1,0,1]
	v_pk_fma_f32 v[10:11], v[2:3], v[10:11], v[14:15] op_sel_hi:[1,0,1]
	v_xor_b32_e32 v26, 0x80000000, v5
	v_mov_b32_e32 v27, v4
	v_pk_fma_f32 v[0:1], v[2:3], v[0:1], v[8:9] op_sel_hi:[1,0,1]
	s_waitcnt vmcnt(1)
	v_pk_fma_f32 v[2:3], v[4:5], v[18:19], v[12:13] op_sel_hi:[1,0,1]
	v_pk_fma_f32 v[8:9], v[4:5], v[20:21], v[10:11] op_sel_hi:[1,0,1]
	v_mov_b32_e32 v10, v21
	s_waitcnt vmcnt(0)
	v_pk_fma_f32 v[4:5], v[4:5], v[6:7], v[0:1] op_sel_hi:[1,0,1]
	v_pk_fma_f32 v[0:1], v[26:27], v[18:19], v[2:3] op_sel:[0,1,0]
	v_pk_fma_f32 v[2:3], v[26:27], v[10:11], v[8:9] op_sel_hi:[1,0,1]
	v_pk_fma_f32 v[4:5], v[26:27], v[6:7], v[4:5] op_sel:[0,1,0]
	global_store_dwordx4 v[22:23], v[0:3], off
	global_store_dwordx2 v[22:23], v[4:5], off offset:16
	s_endpgm
	.section	.rodata,"a",@progbits
	.p2align	6, 0x0
	.amdhsa_kernel _ZN9rocsparseL18bsrxmvn_3x3_kernelILj256ELj32E21rocsparse_complex_numIfEllS2_S2_S2_EEvT3_20rocsparse_direction_NS_24const_host_device_scalarIT1_EES3_PKS3_PKT2_SC_S9_PKT4_PKT5_S7_PT6_21rocsparse_index_base_b
		.amdhsa_group_segment_fixed_size 0
		.amdhsa_private_segment_fixed_size 0
		.amdhsa_kernarg_size 104
		.amdhsa_user_sgpr_count 2
		.amdhsa_user_sgpr_dispatch_ptr 0
		.amdhsa_user_sgpr_queue_ptr 0
		.amdhsa_user_sgpr_kernarg_segment_ptr 1
		.amdhsa_user_sgpr_dispatch_id 0
		.amdhsa_user_sgpr_kernarg_preload_length 0
		.amdhsa_user_sgpr_kernarg_preload_offset 0
		.amdhsa_user_sgpr_private_segment_size 0
		.amdhsa_uses_dynamic_stack 0
		.amdhsa_enable_private_segment 0
		.amdhsa_system_sgpr_workgroup_id_x 1
		.amdhsa_system_sgpr_workgroup_id_y 0
		.amdhsa_system_sgpr_workgroup_id_z 0
		.amdhsa_system_sgpr_workgroup_info 0
		.amdhsa_system_vgpr_workitem_id 0
		.amdhsa_next_free_vgpr 60
		.amdhsa_next_free_sgpr 22
		.amdhsa_accum_offset 60
		.amdhsa_reserve_vcc 1
		.amdhsa_float_round_mode_32 0
		.amdhsa_float_round_mode_16_64 0
		.amdhsa_float_denorm_mode_32 3
		.amdhsa_float_denorm_mode_16_64 3
		.amdhsa_dx10_clamp 1
		.amdhsa_ieee_mode 1
		.amdhsa_fp16_overflow 0
		.amdhsa_tg_split 0
		.amdhsa_exception_fp_ieee_invalid_op 0
		.amdhsa_exception_fp_denorm_src 0
		.amdhsa_exception_fp_ieee_div_zero 0
		.amdhsa_exception_fp_ieee_overflow 0
		.amdhsa_exception_fp_ieee_underflow 0
		.amdhsa_exception_fp_ieee_inexact 0
		.amdhsa_exception_int_div_zero 0
	.end_amdhsa_kernel
	.section	.text._ZN9rocsparseL18bsrxmvn_3x3_kernelILj256ELj32E21rocsparse_complex_numIfEllS2_S2_S2_EEvT3_20rocsparse_direction_NS_24const_host_device_scalarIT1_EES3_PKS3_PKT2_SC_S9_PKT4_PKT5_S7_PT6_21rocsparse_index_base_b,"axG",@progbits,_ZN9rocsparseL18bsrxmvn_3x3_kernelILj256ELj32E21rocsparse_complex_numIfEllS2_S2_S2_EEvT3_20rocsparse_direction_NS_24const_host_device_scalarIT1_EES3_PKS3_PKT2_SC_S9_PKT4_PKT5_S7_PT6_21rocsparse_index_base_b,comdat
.Lfunc_end53:
	.size	_ZN9rocsparseL18bsrxmvn_3x3_kernelILj256ELj32E21rocsparse_complex_numIfEllS2_S2_S2_EEvT3_20rocsparse_direction_NS_24const_host_device_scalarIT1_EES3_PKS3_PKT2_SC_S9_PKT4_PKT5_S7_PT6_21rocsparse_index_base_b, .Lfunc_end53-_ZN9rocsparseL18bsrxmvn_3x3_kernelILj256ELj32E21rocsparse_complex_numIfEllS2_S2_S2_EEvT3_20rocsparse_direction_NS_24const_host_device_scalarIT1_EES3_PKS3_PKT2_SC_S9_PKT4_PKT5_S7_PT6_21rocsparse_index_base_b
                                        ; -- End function
	.section	.AMDGPU.csdata,"",@progbits
; Kernel info:
; codeLenInByte = 2308
; NumSgprs: 28
; NumVgprs: 60
; NumAgprs: 0
; TotalNumVgprs: 60
; ScratchSize: 0
; MemoryBound: 0
; FloatMode: 240
; IeeeMode: 1
; LDSByteSize: 0 bytes/workgroup (compile time only)
; SGPRBlocks: 3
; VGPRBlocks: 7
; NumSGPRsForWavesPerEU: 28
; NumVGPRsForWavesPerEU: 60
; AccumOffset: 60
; Occupancy: 8
; WaveLimiterHint : 1
; COMPUTE_PGM_RSRC2:SCRATCH_EN: 0
; COMPUTE_PGM_RSRC2:USER_SGPR: 2
; COMPUTE_PGM_RSRC2:TRAP_HANDLER: 0
; COMPUTE_PGM_RSRC2:TGID_X_EN: 1
; COMPUTE_PGM_RSRC2:TGID_Y_EN: 0
; COMPUTE_PGM_RSRC2:TGID_Z_EN: 0
; COMPUTE_PGM_RSRC2:TIDIG_COMP_CNT: 0
; COMPUTE_PGM_RSRC3_GFX90A:ACCUM_OFFSET: 14
; COMPUTE_PGM_RSRC3_GFX90A:TG_SPLIT: 0
	.section	.text._ZN9rocsparseL18bsrxmvn_3x3_kernelILj256ELj64E21rocsparse_complex_numIfEllS2_S2_S2_EEvT3_20rocsparse_direction_NS_24const_host_device_scalarIT1_EES3_PKS3_PKT2_SC_S9_PKT4_PKT5_S7_PT6_21rocsparse_index_base_b,"axG",@progbits,_ZN9rocsparseL18bsrxmvn_3x3_kernelILj256ELj64E21rocsparse_complex_numIfEllS2_S2_S2_EEvT3_20rocsparse_direction_NS_24const_host_device_scalarIT1_EES3_PKS3_PKT2_SC_S9_PKT4_PKT5_S7_PT6_21rocsparse_index_base_b,comdat
	.globl	_ZN9rocsparseL18bsrxmvn_3x3_kernelILj256ELj64E21rocsparse_complex_numIfEllS2_S2_S2_EEvT3_20rocsparse_direction_NS_24const_host_device_scalarIT1_EES3_PKS3_PKT2_SC_S9_PKT4_PKT5_S7_PT6_21rocsparse_index_base_b ; -- Begin function _ZN9rocsparseL18bsrxmvn_3x3_kernelILj256ELj64E21rocsparse_complex_numIfEllS2_S2_S2_EEvT3_20rocsparse_direction_NS_24const_host_device_scalarIT1_EES3_PKS3_PKT2_SC_S9_PKT4_PKT5_S7_PT6_21rocsparse_index_base_b
	.p2align	8
	.type	_ZN9rocsparseL18bsrxmvn_3x3_kernelILj256ELj64E21rocsparse_complex_numIfEllS2_S2_S2_EEvT3_20rocsparse_direction_NS_24const_host_device_scalarIT1_EES3_PKS3_PKT2_SC_S9_PKT4_PKT5_S7_PT6_21rocsparse_index_base_b,@function
_ZN9rocsparseL18bsrxmvn_3x3_kernelILj256ELj64E21rocsparse_complex_numIfEllS2_S2_S2_EEvT3_20rocsparse_direction_NS_24const_host_device_scalarIT1_EES3_PKS3_PKT2_SC_S9_PKT4_PKT5_S7_PT6_21rocsparse_index_base_b: ; @_ZN9rocsparseL18bsrxmvn_3x3_kernelILj256ELj64E21rocsparse_complex_numIfEllS2_S2_S2_EEvT3_20rocsparse_direction_NS_24const_host_device_scalarIT1_EES3_PKS3_PKT2_SC_S9_PKT4_PKT5_S7_PT6_21rocsparse_index_base_b
; %bb.0:
	s_load_dwordx2 s[12:13], s[0:1], 0x60
	s_load_dwordx4 s[8:11], s[0:1], 0x10
	s_load_dwordx2 s[6:7], s[0:1], 0x50
	s_waitcnt lgkmcnt(0)
	s_bitcmp1_b32 s13, 0
	s_cselect_b64 s[4:5], -1, 0
	s_xor_b64 s[14:15], s[4:5], -1
	s_and_b64 vcc, exec, s[4:5]
	v_mov_b32_e32 v2, s8
	s_cbranch_vccnz .LBB54_2
; %bb.1:
	v_mov_b64_e32 v[2:3], s[8:9]
	flat_load_dword v2, v[2:3]
.LBB54_2:
	v_cndmask_b32_e64 v1, 0, 1, s[14:15]
	v_cmp_ne_u32_e64 s[4:5], 1, v1
	s_andn2_b64 vcc, exec, s[14:15]
	v_mov_b32_e32 v3, s9
	s_cbranch_vccz .LBB54_15
; %bb.3:
	s_and_b64 vcc, exec, s[4:5]
	v_mov_b32_e32 v4, s6
	s_cbranch_vccz .LBB54_16
.LBB54_4:
	s_and_b64 vcc, exec, s[4:5]
	v_mov_b32_e32 v5, s7
	s_cbranch_vccnz .LBB54_6
.LBB54_5:
	v_mov_b64_e32 v[6:7], s[6:7]
	flat_load_dword v5, v[6:7] offset:4
.LBB54_6:
	s_waitcnt vmcnt(0) lgkmcnt(0)
	v_and_b32_e32 v1, 0x7fffffff, v2
	v_cmp_eq_u32_e32 vcc, 0, v1
	v_cmp_eq_f32_e64 s[4:5], 0, v3
	s_and_b64 s[8:9], vcc, s[4:5]
	s_mov_b64 s[4:5], -1
	s_and_saveexec_b64 s[6:7], s[8:9]
; %bb.7:
	v_and_b32_e32 v1, 0x7fffffff, v5
	v_cmp_neq_f32_e32 vcc, 1.0, v4
	v_cmp_ne_u32_e64 s[4:5], 0, v1
	s_or_b64 s[4:5], vcc, s[4:5]
	s_orn2_b64 s[4:5], s[4:5], exec
; %bb.8:
	s_or_b64 exec, exec, s[6:7]
	s_and_saveexec_b64 s[6:7], s[4:5]
	s_cbranch_execz .LBB54_14
; %bb.9:
	s_load_dwordx2 s[4:5], s[0:1], 0x20
	v_lshrrev_b32_e32 v1, 6, v0
	v_lshl_or_b32 v8, s2, 2, v1
	v_mov_b32_e32 v9, 0
	s_mov_b64 s[2:3], 0
	s_waitcnt lgkmcnt(0)
	s_cmp_lg_u64 s[4:5], 0
	s_cbranch_scc0 .LBB54_17
; %bb.10:
	v_cmp_gt_i64_e32 vcc, s[10:11], v[8:9]
                                        ; implicit-def: $vgpr6_vgpr7
	s_and_saveexec_b64 s[6:7], vcc
	s_xor_b64 s[6:7], exec, s[6:7]
                                        ; implicit-def: $sgpr14_sgpr15
	s_cbranch_execz .LBB54_12
; %bb.11:
	v_lshl_add_u64 v[6:7], v[8:9], 3, s[4:5]
	global_load_dwordx2 v[6:7], v[6:7], off
	s_mov_b64 s[2:3], exec
	s_mov_b32 s15, 0
	s_waitcnt vmcnt(0)
	v_subrev_co_u32_e32 v6, vcc, s12, v6
	s_nop 1
	v_subbrev_co_u32_e32 v7, vcc, 0, v7, vcc
.LBB54_12:
	s_or_b64 exec, exec, s[6:7]
.LBB54_13:
	s_and_b64 exec, exec, s[2:3]
	s_cbranch_execnz .LBB54_21
.LBB54_14:
	s_endpgm
.LBB54_15:
	v_mov_b64_e32 v[4:5], s[8:9]
	flat_load_dword v3, v[4:5] offset:4
	s_and_b64 vcc, exec, s[4:5]
	v_mov_b32_e32 v4, s6
	s_cbranch_vccnz .LBB54_4
.LBB54_16:
	v_mov_b64_e32 v[4:5], s[6:7]
	flat_load_dword v4, v[4:5]
	s_and_b64 vcc, exec, s[4:5]
	v_mov_b32_e32 v5, s7
	s_cbranch_vccz .LBB54_5
	s_branch .LBB54_6
.LBB54_17:
                                        ; implicit-def: $vgpr6_vgpr7
                                        ; implicit-def: $sgpr14_sgpr15
	s_cbranch_execz .LBB54_13
; %bb.18:
	s_load_dwordx2 s[4:5], s[0:1], 0x0
                                        ; implicit-def: $vgpr6_vgpr7
	s_waitcnt lgkmcnt(0)
	v_cmp_gt_i64_e32 vcc, s[4:5], v[8:9]
	s_and_saveexec_b64 s[4:5], vcc
                                        ; implicit-def: $sgpr14_sgpr15
; %bb.19:
	s_mov_b32 s15, 0
	s_or_b64 s[2:3], s[2:3], exec
	v_mov_b64_e32 v[6:7], v[8:9]
; %bb.20:
	s_or_b64 exec, exec, s[4:5]
	s_and_b64 exec, exec, s[2:3]
	s_cbranch_execz .LBB54_14
.LBB54_21:
	s_load_dwordx8 s[4:11], s[0:1], 0x28
	v_lshlrev_b64 v[8:9], 3, v[6:7]
	s_load_dword s2, s[0:1], 0x8
	v_mov_b32_e32 v15, s15
	v_and_b32_e32 v0, 63, v0
	s_waitcnt lgkmcnt(0)
	v_lshl_add_u64 v[10:11], s[4:5], 0, v[8:9]
	global_load_dwordx2 v[12:13], v[10:11], off
	s_cmp_eq_u64 s[6:7], 0
	v_lshl_add_u64 v[8:9], s[6:7], 0, v[8:9]
	v_lshl_add_u64 v[10:11], v[10:11], 0, 8
	s_cselect_b64 vcc, -1, 0
	v_cndmask_b32_e32 v9, v9, v11, vcc
	v_cndmask_b32_e32 v8, v8, v10, vcc
	global_load_dwordx2 v[8:9], v[8:9], off
	v_mov_b32_e32 v1, 0
	s_load_dwordx2 s[4:5], s[0:1], 0x48
	s_movk_i32 s6, 0x48
	v_mov_b64_e32 v[10:11], s[10:11]
	s_cmp_eq_u32 s2, 1
	s_waitcnt vmcnt(1)
	v_subrev_co_u32_e32 v12, vcc, s12, v12
	s_nop 1
	v_subb_co_u32_e32 v13, vcc, v13, v15, vcc
	v_lshl_add_u64 v[12:13], v[12:13], 0, v[0:1]
	v_mad_u64_u32 v[16:17], s[2:3], v12, s6, v[10:11]
	s_waitcnt vmcnt(0)
	v_subrev_co_u32_e32 v14, vcc, s12, v8
	v_mov_b32_e32 v8, v17
	s_nop 0
	v_subb_co_u32_e32 v15, vcc, v9, v15, vcc
	v_mad_u64_u32 v[8:9], s[2:3], v13, s6, v[8:9]
	v_mov_b32_e32 v17, v8
	v_cmp_lt_i64_e64 s[2:3], v[12:13], v[14:15]
	s_cbranch_scc1 .LBB54_27
; %bb.22:
	v_mov_b32_e32 v18, v1
	v_mov_b32_e32 v9, v1
	;; [unrolled: 1-line block ×5, first 2 shown]
	s_and_saveexec_b64 s[6:7], s[2:3]
	s_cbranch_execz .LBB54_26
; %bb.23:
	v_mov_b32_e32 v10, 0
	v_lshl_add_u64 v[20:21], v[12:13], 3, s[8:9]
	s_mov_b64 s[10:11], 0
	v_mov_b32_e32 v1, s15
	s_mov_b64 s[16:17], 0x200
	s_mov_b64 s[18:19], 0x1200
	v_mov_b64_e32 v[22:23], v[12:13]
	v_mov_b64_e32 v[24:25], v[16:17]
	v_mov_b32_e32 v11, v10
	v_mov_b32_e32 v8, v10
	;; [unrolled: 1-line block ×5, first 2 shown]
.LBB54_24:                              ; =>This Inner Loop Header: Depth=1
	global_load_dwordx2 v[38:39], v[20:21], off
	global_load_dwordx4 v[26:29], v[24:25], off offset:48
	global_load_dwordx4 v[30:33], v[24:25], off offset:16
	global_load_dwordx4 v[34:37], v[24:25], off
	v_lshl_add_u64 v[22:23], v[22:23], 0, 64
	v_lshl_add_u64 v[20:21], v[20:21], 0, s[16:17]
	s_waitcnt vmcnt(3)
	v_subrev_co_u32_e32 v38, vcc, s12, v38
	s_waitcnt lgkmcnt(0)
	v_mad_u64_u32 v[46:47], s[20:21], v38, 24, s[4:5]
	v_subb_co_u32_e32 v39, vcc, v39, v1, vcc
	v_mov_b32_e32 v38, v47
	v_mad_u64_u32 v[38:39], s[20:21], v39, 24, v[38:39]
	v_mov_b32_e32 v47, v38
	global_load_dwordx2 v[48:49], v[46:47], off offset:16
	global_load_dwordx4 v[38:41], v[46:47], off
	global_load_dwordx4 v[42:45], v[24:25], off offset:32
	global_load_dwordx2 v[50:51], v[24:25], off offset:64
	s_waitcnt vmcnt(5)
	v_xor_b32_e32 v52, 0x80000000, v33
	v_mov_b32_e32 v53, v32
	s_waitcnt vmcnt(4)
	v_xor_b32_e32 v46, 0x80000000, v37
	v_mov_b32_e32 v47, v36
	v_xor_b32_e32 v56, 0x80000000, v29
	v_mov_b32_e32 v57, v28
	v_cmp_ge_i64_e32 vcc, v[22:23], v[14:15]
	v_lshl_add_u64 v[24:25], v[24:25], 0, s[18:19]
	s_or_b64 s[10:11], vcc, s[10:11]
	s_waitcnt vmcnt(2)
	v_pk_fma_f32 v[18:19], v[34:35], v[38:39], v[18:19] op_sel_hi:[1,0,1]
	v_pk_fma_f32 v[10:11], v[32:33], v[38:39], v[10:11] op_sel_hi:[1,0,1]
	;; [unrolled: 1-line block ×3, first 2 shown]
	v_pk_fma_f32 v[18:19], v[34:35], v[38:39], v[18:19] op_sel:[1,1,0] op_sel_hi:[0,1,1] neg_lo:[1,0,0]
	v_pk_fma_f32 v[10:11], v[52:53], v[38:39], v[10:11] op_sel:[0,1,0]
	v_pk_fma_f32 v[8:9], v[26:27], v[38:39], v[8:9] op_sel:[1,1,0] op_sel_hi:[0,1,1] neg_lo:[1,0,0]
	v_mov_b32_e32 v58, v41
	v_pk_fma_f32 v[18:19], v[36:37], v[40:41], v[18:19] op_sel_hi:[1,0,1]
	s_waitcnt vmcnt(1)
	v_pk_fma_f32 v[10:11], v[42:43], v[40:41], v[10:11] op_sel_hi:[1,0,1]
	v_pk_fma_f32 v[8:9], v[28:29], v[40:41], v[8:9] op_sel_hi:[1,0,1]
	;; [unrolled: 1-line block ×3, first 2 shown]
	v_pk_fma_f32 v[10:11], v[42:43], v[58:59], v[10:11] op_sel:[1,0,0] op_sel_hi:[0,0,1] neg_lo:[1,0,0]
	v_pk_fma_f32 v[8:9], v[56:57], v[58:59], v[8:9] op_sel_hi:[1,0,1]
	v_xor_b32_e32 v54, 0x80000000, v45
	v_mov_b32_e32 v55, v44
	v_pk_fma_f32 v[18:19], v[30:31], v[48:49], v[18:19] op_sel_hi:[1,0,1]
	v_pk_fma_f32 v[10:11], v[44:45], v[48:49], v[10:11] op_sel_hi:[1,0,1]
	s_waitcnt vmcnt(0)
	v_pk_fma_f32 v[8:9], v[50:51], v[48:49], v[8:9] op_sel_hi:[1,0,1]
	v_pk_fma_f32 v[18:19], v[30:31], v[48:49], v[18:19] op_sel:[1,1,0] op_sel_hi:[0,1,1] neg_lo:[1,0,0]
	v_pk_fma_f32 v[10:11], v[54:55], v[48:49], v[10:11] op_sel:[0,1,0]
	v_pk_fma_f32 v[8:9], v[50:51], v[48:49], v[8:9] op_sel:[1,1,0] op_sel_hi:[0,1,1] neg_lo:[1,0,0]
	s_andn2_b64 exec, exec, s[10:11]
	s_cbranch_execnz .LBB54_24
; %bb.25:
	s_or_b64 exec, exec, s[10:11]
	v_mov_b32_e32 v1, v19
.LBB54_26:
	s_or_b64 exec, exec, s[6:7]
	v_mov_b32_e32 v19, v1
	s_cbranch_execz .LBB54_28
	s_branch .LBB54_33
.LBB54_27:
                                        ; implicit-def: $vgpr19
                                        ; implicit-def: $vgpr9
                                        ; implicit-def: $vgpr11
.LBB54_28:
	v_mov_b32_e32 v19, 0
	v_mov_b32_e32 v18, v19
	;; [unrolled: 1-line block ×6, first 2 shown]
	s_and_saveexec_b64 s[6:7], s[2:3]
	s_cbranch_execz .LBB54_32
; %bb.29:
	v_mov_b32_e32 v10, 0
	v_lshl_add_u64 v[20:21], v[12:13], 3, s[8:9]
	s_mov_b64 s[2:3], 0
	v_mov_b32_e32 v1, s15
	s_mov_b64 s[8:9], 0x200
	s_mov_b64 s[10:11], 0x1200
	v_mov_b32_e32 v11, v10
	v_mov_b32_e32 v8, v10
	;; [unrolled: 1-line block ×5, first 2 shown]
.LBB54_30:                              ; =>This Inner Loop Header: Depth=1
	global_load_dwordx2 v[34:35], v[20:21], off
	global_load_dwordx4 v[22:25], v[16:17], off offset:48
	global_load_dwordx4 v[26:29], v[16:17], off offset:16
	global_load_dwordx4 v[30:33], v[16:17], off
	v_lshl_add_u64 v[12:13], v[12:13], 0, 64
	v_lshl_add_u64 v[20:21], v[20:21], 0, s[8:9]
	s_waitcnt vmcnt(3)
	v_subrev_co_u32_e32 v34, vcc, s12, v34
	s_waitcnt lgkmcnt(0)
	v_mad_u64_u32 v[42:43], s[14:15], v34, 24, s[4:5]
	v_subb_co_u32_e32 v35, vcc, v35, v1, vcc
	v_mov_b32_e32 v34, v43
	v_mad_u64_u32 v[34:35], s[14:15], v35, 24, v[34:35]
	v_mov_b32_e32 v43, v34
	global_load_dwordx2 v[44:45], v[42:43], off offset:16
	global_load_dwordx4 v[34:37], v[42:43], off
	global_load_dwordx4 v[38:41], v[16:17], off offset:32
	global_load_dwordx2 v[46:47], v[16:17], off offset:64
	s_waitcnt vmcnt(4)
	v_xor_b32_e32 v48, 0x80000000, v33
	v_mov_b32_e32 v49, v32
	v_xor_b32_e32 v42, 0x80000000, v29
	v_mov_b32_e32 v43, v28
	v_cmp_ge_i64_e32 vcc, v[12:13], v[14:15]
	v_xor_b32_e32 v50, 0x80000000, v25
	v_mov_b32_e32 v51, v24
	v_lshl_add_u64 v[16:17], v[16:17], 0, s[10:11]
	s_or_b64 s[2:3], vcc, s[2:3]
	s_waitcnt vmcnt(2)
	v_pk_fma_f32 v[18:19], v[30:31], v[34:35], v[18:19] op_sel_hi:[1,0,1]
	v_pk_fma_f32 v[10:11], v[32:33], v[34:35], v[10:11] op_sel_hi:[1,0,1]
	;; [unrolled: 1-line block ×3, first 2 shown]
	v_pk_fma_f32 v[18:19], v[30:31], v[34:35], v[18:19] op_sel:[1,1,0] op_sel_hi:[0,1,1] neg_lo:[1,0,0]
	v_pk_fma_f32 v[10:11], v[48:49], v[34:35], v[10:11] op_sel:[0,1,0]
	v_pk_fma_f32 v[8:9], v[26:27], v[34:35], v[8:9] op_sel:[1,1,0] op_sel_hi:[0,1,1] neg_lo:[1,0,0]
	s_waitcnt vmcnt(1)
	v_xor_b32_e32 v52, 0x80000000, v41
	v_mov_b32_e32 v53, v40
	v_mov_b32_e32 v54, v37
	v_pk_fma_f32 v[18:19], v[28:29], v[36:37], v[18:19] op_sel_hi:[1,0,1]
	v_pk_fma_f32 v[10:11], v[38:39], v[36:37], v[10:11] op_sel_hi:[1,0,1]
	;; [unrolled: 1-line block ×4, first 2 shown]
	v_pk_fma_f32 v[10:11], v[38:39], v[54:55], v[10:11] op_sel:[1,0,0] op_sel_hi:[0,0,1] neg_lo:[1,0,0]
	v_pk_fma_f32 v[8:9], v[52:53], v[54:55], v[8:9] op_sel_hi:[1,0,1]
	v_pk_fma_f32 v[18:19], v[22:23], v[44:45], v[18:19] op_sel_hi:[1,0,1]
	;; [unrolled: 1-line block ×3, first 2 shown]
	s_waitcnt vmcnt(0)
	v_pk_fma_f32 v[8:9], v[46:47], v[44:45], v[8:9] op_sel_hi:[1,0,1]
	v_pk_fma_f32 v[18:19], v[22:23], v[44:45], v[18:19] op_sel:[1,1,0] op_sel_hi:[0,1,1] neg_lo:[1,0,0]
	v_pk_fma_f32 v[10:11], v[50:51], v[44:45], v[10:11] op_sel:[0,1,0]
	v_pk_fma_f32 v[8:9], v[46:47], v[44:45], v[8:9] op_sel:[1,1,0] op_sel_hi:[0,1,1] neg_lo:[1,0,0]
	s_andn2_b64 exec, exec, s[2:3]
	s_cbranch_execnz .LBB54_30
; %bb.31:
	s_or_b64 exec, exec, s[2:3]
.LBB54_32:
	s_or_b64 exec, exec, s[6:7]
.LBB54_33:
	v_mov_b32_dpp v16, v11 row_shr:1 row_mask:0xf bank_mask:0xf
	v_add_f32_e32 v11, v11, v16
	v_mov_b32_dpp v1, v18 row_shr:1 row_mask:0xf bank_mask:0xf
	v_mov_b32_dpp v13, v19 row_shr:1 row_mask:0xf bank_mask:0xf
	;; [unrolled: 1-line block ×3, first 2 shown]
	v_add_f32_e32 v11, v11, v16
	v_mov_b32_dpp v15, v10 row_shr:1 row_mask:0xf bank_mask:0xf
	v_add_f32_e32 v1, v18, v1
	v_mov_b32_dpp v16, v11 row_shr:4 row_mask:0xf bank_mask:0xe
	v_add_f32_e32 v11, v11, v16
	v_add_f32_e32 v13, v19, v13
	v_add_f32_e32 v10, v10, v15
	v_mov_b32_dpp v16, v11 row_shr:8 row_mask:0xf bank_mask:0xc
	v_add_f32_e32 v11, v11, v16
	v_mov_b32_dpp v12, v1 row_shr:2 row_mask:0xf bank_mask:0xf
	v_mov_b32_dpp v14, v13 row_shr:2 row_mask:0xf bank_mask:0xf
	v_mov_b32_dpp v16, v11 row_bcast:15 row_mask:0xa bank_mask:0xf
	v_add_f32_e32 v11, v11, v16
	v_mov_b32_dpp v15, v10 row_shr:2 row_mask:0xf bank_mask:0xf
	v_mov_b32_dpp v16, v8 row_shr:1 row_mask:0xf bank_mask:0xf
	v_add_f32_e32 v8, v8, v16
	v_add_f32_e32 v1, v1, v12
	;; [unrolled: 1-line block ×3, first 2 shown]
	v_mov_b32_dpp v16, v8 row_shr:2 row_mask:0xf bank_mask:0xf
	v_add_f32_e32 v8, v8, v16
	v_add_f32_e32 v10, v10, v15
	v_mov_b32_dpp v12, v1 row_shr:4 row_mask:0xf bank_mask:0xe
	v_mov_b32_dpp v16, v8 row_shr:4 row_mask:0xf bank_mask:0xe
	v_add_f32_e32 v8, v8, v16
	v_mov_b32_dpp v14, v13 row_shr:4 row_mask:0xf bank_mask:0xe
	v_mov_b32_dpp v15, v10 row_shr:4 row_mask:0xf bank_mask:0xe
	;; [unrolled: 1-line block ×3, first 2 shown]
	v_add_f32_e32 v8, v8, v16
	v_add_f32_e32 v1, v1, v12
	;; [unrolled: 1-line block ×3, first 2 shown]
	v_mov_b32_dpp v16, v8 row_bcast:15 row_mask:0xa bank_mask:0xf
	v_add_f32_e32 v8, v8, v16
	v_add_f32_e32 v10, v10, v15
	v_mov_b32_dpp v16, v9 row_shr:1 row_mask:0xf bank_mask:0xf
	v_add_f32_e32 v9, v9, v16
	v_mov_b32_dpp v12, v1 row_shr:8 row_mask:0xf bank_mask:0xc
	v_mov_b32_dpp v14, v13 row_shr:8 row_mask:0xf bank_mask:0xc
	;; [unrolled: 1-line block ×3, first 2 shown]
	v_add_f32_e32 v9, v9, v16
	v_mov_b32_dpp v15, v10 row_shr:8 row_mask:0xf bank_mask:0xc
	v_add_f32_e32 v1, v1, v12
	v_mov_b32_dpp v16, v9 row_shr:4 row_mask:0xf bank_mask:0xe
	v_add_f32_e32 v9, v9, v16
	v_add_f32_e32 v13, v13, v14
	;; [unrolled: 1-line block ×3, first 2 shown]
	v_mov_b32_dpp v16, v9 row_shr:8 row_mask:0xf bank_mask:0xc
	v_add_f32_e32 v9, v9, v16
	v_mov_b32_dpp v12, v1 row_bcast:15 row_mask:0xa bank_mask:0xf
	v_mov_b32_dpp v14, v13 row_bcast:15 row_mask:0xa bank_mask:0xf
	;; [unrolled: 1-line block ×4, first 2 shown]
	v_add_f32_e32 v1, v1, v12
	v_add_f32_e32 v13, v13, v14
	;; [unrolled: 1-line block ×4, first 2 shown]
	v_mov_b32_dpp v12, v1 row_bcast:31 row_mask:0xc bank_mask:0xf
	v_mov_b32_dpp v14, v13 row_bcast:31 row_mask:0xc bank_mask:0xf
	v_mov_b32_dpp v15, v10 row_bcast:31 row_mask:0xc bank_mask:0xf
	v_mov_b32_dpp v17, v11 row_bcast:31 row_mask:0xc bank_mask:0xf
	v_mov_b32_dpp v18, v8 row_bcast:31 row_mask:0xc bank_mask:0xf
	v_mov_b32_dpp v19, v9 row_bcast:31 row_mask:0xc bank_mask:0xf
	v_cmp_eq_u32_e32 vcc, 63, v0
	s_and_b64 exec, exec, vcc
	s_cbranch_execz .LBB54_14
; %bb.34:
	s_load_dwordx2 s[2:3], s[0:1], 0x58
	v_add_f32_e32 v12, v1, v12
	v_and_b32_e32 v1, 0x7fffffff, v4
	v_cmp_eq_u32_e32 vcc, 0, v1
	v_cmp_eq_f32_e64 s[0:1], 0, v5
	v_add_f32_e32 v16, v13, v14
	v_add_f32_e32 v10, v10, v15
	;; [unrolled: 1-line block ×5, first 2 shown]
	s_and_b64 s[0:1], vcc, s[0:1]
	s_waitcnt lgkmcnt(0)
	s_and_saveexec_b64 s[4:5], s[0:1]
	s_xor_b64 s[0:1], exec, s[4:5]
	s_cbranch_execz .LBB54_36
; %bb.35:
	v_mad_u64_u32 v[20:21], s[4:5], v6, 24, s[2:3]
	v_mov_b32_e32 v4, v21
	v_xor_b32_e32 v18, 0x80000000, v3
	v_mad_u64_u32 v[4:5], s[4:5], v7, 24, v[4:5]
	v_mov_b32_e32 v19, v2
	v_mov_b32_e32 v21, v4
	v_pk_mul_f32 v[4:5], v[16:17], v[18:19] op_sel_hi:[0,1]
	v_pk_mul_f32 v[6:7], v[14:15], v[18:19] op_sel_hi:[0,1]
	v_pk_fma_f32 v[4:5], v[2:3], v[12:13], v[4:5] op_sel_hi:[1,0,1]
	v_pk_fma_f32 v[6:7], v[2:3], v[10:11], v[6:7] op_sel_hi:[1,0,1]
	global_store_dwordx4 v[20:21], v[4:7], off
                                        ; implicit-def: $vgpr6_vgpr7
                                        ; implicit-def: $vgpr12
                                        ; implicit-def: $vgpr16
                                        ; implicit-def: $vgpr10
                                        ; implicit-def: $vgpr14
	s_nop 1
	v_pk_mul_f32 v[4:5], v[8:9], v[18:19] op_sel_hi:[0,1]
	v_pk_fma_f32 v[0:1], v[2:3], v[0:1], v[4:5] op_sel_hi:[1,0,1]
	global_store_dwordx2 v[20:21], v[0:1], off offset:16
                                        ; implicit-def: $vgpr3
                                        ; implicit-def: $vgpr4
                                        ; implicit-def: $vgpr0
                                        ; implicit-def: $vgpr8
.LBB54_36:
	s_andn2_saveexec_b64 s[0:1], s[0:1]
	s_cbranch_execz .LBB54_14
; %bb.37:
	v_mad_u64_u32 v[22:23], s[0:1], v6, 24, s[2:3]
	v_mov_b32_e32 v6, v23
	v_mad_u64_u32 v[6:7], s[0:1], v7, 24, v[6:7]
	v_mov_b32_e32 v23, v6
	global_load_dwordx4 v[18:21], v[22:23], off
	global_load_dwordx2 v[6:7], v[22:23], off offset:16
	v_xor_b32_e32 v24, 0x80000000, v3
	v_mov_b32_e32 v25, v2
	v_pk_mul_f32 v[16:17], v[16:17], v[24:25] op_sel_hi:[0,1]
	v_pk_mul_f32 v[14:15], v[14:15], v[24:25] op_sel_hi:[0,1]
	;; [unrolled: 1-line block ×3, first 2 shown]
	v_pk_fma_f32 v[12:13], v[2:3], v[12:13], v[16:17] op_sel_hi:[1,0,1]
	v_pk_fma_f32 v[10:11], v[2:3], v[10:11], v[14:15] op_sel_hi:[1,0,1]
	v_xor_b32_e32 v26, 0x80000000, v5
	v_mov_b32_e32 v27, v4
	v_pk_fma_f32 v[0:1], v[2:3], v[0:1], v[8:9] op_sel_hi:[1,0,1]
	s_waitcnt vmcnt(1)
	v_pk_fma_f32 v[2:3], v[4:5], v[18:19], v[12:13] op_sel_hi:[1,0,1]
	v_pk_fma_f32 v[8:9], v[4:5], v[20:21], v[10:11] op_sel_hi:[1,0,1]
	v_mov_b32_e32 v10, v21
	s_waitcnt vmcnt(0)
	v_pk_fma_f32 v[4:5], v[4:5], v[6:7], v[0:1] op_sel_hi:[1,0,1]
	v_pk_fma_f32 v[0:1], v[26:27], v[18:19], v[2:3] op_sel:[0,1,0]
	v_pk_fma_f32 v[2:3], v[26:27], v[10:11], v[8:9] op_sel_hi:[1,0,1]
	v_pk_fma_f32 v[4:5], v[26:27], v[6:7], v[4:5] op_sel:[0,1,0]
	global_store_dwordx4 v[22:23], v[0:3], off
	global_store_dwordx2 v[22:23], v[4:5], off offset:16
	s_endpgm
	.section	.rodata,"a",@progbits
	.p2align	6, 0x0
	.amdhsa_kernel _ZN9rocsparseL18bsrxmvn_3x3_kernelILj256ELj64E21rocsparse_complex_numIfEllS2_S2_S2_EEvT3_20rocsparse_direction_NS_24const_host_device_scalarIT1_EES3_PKS3_PKT2_SC_S9_PKT4_PKT5_S7_PT6_21rocsparse_index_base_b
		.amdhsa_group_segment_fixed_size 0
		.amdhsa_private_segment_fixed_size 0
		.amdhsa_kernarg_size 104
		.amdhsa_user_sgpr_count 2
		.amdhsa_user_sgpr_dispatch_ptr 0
		.amdhsa_user_sgpr_queue_ptr 0
		.amdhsa_user_sgpr_kernarg_segment_ptr 1
		.amdhsa_user_sgpr_dispatch_id 0
		.amdhsa_user_sgpr_kernarg_preload_length 0
		.amdhsa_user_sgpr_kernarg_preload_offset 0
		.amdhsa_user_sgpr_private_segment_size 0
		.amdhsa_uses_dynamic_stack 0
		.amdhsa_enable_private_segment 0
		.amdhsa_system_sgpr_workgroup_id_x 1
		.amdhsa_system_sgpr_workgroup_id_y 0
		.amdhsa_system_sgpr_workgroup_id_z 0
		.amdhsa_system_sgpr_workgroup_info 0
		.amdhsa_system_vgpr_workitem_id 0
		.amdhsa_next_free_vgpr 60
		.amdhsa_next_free_sgpr 22
		.amdhsa_accum_offset 60
		.amdhsa_reserve_vcc 1
		.amdhsa_float_round_mode_32 0
		.amdhsa_float_round_mode_16_64 0
		.amdhsa_float_denorm_mode_32 3
		.amdhsa_float_denorm_mode_16_64 3
		.amdhsa_dx10_clamp 1
		.amdhsa_ieee_mode 1
		.amdhsa_fp16_overflow 0
		.amdhsa_tg_split 0
		.amdhsa_exception_fp_ieee_invalid_op 0
		.amdhsa_exception_fp_denorm_src 0
		.amdhsa_exception_fp_ieee_div_zero 0
		.amdhsa_exception_fp_ieee_overflow 0
		.amdhsa_exception_fp_ieee_underflow 0
		.amdhsa_exception_fp_ieee_inexact 0
		.amdhsa_exception_int_div_zero 0
	.end_amdhsa_kernel
	.section	.text._ZN9rocsparseL18bsrxmvn_3x3_kernelILj256ELj64E21rocsparse_complex_numIfEllS2_S2_S2_EEvT3_20rocsparse_direction_NS_24const_host_device_scalarIT1_EES3_PKS3_PKT2_SC_S9_PKT4_PKT5_S7_PT6_21rocsparse_index_base_b,"axG",@progbits,_ZN9rocsparseL18bsrxmvn_3x3_kernelILj256ELj64E21rocsparse_complex_numIfEllS2_S2_S2_EEvT3_20rocsparse_direction_NS_24const_host_device_scalarIT1_EES3_PKS3_PKT2_SC_S9_PKT4_PKT5_S7_PT6_21rocsparse_index_base_b,comdat
.Lfunc_end54:
	.size	_ZN9rocsparseL18bsrxmvn_3x3_kernelILj256ELj64E21rocsparse_complex_numIfEllS2_S2_S2_EEvT3_20rocsparse_direction_NS_24const_host_device_scalarIT1_EES3_PKS3_PKT2_SC_S9_PKT4_PKT5_S7_PT6_21rocsparse_index_base_b, .Lfunc_end54-_ZN9rocsparseL18bsrxmvn_3x3_kernelILj256ELj64E21rocsparse_complex_numIfEllS2_S2_S2_EEvT3_20rocsparse_direction_NS_24const_host_device_scalarIT1_EES3_PKS3_PKT2_SC_S9_PKT4_PKT5_S7_PT6_21rocsparse_index_base_b
                                        ; -- End function
	.section	.AMDGPU.csdata,"",@progbits
; Kernel info:
; codeLenInByte = 2332
; NumSgprs: 28
; NumVgprs: 60
; NumAgprs: 0
; TotalNumVgprs: 60
; ScratchSize: 0
; MemoryBound: 0
; FloatMode: 240
; IeeeMode: 1
; LDSByteSize: 0 bytes/workgroup (compile time only)
; SGPRBlocks: 3
; VGPRBlocks: 7
; NumSGPRsForWavesPerEU: 28
; NumVGPRsForWavesPerEU: 60
; AccumOffset: 60
; Occupancy: 8
; WaveLimiterHint : 1
; COMPUTE_PGM_RSRC2:SCRATCH_EN: 0
; COMPUTE_PGM_RSRC2:USER_SGPR: 2
; COMPUTE_PGM_RSRC2:TRAP_HANDLER: 0
; COMPUTE_PGM_RSRC2:TGID_X_EN: 1
; COMPUTE_PGM_RSRC2:TGID_Y_EN: 0
; COMPUTE_PGM_RSRC2:TGID_Z_EN: 0
; COMPUTE_PGM_RSRC2:TIDIG_COMP_CNT: 0
; COMPUTE_PGM_RSRC3_GFX90A:ACCUM_OFFSET: 14
; COMPUTE_PGM_RSRC3_GFX90A:TG_SPLIT: 0
	.section	.text._ZN9rocsparseL18bsrxmvn_3x3_kernelILj256ELj4E21rocsparse_complex_numIdEllS2_S2_S2_EEvT3_20rocsparse_direction_NS_24const_host_device_scalarIT1_EES3_PKS3_PKT2_SC_S9_PKT4_PKT5_S7_PT6_21rocsparse_index_base_b,"axG",@progbits,_ZN9rocsparseL18bsrxmvn_3x3_kernelILj256ELj4E21rocsparse_complex_numIdEllS2_S2_S2_EEvT3_20rocsparse_direction_NS_24const_host_device_scalarIT1_EES3_PKS3_PKT2_SC_S9_PKT4_PKT5_S7_PT6_21rocsparse_index_base_b,comdat
	.globl	_ZN9rocsparseL18bsrxmvn_3x3_kernelILj256ELj4E21rocsparse_complex_numIdEllS2_S2_S2_EEvT3_20rocsparse_direction_NS_24const_host_device_scalarIT1_EES3_PKS3_PKT2_SC_S9_PKT4_PKT5_S7_PT6_21rocsparse_index_base_b ; -- Begin function _ZN9rocsparseL18bsrxmvn_3x3_kernelILj256ELj4E21rocsparse_complex_numIdEllS2_S2_S2_EEvT3_20rocsparse_direction_NS_24const_host_device_scalarIT1_EES3_PKS3_PKT2_SC_S9_PKT4_PKT5_S7_PT6_21rocsparse_index_base_b
	.p2align	8
	.type	_ZN9rocsparseL18bsrxmvn_3x3_kernelILj256ELj4E21rocsparse_complex_numIdEllS2_S2_S2_EEvT3_20rocsparse_direction_NS_24const_host_device_scalarIT1_EES3_PKS3_PKT2_SC_S9_PKT4_PKT5_S7_PT6_21rocsparse_index_base_b,@function
_ZN9rocsparseL18bsrxmvn_3x3_kernelILj256ELj4E21rocsparse_complex_numIdEllS2_S2_S2_EEvT3_20rocsparse_direction_NS_24const_host_device_scalarIT1_EES3_PKS3_PKT2_SC_S9_PKT4_PKT5_S7_PT6_21rocsparse_index_base_b: ; @_ZN9rocsparseL18bsrxmvn_3x3_kernelILj256ELj4E21rocsparse_complex_numIdEllS2_S2_S2_EEvT3_20rocsparse_direction_NS_24const_host_device_scalarIT1_EES3_PKS3_PKT2_SC_S9_PKT4_PKT5_S7_PT6_21rocsparse_index_base_b
; %bb.0:
	s_load_dwordx2 s[16:17], s[2:3], 0x70
	s_load_dwordx4 s[12:15], s[2:3], 0x10
	s_load_dwordx2 s[18:19], s[0:1], 0x4
	s_load_dwordx4 s[8:11], s[2:3], 0x58
	s_mov_b64 s[6:7], src_shared_base
	v_and_b32_e32 v2, 0x3ff, v0
	s_waitcnt lgkmcnt(0)
	s_bitcmp1_b32 s17, 0
	s_cselect_b64 s[0:1], -1, 0
	s_and_b64 vcc, s[0:1], exec
	s_cselect_b32 s5, s7, s13
	s_lshr_b32 s6, s18, 16
	s_mul_i32 s6, s6, s19
	v_mul_lo_u32 v3, s6, v2
	v_bfe_u32 v4, v0, 10, 10
	v_mad_u32_u24 v3, v4, s19, v3
	v_bfe_u32 v0, v0, 20, 10
	v_add_lshl_u32 v0, v3, v0, 3
	v_mov_b32_e32 v1, s12
	v_add_u32_e32 v3, 0x800, v0
	v_mov_b64_e32 v[4:5], s[12:13]
	v_mov_b64_e32 v[6:7], s[8:9]
	ds_write2st64_b64 v0, v[6:7], v[4:5] offset1:4
	v_cndmask_b32_e64 v4, v1, v3, s[0:1]
	v_mov_b32_e32 v5, s5
	flat_load_dwordx2 v[16:17], v[4:5]
	s_xor_b64 s[18:19], s[0:1], -1
	v_mov_b64_e32 v[18:19], s[14:15]
	s_cbranch_vccnz .LBB55_2
; %bb.1:
	v_mov_b64_e32 v[4:5], s[12:13]
	flat_load_dwordx2 v[18:19], v[4:5] offset:8
.LBB55_2:
	s_and_b64 s[12:13], s[0:1], exec
	s_cselect_b32 s5, s7, s9
	v_mov_b32_e32 v1, s8
	v_cndmask_b32_e64 v0, v1, v0, s[0:1]
	v_mov_b32_e32 v1, s5
	flat_load_dwordx2 v[12:13], v[0:1]
	s_andn2_b64 vcc, exec, s[18:19]
	v_mov_b64_e32 v[14:15], s[10:11]
	s_cbranch_vccnz .LBB55_4
; %bb.3:
	v_mov_b64_e32 v[0:1], s[8:9]
	flat_load_dwordx2 v[14:15], v[0:1] offset:8
.LBB55_4:
	s_waitcnt vmcnt(0) lgkmcnt(0)
	v_cmp_eq_f64_e32 vcc, 0, v[16:17]
	v_cmp_eq_f64_e64 s[0:1], 0, v[18:19]
	s_and_b64 s[8:9], vcc, s[0:1]
	s_mov_b64 s[0:1], -1
	s_and_saveexec_b64 s[6:7], s[8:9]
; %bb.5:
	v_cmp_neq_f64_e32 vcc, 1.0, v[12:13]
	v_cmp_neq_f64_e64 s[0:1], 0, v[14:15]
	s_or_b64 s[0:1], vcc, s[0:1]
	s_orn2_b64 s[0:1], s[0:1], exec
; %bb.6:
	s_or_b64 exec, exec, s[6:7]
	s_and_saveexec_b64 s[6:7], s[0:1]
	s_cbranch_execz .LBB55_12
; %bb.7:
	s_load_dwordx2 s[6:7], s[2:3], 0x28
	v_lshrrev_b32_e32 v0, 2, v2
	v_lshl_or_b32 v0, s4, 6, v0
	v_mov_b32_e32 v1, 0
	s_mov_b64 s[0:1], 0
	s_waitcnt lgkmcnt(0)
	s_cmp_lg_u64 s[6:7], 0
	s_cbranch_scc0 .LBB55_13
; %bb.8:
	s_load_dwordx2 s[4:5], s[2:3], 0x20
                                        ; implicit-def: $vgpr20_vgpr21
	s_waitcnt lgkmcnt(0)
	v_cmp_gt_i64_e32 vcc, s[4:5], v[0:1]
	s_and_saveexec_b64 s[4:5], vcc
	s_xor_b64 s[4:5], exec, s[4:5]
                                        ; implicit-def: $sgpr12_sgpr13
	s_cbranch_execz .LBB55_10
; %bb.9:
	v_lshl_add_u64 v[4:5], v[0:1], 3, s[6:7]
	global_load_dwordx2 v[4:5], v[4:5], off
	s_mov_b64 s[0:1], exec
	s_mov_b32 s13, 0
	s_waitcnt vmcnt(0)
	v_subrev_co_u32_e32 v20, vcc, s16, v4
	s_nop 1
	v_subbrev_co_u32_e32 v21, vcc, 0, v5, vcc
.LBB55_10:
	s_or_b64 exec, exec, s[4:5]
.LBB55_11:
	s_and_b64 exec, exec, s[0:1]
	s_cbranch_execnz .LBB55_17
.LBB55_12:
	s_endpgm
.LBB55_13:
                                        ; implicit-def: $vgpr20_vgpr21
                                        ; implicit-def: $sgpr12_sgpr13
	s_cbranch_execz .LBB55_11
; %bb.14:
	s_load_dwordx2 s[4:5], s[2:3], 0x0
                                        ; implicit-def: $vgpr20_vgpr21
	s_waitcnt lgkmcnt(0)
	v_cmp_gt_i64_e32 vcc, s[4:5], v[0:1]
	s_and_saveexec_b64 s[4:5], vcc
                                        ; implicit-def: $sgpr12_sgpr13
; %bb.15:
	s_mov_b32 s13, 0
	s_or_b64 s[0:1], s[0:1], exec
	v_mov_b64_e32 v[20:21], v[0:1]
; %bb.16:
	s_or_b64 exec, exec, s[4:5]
	s_and_b64 exec, exec, s[0:1]
	s_cbranch_execz .LBB55_12
.LBB55_17:
	s_load_dwordx8 s[4:11], s[2:3], 0x30
	v_lshlrev_b64 v[0:1], 3, v[20:21]
	s_load_dword s0, s[2:3], 0x8
	v_mov_b32_e32 v9, s13
	s_waitcnt lgkmcnt(0)
	v_lshl_add_u64 v[4:5], s[4:5], 0, v[0:1]
	global_load_dwordx2 v[6:7], v[4:5], off
	s_cmp_eq_u64 s[6:7], 0
	v_lshl_add_u64 v[0:1], s[6:7], 0, v[0:1]
	v_lshl_add_u64 v[4:5], v[4:5], 0, 8
	s_cselect_b64 vcc, -1, 0
	v_cndmask_b32_e32 v1, v1, v5, vcc
	v_cndmask_b32_e32 v0, v0, v4, vcc
	global_load_dwordx2 v[4:5], v[0:1], off
	v_and_b32_e32 v0, 3, v2
	v_mov_b32_e32 v1, 0
	s_load_dwordx2 s[4:5], s[2:3], 0x50
	s_movk_i32 s6, 0x90
	v_mov_b64_e32 v[2:3], s[10:11]
	s_cmp_eq_u32 s0, 1
	s_waitcnt vmcnt(1)
	v_subrev_co_u32_e32 v6, vcc, s16, v6
	s_nop 1
	v_subb_co_u32_e32 v7, vcc, v7, v9, vcc
	v_lshl_add_u64 v[6:7], v[6:7], 0, v[0:1]
	v_mad_u64_u32 v[10:11], s[0:1], v6, s6, v[2:3]
	s_waitcnt vmcnt(0)
	v_subrev_co_u32_e32 v8, vcc, s16, v4
	v_mov_b32_e32 v2, v11
	s_nop 0
	v_subb_co_u32_e32 v9, vcc, v5, v9, vcc
	v_mad_u64_u32 v[2:3], s[0:1], v7, s6, v[2:3]
	v_mov_b32_e32 v11, v2
	v_cmp_lt_i64_e64 s[0:1], v[6:7], v[8:9]
	s_cbranch_scc1 .LBB55_23
; %bb.18:
	v_mov_b64_e32 v[2:3], 0
	s_mov_b64 s[6:7], 0
	v_mov_b64_e32 v[26:27], v[2:3]
	v_mov_b64_e32 v[24:25], v[2:3]
	;; [unrolled: 1-line block ×5, first 2 shown]
	s_and_saveexec_b64 s[10:11], s[0:1]
	s_cbranch_execz .LBB55_22
; %bb.19:
	v_mov_b64_e32 v[2:3], 0
	v_lshl_add_u64 v[30:31], v[6:7], 3, s[8:9]
	s_mov_b64 s[14:15], 0
	v_mov_b32_e32 v1, s13
	s_mov_b64 s[18:19], 0x240
	v_mov_b64_e32 v[32:33], v[6:7]
	v_mov_b64_e32 v[34:35], v[10:11]
	;; [unrolled: 1-line block ×7, first 2 shown]
.LBB55_20:                              ; =>This Inner Loop Header: Depth=1
	global_load_dwordx2 v[72:73], v[30:31], off
	global_load_dwordx4 v[36:39], v[34:35], off offset:48
	global_load_dwordx4 v[40:43], v[34:35], off offset:32
	;; [unrolled: 1-line block ×3, first 2 shown]
	global_load_dwordx4 v[48:51], v[34:35], off
	global_load_dwordx4 v[52:55], v[34:35], off offset:112
	global_load_dwordx4 v[56:59], v[34:35], off offset:96
	;; [unrolled: 1-line block ×5, first 2 shown]
	v_lshl_add_u64 v[32:33], v[32:33], 0, 4
	v_lshl_add_u64 v[34:35], v[34:35], 0, s[18:19]
	;; [unrolled: 1-line block ×3, first 2 shown]
	s_waitcnt vmcnt(9)
	v_subrev_co_u32_e32 v72, vcc, s16, v72
	s_waitcnt lgkmcnt(0)
	v_mad_u64_u32 v[84:85], s[20:21], v72, 48, s[4:5]
	v_subb_co_u32_e32 v73, vcc, v73, v1, vcc
	v_mov_b32_e32 v72, v85
	v_mad_u64_u32 v[72:73], s[20:21], v73, 48, v[72:73]
	v_mov_b32_e32 v85, v72
	global_load_dwordx4 v[72:75], v[84:85], off
	global_load_dwordx4 v[76:79], v[84:85], off offset:16
	global_load_dwordx4 v[80:83], v[84:85], off offset:32
	v_cmp_ge_i64_e32 vcc, v[32:33], v[8:9]
	s_or_b64 s[14:15], vcc, s[14:15]
	s_waitcnt vmcnt(2)
	v_fmac_f64_e32 v[26:27], v[48:49], v[72:73]
	v_fmac_f64_e32 v[2:3], v[50:51], v[72:73]
	v_fmac_f64_e32 v[28:29], v[36:37], v[72:73]
	v_fmac_f64_e32 v[22:23], v[38:39], v[72:73]
	v_fmac_f64_e32 v[24:25], v[56:57], v[72:73]
	v_fmac_f64_e32 v[4:5], v[58:59], v[72:73]
	v_fma_f64 v[26:27], -v[50:51], v[74:75], v[26:27]
	v_fmac_f64_e32 v[2:3], v[48:49], v[74:75]
	v_fma_f64 v[28:29], -v[38:39], v[74:75], v[28:29]
	v_fmac_f64_e32 v[22:23], v[36:37], v[74:75]
	v_fma_f64 v[24:25], -v[58:59], v[74:75], v[24:25]
	v_fmac_f64_e32 v[4:5], v[56:57], v[74:75]
	s_waitcnt vmcnt(1)
	v_fmac_f64_e32 v[26:27], v[44:45], v[76:77]
	v_fmac_f64_e32 v[2:3], v[46:47], v[76:77]
	v_fmac_f64_e32 v[28:29], v[64:65], v[76:77]
	v_fmac_f64_e32 v[22:23], v[66:67], v[76:77]
	v_fmac_f64_e32 v[24:25], v[52:53], v[76:77]
	v_fmac_f64_e32 v[4:5], v[54:55], v[76:77]
	v_fma_f64 v[26:27], -v[46:47], v[78:79], v[26:27]
	v_fmac_f64_e32 v[2:3], v[44:45], v[78:79]
	v_fma_f64 v[28:29], -v[66:67], v[78:79], v[28:29]
	v_fmac_f64_e32 v[22:23], v[64:65], v[78:79]
	v_fma_f64 v[24:25], -v[54:55], v[78:79], v[24:25]
	v_fmac_f64_e32 v[4:5], v[52:53], v[78:79]
	;; [unrolled: 13-line block ×3, first 2 shown]
	s_andn2_b64 exec, exec, s[14:15]
	s_cbranch_execnz .LBB55_20
; %bb.21:
	s_or_b64 exec, exec, s[14:15]
.LBB55_22:
	s_or_b64 exec, exec, s[10:11]
	s_andn2_b64 vcc, exec, s[6:7]
	s_cbranch_vccz .LBB55_24
	s_branch .LBB55_29
.LBB55_23:
                                        ; implicit-def: $vgpr2_vgpr3
                                        ; implicit-def: $vgpr26_vgpr27
                                        ; implicit-def: $vgpr24_vgpr25
                                        ; implicit-def: $vgpr4_vgpr5
                                        ; implicit-def: $vgpr28_vgpr29
                                        ; implicit-def: $vgpr22_vgpr23
.LBB55_24:
	v_mov_b64_e32 v[2:3], 0
	v_mov_b64_e32 v[26:27], v[2:3]
	;; [unrolled: 1-line block ×6, first 2 shown]
	s_and_saveexec_b64 s[6:7], s[0:1]
	s_cbranch_execz .LBB55_28
; %bb.25:
	v_mov_b64_e32 v[2:3], 0
	v_lshl_add_u64 v[30:31], v[6:7], 3, s[8:9]
	s_mov_b64 s[0:1], 0
	v_mov_b32_e32 v1, s13
	s_mov_b64 s[8:9], 0x240
	v_mov_b64_e32 v[26:27], v[2:3]
	v_mov_b64_e32 v[24:25], v[2:3]
	;; [unrolled: 1-line block ×5, first 2 shown]
.LBB55_26:                              ; =>This Inner Loop Header: Depth=1
	global_load_dwordx2 v[68:69], v[30:31], off
	global_load_dwordx4 v[32:35], v[10:11], off offset:48
	global_load_dwordx4 v[36:39], v[10:11], off offset:32
	global_load_dwordx4 v[40:43], v[10:11], off offset:16
	global_load_dwordx4 v[44:47], v[10:11], off
	global_load_dwordx4 v[48:51], v[10:11], off offset:112
	global_load_dwordx4 v[52:55], v[10:11], off offset:96
	;; [unrolled: 1-line block ×5, first 2 shown]
	v_lshl_add_u64 v[6:7], v[6:7], 0, 4
	v_lshl_add_u64 v[10:11], v[10:11], 0, s[8:9]
	;; [unrolled: 1-line block ×3, first 2 shown]
	s_waitcnt vmcnt(9)
	v_subrev_co_u32_e32 v68, vcc, s16, v68
	s_waitcnt lgkmcnt(0)
	v_mad_u64_u32 v[80:81], s[10:11], v68, 48, s[4:5]
	v_subb_co_u32_e32 v69, vcc, v69, v1, vcc
	v_mov_b32_e32 v68, v81
	v_mad_u64_u32 v[68:69], s[10:11], v69, 48, v[68:69]
	v_mov_b32_e32 v81, v68
	global_load_dwordx4 v[68:71], v[80:81], off
	global_load_dwordx4 v[72:75], v[80:81], off offset:16
	global_load_dwordx4 v[76:79], v[80:81], off offset:32
	v_cmp_ge_i64_e32 vcc, v[6:7], v[8:9]
	s_or_b64 s[0:1], vcc, s[0:1]
	s_waitcnt vmcnt(2)
	v_fmac_f64_e32 v[26:27], v[44:45], v[68:69]
	v_fmac_f64_e32 v[2:3], v[46:47], v[68:69]
	v_fmac_f64_e32 v[28:29], v[40:41], v[68:69]
	v_fmac_f64_e32 v[22:23], v[42:43], v[68:69]
	v_fmac_f64_e32 v[24:25], v[36:37], v[68:69]
	v_fmac_f64_e32 v[4:5], v[38:39], v[68:69]
	v_fma_f64 v[26:27], -v[46:47], v[70:71], v[26:27]
	v_fmac_f64_e32 v[2:3], v[44:45], v[70:71]
	v_fma_f64 v[28:29], -v[42:43], v[70:71], v[28:29]
	v_fmac_f64_e32 v[22:23], v[40:41], v[70:71]
	v_fma_f64 v[24:25], -v[38:39], v[70:71], v[24:25]
	v_fmac_f64_e32 v[4:5], v[36:37], v[70:71]
	s_waitcnt vmcnt(1)
	v_fmac_f64_e32 v[26:27], v[32:33], v[72:73]
	v_fmac_f64_e32 v[2:3], v[34:35], v[72:73]
	v_fmac_f64_e32 v[28:29], v[60:61], v[72:73]
	v_fmac_f64_e32 v[22:23], v[62:63], v[72:73]
	v_fmac_f64_e32 v[24:25], v[56:57], v[72:73]
	v_fmac_f64_e32 v[4:5], v[58:59], v[72:73]
	v_fma_f64 v[26:27], -v[34:35], v[74:75], v[26:27]
	v_fmac_f64_e32 v[2:3], v[32:33], v[74:75]
	v_fma_f64 v[28:29], -v[62:63], v[74:75], v[28:29]
	v_fmac_f64_e32 v[22:23], v[60:61], v[74:75]
	v_fma_f64 v[24:25], -v[58:59], v[74:75], v[24:25]
	v_fmac_f64_e32 v[4:5], v[56:57], v[74:75]
	;; [unrolled: 13-line block ×3, first 2 shown]
	s_andn2_b64 exec, exec, s[0:1]
	s_cbranch_execnz .LBB55_26
; %bb.27:
	s_or_b64 exec, exec, s[0:1]
.LBB55_28:
	s_or_b64 exec, exec, s[6:7]
.LBB55_29:
	v_mov_b32_dpp v6, v26 row_shr:1 row_mask:0xf bank_mask:0xf
	v_mov_b32_dpp v7, v27 row_shr:1 row_mask:0xf bank_mask:0xf
	v_add_f64 v[6:7], v[26:27], v[6:7]
	v_mov_b32_dpp v10, v2 row_shr:1 row_mask:0xf bank_mask:0xf
	v_mov_b32_dpp v11, v3 row_shr:1 row_mask:0xf bank_mask:0xf
	;; [unrolled: 1-line block ×10, first 2 shown]
	v_add_f64 v[2:3], v[2:3], v[10:11]
	v_add_f64 v[26:27], v[28:29], v[26:27]
	;; [unrolled: 1-line block ×5, first 2 shown]
	v_mov_b32_dpp v8, v6 row_shr:2 row_mask:0xf bank_mask:0xf
	v_mov_b32_dpp v9, v7 row_shr:2 row_mask:0xf bank_mask:0xf
	;; [unrolled: 1-line block ×12, first 2 shown]
	v_cmp_eq_u32_e32 vcc, 3, v0
	s_and_b64 exec, exec, vcc
	s_cbranch_execz .LBB55_12
; %bb.30:
	s_load_dwordx2 s[2:3], s[2:3], 0x68
	v_add_f64 v[0:1], v[2:3], v[10:11]
	v_add_f64 v[2:3], v[22:23], v[30:31]
	v_add_f64 v[22:23], v[24:25], v[32:33]
	v_add_f64 v[24:25], v[4:5], v[34:35]
	v_add_f64 v[36:37], v[6:7], v[8:9]
	v_add_f64 v[26:27], v[26:27], v[28:29]
	v_cmp_eq_f64_e32 vcc, 0, v[12:13]
	v_cmp_eq_f64_e64 s[0:1], 0, v[14:15]
	v_mul_f64 v[8:9], v[0:1], -v[18:19]
	v_mul_f64 v[10:11], v[16:17], v[0:1]
	v_mul_f64 v[4:5], v[2:3], -v[18:19]
	v_mul_f64 v[6:7], v[16:17], v[2:3]
	;; [unrolled: 2-line block ×3, first 2 shown]
	s_and_b64 s[0:1], vcc, s[0:1]
	v_fmac_f64_e32 v[8:9], v[16:17], v[36:37]
	v_fmac_f64_e32 v[10:11], v[18:19], v[36:37]
	v_fmac_f64_e32 v[4:5], v[16:17], v[26:27]
	v_fmac_f64_e32 v[6:7], v[18:19], v[26:27]
	v_fmac_f64_e32 v[0:1], v[16:17], v[22:23]
	v_fmac_f64_e32 v[2:3], v[18:19], v[22:23]
	s_waitcnt lgkmcnt(0)
	s_and_saveexec_b64 s[4:5], s[0:1]
	s_xor_b64 s[0:1], exec, s[4:5]
	s_cbranch_execz .LBB55_32
; %bb.31:
	v_mad_u64_u32 v[12:13], s[4:5], v20, 48, s[2:3]
	v_mov_b32_e32 v14, v13
	v_mad_u64_u32 v[14:15], s[4:5], v21, 48, v[14:15]
	v_mov_b32_e32 v13, v14
	global_store_dwordx4 v[12:13], v[8:11], off
	global_store_dwordx4 v[12:13], v[4:7], off offset:16
	global_store_dwordx4 v[12:13], v[0:3], off offset:32
                                        ; implicit-def: $vgpr12_vgpr13
                                        ; implicit-def: $vgpr14_vgpr15
                                        ; implicit-def: $vgpr20_vgpr21
                                        ; implicit-def: $vgpr8_vgpr9
                                        ; implicit-def: $vgpr4_vgpr5
                                        ; implicit-def: $vgpr0_vgpr1
.LBB55_32:
	s_andn2_saveexec_b64 s[0:1], s[0:1]
	s_cbranch_execz .LBB55_12
; %bb.33:
	v_mad_u64_u32 v[28:29], s[0:1], v20, 48, s[2:3]
	v_mov_b32_e32 v16, v29
	v_mad_u64_u32 v[16:17], s[0:1], v21, 48, v[16:17]
	v_mov_b32_e32 v29, v16
	global_load_dwordx4 v[16:19], v[28:29], off
	global_load_dwordx4 v[20:23], v[28:29], off offset:16
	global_load_dwordx4 v[24:27], v[28:29], off offset:32
	s_waitcnt vmcnt(2)
	v_fmac_f64_e32 v[8:9], v[12:13], v[16:17]
	v_fmac_f64_e32 v[10:11], v[14:15], v[16:17]
	s_waitcnt vmcnt(1)
	v_fmac_f64_e32 v[4:5], v[12:13], v[20:21]
	v_fmac_f64_e32 v[6:7], v[14:15], v[20:21]
	;; [unrolled: 3-line block ×3, first 2 shown]
	v_fma_f64 v[8:9], -v[14:15], v[18:19], v[8:9]
	v_fmac_f64_e32 v[10:11], v[12:13], v[18:19]
	v_fma_f64 v[4:5], -v[14:15], v[22:23], v[4:5]
	v_fmac_f64_e32 v[6:7], v[12:13], v[22:23]
	;; [unrolled: 2-line block ×3, first 2 shown]
	global_store_dwordx4 v[28:29], v[8:11], off
	global_store_dwordx4 v[28:29], v[4:7], off offset:16
	global_store_dwordx4 v[28:29], v[0:3], off offset:32
	s_endpgm
	.section	.rodata,"a",@progbits
	.p2align	6, 0x0
	.amdhsa_kernel _ZN9rocsparseL18bsrxmvn_3x3_kernelILj256ELj4E21rocsparse_complex_numIdEllS2_S2_S2_EEvT3_20rocsparse_direction_NS_24const_host_device_scalarIT1_EES3_PKS3_PKT2_SC_S9_PKT4_PKT5_S7_PT6_21rocsparse_index_base_b
		.amdhsa_group_segment_fixed_size 4096
		.amdhsa_private_segment_fixed_size 0
		.amdhsa_kernarg_size 120
		.amdhsa_user_sgpr_count 4
		.amdhsa_user_sgpr_dispatch_ptr 1
		.amdhsa_user_sgpr_queue_ptr 0
		.amdhsa_user_sgpr_kernarg_segment_ptr 1
		.amdhsa_user_sgpr_dispatch_id 0
		.amdhsa_user_sgpr_kernarg_preload_length 0
		.amdhsa_user_sgpr_kernarg_preload_offset 0
		.amdhsa_user_sgpr_private_segment_size 0
		.amdhsa_uses_dynamic_stack 0
		.amdhsa_enable_private_segment 0
		.amdhsa_system_sgpr_workgroup_id_x 1
		.amdhsa_system_sgpr_workgroup_id_y 0
		.amdhsa_system_sgpr_workgroup_id_z 0
		.amdhsa_system_sgpr_workgroup_info 0
		.amdhsa_system_vgpr_workitem_id 2
		.amdhsa_next_free_vgpr 86
		.amdhsa_next_free_sgpr 22
		.amdhsa_accum_offset 88
		.amdhsa_reserve_vcc 1
		.amdhsa_float_round_mode_32 0
		.amdhsa_float_round_mode_16_64 0
		.amdhsa_float_denorm_mode_32 3
		.amdhsa_float_denorm_mode_16_64 3
		.amdhsa_dx10_clamp 1
		.amdhsa_ieee_mode 1
		.amdhsa_fp16_overflow 0
		.amdhsa_tg_split 0
		.amdhsa_exception_fp_ieee_invalid_op 0
		.amdhsa_exception_fp_denorm_src 0
		.amdhsa_exception_fp_ieee_div_zero 0
		.amdhsa_exception_fp_ieee_overflow 0
		.amdhsa_exception_fp_ieee_underflow 0
		.amdhsa_exception_fp_ieee_inexact 0
		.amdhsa_exception_int_div_zero 0
	.end_amdhsa_kernel
	.section	.text._ZN9rocsparseL18bsrxmvn_3x3_kernelILj256ELj4E21rocsparse_complex_numIdEllS2_S2_S2_EEvT3_20rocsparse_direction_NS_24const_host_device_scalarIT1_EES3_PKS3_PKT2_SC_S9_PKT4_PKT5_S7_PT6_21rocsparse_index_base_b,"axG",@progbits,_ZN9rocsparseL18bsrxmvn_3x3_kernelILj256ELj4E21rocsparse_complex_numIdEllS2_S2_S2_EEvT3_20rocsparse_direction_NS_24const_host_device_scalarIT1_EES3_PKS3_PKT2_SC_S9_PKT4_PKT5_S7_PT6_21rocsparse_index_base_b,comdat
.Lfunc_end55:
	.size	_ZN9rocsparseL18bsrxmvn_3x3_kernelILj256ELj4E21rocsparse_complex_numIdEllS2_S2_S2_EEvT3_20rocsparse_direction_NS_24const_host_device_scalarIT1_EES3_PKS3_PKT2_SC_S9_PKT4_PKT5_S7_PT6_21rocsparse_index_base_b, .Lfunc_end55-_ZN9rocsparseL18bsrxmvn_3x3_kernelILj256ELj4E21rocsparse_complex_numIdEllS2_S2_S2_EEvT3_20rocsparse_direction_NS_24const_host_device_scalarIT1_EES3_PKS3_PKT2_SC_S9_PKT4_PKT5_S7_PT6_21rocsparse_index_base_b
                                        ; -- End function
	.section	.AMDGPU.csdata,"",@progbits
; Kernel info:
; codeLenInByte = 2232
; NumSgprs: 28
; NumVgprs: 86
; NumAgprs: 0
; TotalNumVgprs: 86
; ScratchSize: 0
; MemoryBound: 1
; FloatMode: 240
; IeeeMode: 1
; LDSByteSize: 4096 bytes/workgroup (compile time only)
; SGPRBlocks: 3
; VGPRBlocks: 10
; NumSGPRsForWavesPerEU: 28
; NumVGPRsForWavesPerEU: 86
; AccumOffset: 88
; Occupancy: 5
; WaveLimiterHint : 1
; COMPUTE_PGM_RSRC2:SCRATCH_EN: 0
; COMPUTE_PGM_RSRC2:USER_SGPR: 4
; COMPUTE_PGM_RSRC2:TRAP_HANDLER: 0
; COMPUTE_PGM_RSRC2:TGID_X_EN: 1
; COMPUTE_PGM_RSRC2:TGID_Y_EN: 0
; COMPUTE_PGM_RSRC2:TGID_Z_EN: 0
; COMPUTE_PGM_RSRC2:TIDIG_COMP_CNT: 2
; COMPUTE_PGM_RSRC3_GFX90A:ACCUM_OFFSET: 21
; COMPUTE_PGM_RSRC3_GFX90A:TG_SPLIT: 0
	.section	.text._ZN9rocsparseL18bsrxmvn_3x3_kernelILj256ELj8E21rocsparse_complex_numIdEllS2_S2_S2_EEvT3_20rocsparse_direction_NS_24const_host_device_scalarIT1_EES3_PKS3_PKT2_SC_S9_PKT4_PKT5_S7_PT6_21rocsparse_index_base_b,"axG",@progbits,_ZN9rocsparseL18bsrxmvn_3x3_kernelILj256ELj8E21rocsparse_complex_numIdEllS2_S2_S2_EEvT3_20rocsparse_direction_NS_24const_host_device_scalarIT1_EES3_PKS3_PKT2_SC_S9_PKT4_PKT5_S7_PT6_21rocsparse_index_base_b,comdat
	.globl	_ZN9rocsparseL18bsrxmvn_3x3_kernelILj256ELj8E21rocsparse_complex_numIdEllS2_S2_S2_EEvT3_20rocsparse_direction_NS_24const_host_device_scalarIT1_EES3_PKS3_PKT2_SC_S9_PKT4_PKT5_S7_PT6_21rocsparse_index_base_b ; -- Begin function _ZN9rocsparseL18bsrxmvn_3x3_kernelILj256ELj8E21rocsparse_complex_numIdEllS2_S2_S2_EEvT3_20rocsparse_direction_NS_24const_host_device_scalarIT1_EES3_PKS3_PKT2_SC_S9_PKT4_PKT5_S7_PT6_21rocsparse_index_base_b
	.p2align	8
	.type	_ZN9rocsparseL18bsrxmvn_3x3_kernelILj256ELj8E21rocsparse_complex_numIdEllS2_S2_S2_EEvT3_20rocsparse_direction_NS_24const_host_device_scalarIT1_EES3_PKS3_PKT2_SC_S9_PKT4_PKT5_S7_PT6_21rocsparse_index_base_b,@function
_ZN9rocsparseL18bsrxmvn_3x3_kernelILj256ELj8E21rocsparse_complex_numIdEllS2_S2_S2_EEvT3_20rocsparse_direction_NS_24const_host_device_scalarIT1_EES3_PKS3_PKT2_SC_S9_PKT4_PKT5_S7_PT6_21rocsparse_index_base_b: ; @_ZN9rocsparseL18bsrxmvn_3x3_kernelILj256ELj8E21rocsparse_complex_numIdEllS2_S2_S2_EEvT3_20rocsparse_direction_NS_24const_host_device_scalarIT1_EES3_PKS3_PKT2_SC_S9_PKT4_PKT5_S7_PT6_21rocsparse_index_base_b
; %bb.0:
	s_load_dwordx2 s[16:17], s[2:3], 0x70
	s_load_dwordx4 s[12:15], s[2:3], 0x10
	s_load_dwordx2 s[18:19], s[0:1], 0x4
	s_load_dwordx4 s[8:11], s[2:3], 0x58
	s_mov_b64 s[6:7], src_shared_base
	v_and_b32_e32 v2, 0x3ff, v0
	s_waitcnt lgkmcnt(0)
	s_bitcmp1_b32 s17, 0
	s_cselect_b64 s[0:1], -1, 0
	s_and_b64 vcc, s[0:1], exec
	s_cselect_b32 s5, s7, s13
	s_lshr_b32 s6, s18, 16
	s_mul_i32 s6, s6, s19
	v_mul_lo_u32 v3, s6, v2
	v_bfe_u32 v4, v0, 10, 10
	v_mad_u32_u24 v3, v4, s19, v3
	v_bfe_u32 v0, v0, 20, 10
	v_add_lshl_u32 v0, v3, v0, 3
	v_mov_b32_e32 v1, s12
	v_add_u32_e32 v3, 0x800, v0
	v_mov_b64_e32 v[4:5], s[12:13]
	v_mov_b64_e32 v[6:7], s[8:9]
	ds_write2st64_b64 v0, v[6:7], v[4:5] offset1:4
	v_cndmask_b32_e64 v4, v1, v3, s[0:1]
	v_mov_b32_e32 v5, s5
	flat_load_dwordx2 v[16:17], v[4:5]
	s_xor_b64 s[18:19], s[0:1], -1
	v_mov_b64_e32 v[18:19], s[14:15]
	s_cbranch_vccnz .LBB56_2
; %bb.1:
	v_mov_b64_e32 v[4:5], s[12:13]
	flat_load_dwordx2 v[18:19], v[4:5] offset:8
.LBB56_2:
	s_and_b64 s[12:13], s[0:1], exec
	s_cselect_b32 s5, s7, s9
	v_mov_b32_e32 v1, s8
	v_cndmask_b32_e64 v0, v1, v0, s[0:1]
	v_mov_b32_e32 v1, s5
	flat_load_dwordx2 v[12:13], v[0:1]
	s_andn2_b64 vcc, exec, s[18:19]
	v_mov_b64_e32 v[14:15], s[10:11]
	s_cbranch_vccnz .LBB56_4
; %bb.3:
	v_mov_b64_e32 v[0:1], s[8:9]
	flat_load_dwordx2 v[14:15], v[0:1] offset:8
.LBB56_4:
	s_waitcnt vmcnt(0) lgkmcnt(0)
	v_cmp_eq_f64_e32 vcc, 0, v[16:17]
	v_cmp_eq_f64_e64 s[0:1], 0, v[18:19]
	s_and_b64 s[8:9], vcc, s[0:1]
	s_mov_b64 s[0:1], -1
	s_and_saveexec_b64 s[6:7], s[8:9]
; %bb.5:
	v_cmp_neq_f64_e32 vcc, 1.0, v[12:13]
	v_cmp_neq_f64_e64 s[0:1], 0, v[14:15]
	s_or_b64 s[0:1], vcc, s[0:1]
	s_orn2_b64 s[0:1], s[0:1], exec
; %bb.6:
	s_or_b64 exec, exec, s[6:7]
	s_and_saveexec_b64 s[6:7], s[0:1]
	s_cbranch_execz .LBB56_12
; %bb.7:
	s_load_dwordx2 s[6:7], s[2:3], 0x28
	v_lshrrev_b32_e32 v0, 3, v2
	v_lshl_or_b32 v0, s4, 5, v0
	v_mov_b32_e32 v1, 0
	s_mov_b64 s[0:1], 0
	s_waitcnt lgkmcnt(0)
	s_cmp_lg_u64 s[6:7], 0
	s_cbranch_scc0 .LBB56_13
; %bb.8:
	s_load_dwordx2 s[4:5], s[2:3], 0x20
                                        ; implicit-def: $vgpr20_vgpr21
	s_waitcnt lgkmcnt(0)
	v_cmp_gt_i64_e32 vcc, s[4:5], v[0:1]
	s_and_saveexec_b64 s[4:5], vcc
	s_xor_b64 s[4:5], exec, s[4:5]
                                        ; implicit-def: $sgpr12_sgpr13
	s_cbranch_execz .LBB56_10
; %bb.9:
	v_lshl_add_u64 v[4:5], v[0:1], 3, s[6:7]
	global_load_dwordx2 v[4:5], v[4:5], off
	s_mov_b64 s[0:1], exec
	s_mov_b32 s13, 0
	s_waitcnt vmcnt(0)
	v_subrev_co_u32_e32 v20, vcc, s16, v4
	s_nop 1
	v_subbrev_co_u32_e32 v21, vcc, 0, v5, vcc
.LBB56_10:
	s_or_b64 exec, exec, s[4:5]
.LBB56_11:
	s_and_b64 exec, exec, s[0:1]
	s_cbranch_execnz .LBB56_17
.LBB56_12:
	s_endpgm
.LBB56_13:
                                        ; implicit-def: $vgpr20_vgpr21
                                        ; implicit-def: $sgpr12_sgpr13
	s_cbranch_execz .LBB56_11
; %bb.14:
	s_load_dwordx2 s[4:5], s[2:3], 0x0
                                        ; implicit-def: $vgpr20_vgpr21
	s_waitcnt lgkmcnt(0)
	v_cmp_gt_i64_e32 vcc, s[4:5], v[0:1]
	s_and_saveexec_b64 s[4:5], vcc
                                        ; implicit-def: $sgpr12_sgpr13
; %bb.15:
	s_mov_b32 s13, 0
	s_or_b64 s[0:1], s[0:1], exec
	v_mov_b64_e32 v[20:21], v[0:1]
; %bb.16:
	s_or_b64 exec, exec, s[4:5]
	s_and_b64 exec, exec, s[0:1]
	s_cbranch_execz .LBB56_12
.LBB56_17:
	s_load_dwordx8 s[4:11], s[2:3], 0x30
	v_lshlrev_b64 v[0:1], 3, v[20:21]
	s_load_dword s0, s[2:3], 0x8
	v_mov_b32_e32 v11, s13
	s_waitcnt lgkmcnt(0)
	v_lshl_add_u64 v[4:5], s[4:5], 0, v[0:1]
	global_load_dwordx2 v[6:7], v[4:5], off
	s_cmp_eq_u64 s[6:7], 0
	v_lshl_add_u64 v[0:1], s[6:7], 0, v[0:1]
	v_lshl_add_u64 v[4:5], v[4:5], 0, 8
	s_cselect_b64 vcc, -1, 0
	v_cndmask_b32_e32 v1, v1, v5, vcc
	v_cndmask_b32_e32 v0, v0, v4, vcc
	global_load_dwordx2 v[4:5], v[0:1], off
	v_and_b32_e32 v0, 7, v2
	v_mov_b32_e32 v1, 0
	s_load_dwordx2 s[4:5], s[2:3], 0x50
	s_movk_i32 s6, 0x90
	v_mov_b64_e32 v[2:3], s[10:11]
	s_cmp_eq_u32 s0, 1
	s_waitcnt vmcnt(1)
	v_subrev_co_u32_e32 v6, vcc, s16, v6
	s_nop 1
	v_subb_co_u32_e32 v7, vcc, v7, v11, vcc
	v_lshl_add_u64 v[8:9], v[6:7], 0, v[0:1]
	v_mad_u64_u32 v[22:23], s[0:1], v8, s6, v[2:3]
	s_waitcnt vmcnt(0)
	v_subrev_co_u32_e32 v10, vcc, s16, v4
	v_mov_b32_e32 v2, v23
	s_nop 0
	v_subb_co_u32_e32 v11, vcc, v5, v11, vcc
	v_mad_u64_u32 v[2:3], s[0:1], v9, s6, v[2:3]
	v_mov_b32_e32 v23, v2
	v_cmp_lt_i64_e64 s[0:1], v[8:9], v[10:11]
	s_cbranch_scc1 .LBB56_23
; %bb.18:
	v_mov_b64_e32 v[4:5], 0
	s_mov_b64 s[6:7], 0
	v_mov_b64_e32 v[28:29], v[4:5]
	v_mov_b64_e32 v[24:25], v[4:5]
	;; [unrolled: 1-line block ×5, first 2 shown]
	s_and_saveexec_b64 s[10:11], s[0:1]
	s_cbranch_execz .LBB56_22
; %bb.19:
	v_mov_b64_e32 v[4:5], 0
	v_lshl_add_u64 v[30:31], v[8:9], 3, s[8:9]
	s_mov_b64 s[14:15], 0
	v_mov_b32_e32 v1, s13
	s_mov_b64 s[18:19], 0x480
	v_mov_b64_e32 v[32:33], v[8:9]
	v_mov_b64_e32 v[34:35], v[22:23]
	;; [unrolled: 1-line block ×7, first 2 shown]
.LBB56_20:                              ; =>This Inner Loop Header: Depth=1
	global_load_dwordx2 v[72:73], v[30:31], off
	global_load_dwordx4 v[36:39], v[34:35], off offset:48
	global_load_dwordx4 v[40:43], v[34:35], off offset:32
	;; [unrolled: 1-line block ×3, first 2 shown]
	global_load_dwordx4 v[48:51], v[34:35], off
	global_load_dwordx4 v[52:55], v[34:35], off offset:112
	global_load_dwordx4 v[56:59], v[34:35], off offset:96
	;; [unrolled: 1-line block ×5, first 2 shown]
	v_lshl_add_u64 v[32:33], v[32:33], 0, 8
	v_lshl_add_u64 v[34:35], v[34:35], 0, s[18:19]
	;; [unrolled: 1-line block ×3, first 2 shown]
	s_waitcnt vmcnt(9)
	v_subrev_co_u32_e32 v72, vcc, s16, v72
	s_waitcnt lgkmcnt(0)
	v_mad_u64_u32 v[84:85], s[20:21], v72, 48, s[4:5]
	v_subb_co_u32_e32 v73, vcc, v73, v1, vcc
	v_mov_b32_e32 v72, v85
	v_mad_u64_u32 v[72:73], s[20:21], v73, 48, v[72:73]
	v_mov_b32_e32 v85, v72
	global_load_dwordx4 v[72:75], v[84:85], off
	global_load_dwordx4 v[76:79], v[84:85], off offset:16
	global_load_dwordx4 v[80:83], v[84:85], off offset:32
	v_cmp_ge_i64_e32 vcc, v[32:33], v[10:11]
	s_or_b64 s[14:15], vcc, s[14:15]
	s_waitcnt vmcnt(2)
	v_fmac_f64_e32 v[28:29], v[48:49], v[72:73]
	v_fmac_f64_e32 v[4:5], v[50:51], v[72:73]
	v_fmac_f64_e32 v[26:27], v[36:37], v[72:73]
	v_fmac_f64_e32 v[6:7], v[38:39], v[72:73]
	v_fmac_f64_e32 v[24:25], v[56:57], v[72:73]
	v_fmac_f64_e32 v[2:3], v[58:59], v[72:73]
	v_fma_f64 v[28:29], -v[50:51], v[74:75], v[28:29]
	v_fmac_f64_e32 v[4:5], v[48:49], v[74:75]
	v_fma_f64 v[26:27], -v[38:39], v[74:75], v[26:27]
	v_fmac_f64_e32 v[6:7], v[36:37], v[74:75]
	v_fma_f64 v[24:25], -v[58:59], v[74:75], v[24:25]
	v_fmac_f64_e32 v[2:3], v[56:57], v[74:75]
	s_waitcnt vmcnt(1)
	v_fmac_f64_e32 v[28:29], v[44:45], v[76:77]
	v_fmac_f64_e32 v[4:5], v[46:47], v[76:77]
	v_fmac_f64_e32 v[26:27], v[64:65], v[76:77]
	v_fmac_f64_e32 v[6:7], v[66:67], v[76:77]
	v_fmac_f64_e32 v[24:25], v[52:53], v[76:77]
	v_fmac_f64_e32 v[2:3], v[54:55], v[76:77]
	v_fma_f64 v[28:29], -v[46:47], v[78:79], v[28:29]
	v_fmac_f64_e32 v[4:5], v[44:45], v[78:79]
	v_fma_f64 v[26:27], -v[66:67], v[78:79], v[26:27]
	v_fmac_f64_e32 v[6:7], v[64:65], v[78:79]
	v_fma_f64 v[24:25], -v[54:55], v[78:79], v[24:25]
	v_fmac_f64_e32 v[2:3], v[52:53], v[78:79]
	;; [unrolled: 13-line block ×3, first 2 shown]
	s_andn2_b64 exec, exec, s[14:15]
	s_cbranch_execnz .LBB56_20
; %bb.21:
	s_or_b64 exec, exec, s[14:15]
.LBB56_22:
	s_or_b64 exec, exec, s[10:11]
	s_andn2_b64 vcc, exec, s[6:7]
	s_cbranch_vccz .LBB56_24
	s_branch .LBB56_29
.LBB56_23:
                                        ; implicit-def: $vgpr4_vgpr5
                                        ; implicit-def: $vgpr28_vgpr29
                                        ; implicit-def: $vgpr24_vgpr25
                                        ; implicit-def: $vgpr2_vgpr3
                                        ; implicit-def: $vgpr26_vgpr27
                                        ; implicit-def: $vgpr6_vgpr7
.LBB56_24:
	v_mov_b64_e32 v[4:5], 0
	v_mov_b64_e32 v[28:29], v[4:5]
	;; [unrolled: 1-line block ×6, first 2 shown]
	s_and_saveexec_b64 s[6:7], s[0:1]
	s_cbranch_execz .LBB56_28
; %bb.25:
	v_mov_b64_e32 v[4:5], 0
	v_lshl_add_u64 v[30:31], v[8:9], 3, s[8:9]
	s_mov_b64 s[0:1], 0
	v_mov_b32_e32 v1, s13
	s_mov_b64 s[8:9], 0x480
	v_mov_b64_e32 v[28:29], v[4:5]
	v_mov_b64_e32 v[24:25], v[4:5]
	;; [unrolled: 1-line block ×5, first 2 shown]
.LBB56_26:                              ; =>This Inner Loop Header: Depth=1
	global_load_dwordx2 v[68:69], v[30:31], off
	global_load_dwordx4 v[32:35], v[22:23], off offset:48
	global_load_dwordx4 v[36:39], v[22:23], off offset:32
	;; [unrolled: 1-line block ×3, first 2 shown]
	global_load_dwordx4 v[44:47], v[22:23], off
	global_load_dwordx4 v[48:51], v[22:23], off offset:112
	global_load_dwordx4 v[52:55], v[22:23], off offset:96
	;; [unrolled: 1-line block ×5, first 2 shown]
	v_lshl_add_u64 v[8:9], v[8:9], 0, 8
	v_lshl_add_u64 v[22:23], v[22:23], 0, s[8:9]
	;; [unrolled: 1-line block ×3, first 2 shown]
	s_waitcnt vmcnt(9)
	v_subrev_co_u32_e32 v68, vcc, s16, v68
	s_waitcnt lgkmcnt(0)
	v_mad_u64_u32 v[80:81], s[10:11], v68, 48, s[4:5]
	v_subb_co_u32_e32 v69, vcc, v69, v1, vcc
	v_mov_b32_e32 v68, v81
	v_mad_u64_u32 v[68:69], s[10:11], v69, 48, v[68:69]
	v_mov_b32_e32 v81, v68
	global_load_dwordx4 v[68:71], v[80:81], off
	global_load_dwordx4 v[72:75], v[80:81], off offset:16
	global_load_dwordx4 v[76:79], v[80:81], off offset:32
	v_cmp_ge_i64_e32 vcc, v[8:9], v[10:11]
	s_or_b64 s[0:1], vcc, s[0:1]
	s_waitcnt vmcnt(2)
	v_fmac_f64_e32 v[28:29], v[44:45], v[68:69]
	v_fmac_f64_e32 v[4:5], v[46:47], v[68:69]
	v_fmac_f64_e32 v[26:27], v[40:41], v[68:69]
	v_fmac_f64_e32 v[6:7], v[42:43], v[68:69]
	v_fmac_f64_e32 v[24:25], v[36:37], v[68:69]
	v_fmac_f64_e32 v[2:3], v[38:39], v[68:69]
	v_fma_f64 v[28:29], -v[46:47], v[70:71], v[28:29]
	v_fmac_f64_e32 v[4:5], v[44:45], v[70:71]
	v_fma_f64 v[26:27], -v[42:43], v[70:71], v[26:27]
	v_fmac_f64_e32 v[6:7], v[40:41], v[70:71]
	v_fma_f64 v[24:25], -v[38:39], v[70:71], v[24:25]
	v_fmac_f64_e32 v[2:3], v[36:37], v[70:71]
	s_waitcnt vmcnt(1)
	v_fmac_f64_e32 v[28:29], v[32:33], v[72:73]
	v_fmac_f64_e32 v[4:5], v[34:35], v[72:73]
	v_fmac_f64_e32 v[26:27], v[60:61], v[72:73]
	v_fmac_f64_e32 v[6:7], v[62:63], v[72:73]
	v_fmac_f64_e32 v[24:25], v[56:57], v[72:73]
	v_fmac_f64_e32 v[2:3], v[58:59], v[72:73]
	v_fma_f64 v[28:29], -v[34:35], v[74:75], v[28:29]
	v_fmac_f64_e32 v[4:5], v[32:33], v[74:75]
	v_fma_f64 v[26:27], -v[62:63], v[74:75], v[26:27]
	v_fmac_f64_e32 v[6:7], v[60:61], v[74:75]
	v_fma_f64 v[24:25], -v[58:59], v[74:75], v[24:25]
	v_fmac_f64_e32 v[2:3], v[56:57], v[74:75]
	;; [unrolled: 13-line block ×3, first 2 shown]
	s_andn2_b64 exec, exec, s[0:1]
	s_cbranch_execnz .LBB56_26
; %bb.27:
	s_or_b64 exec, exec, s[0:1]
.LBB56_28:
	s_or_b64 exec, exec, s[6:7]
.LBB56_29:
	v_mov_b32_dpp v8, v28 row_shr:1 row_mask:0xf bank_mask:0xf
	v_mov_b32_dpp v9, v29 row_shr:1 row_mask:0xf bank_mask:0xf
	v_add_f64 v[8:9], v[28:29], v[8:9]
	v_mov_b32_dpp v22, v4 row_shr:1 row_mask:0xf bank_mask:0xf
	v_mov_b32_dpp v23, v5 row_shr:1 row_mask:0xf bank_mask:0xf
	;; [unrolled: 1-line block ×10, first 2 shown]
	v_add_f64 v[4:5], v[4:5], v[22:23]
	v_add_f64 v[26:27], v[26:27], v[28:29]
	;; [unrolled: 1-line block ×5, first 2 shown]
	v_mov_b32_dpp v10, v8 row_shr:2 row_mask:0xf bank_mask:0xf
	v_mov_b32_dpp v11, v9 row_shr:2 row_mask:0xf bank_mask:0xf
	v_mov_b32_dpp v22, v4 row_shr:2 row_mask:0xf bank_mask:0xf
	v_mov_b32_dpp v23, v5 row_shr:2 row_mask:0xf bank_mask:0xf
	v_mov_b32_dpp v28, v26 row_shr:2 row_mask:0xf bank_mask:0xf
	v_mov_b32_dpp v29, v27 row_shr:2 row_mask:0xf bank_mask:0xf
	v_mov_b32_dpp v30, v6 row_shr:2 row_mask:0xf bank_mask:0xf
	v_mov_b32_dpp v31, v7 row_shr:2 row_mask:0xf bank_mask:0xf
	v_mov_b32_dpp v32, v24 row_shr:2 row_mask:0xf bank_mask:0xf
	v_mov_b32_dpp v33, v25 row_shr:2 row_mask:0xf bank_mask:0xf
	v_mov_b32_dpp v34, v2 row_shr:2 row_mask:0xf bank_mask:0xf
	v_mov_b32_dpp v35, v3 row_shr:2 row_mask:0xf bank_mask:0xf
	v_add_f64 v[8:9], v[8:9], v[10:11]
	v_add_f64 v[4:5], v[4:5], v[22:23]
	;; [unrolled: 1-line block ×6, first 2 shown]
	v_mov_b32_dpp v10, v8 row_shr:4 row_mask:0xf bank_mask:0xe
	v_mov_b32_dpp v11, v9 row_shr:4 row_mask:0xf bank_mask:0xe
	v_mov_b32_dpp v22, v4 row_shr:4 row_mask:0xf bank_mask:0xe
	v_mov_b32_dpp v23, v5 row_shr:4 row_mask:0xf bank_mask:0xe
	v_mov_b32_dpp v28, v26 row_shr:4 row_mask:0xf bank_mask:0xe
	v_mov_b32_dpp v29, v27 row_shr:4 row_mask:0xf bank_mask:0xe
	v_mov_b32_dpp v30, v6 row_shr:4 row_mask:0xf bank_mask:0xe
	v_mov_b32_dpp v31, v7 row_shr:4 row_mask:0xf bank_mask:0xe
	v_mov_b32_dpp v32, v24 row_shr:4 row_mask:0xf bank_mask:0xe
	v_mov_b32_dpp v33, v25 row_shr:4 row_mask:0xf bank_mask:0xe
	v_mov_b32_dpp v34, v2 row_shr:4 row_mask:0xf bank_mask:0xe
	v_mov_b32_dpp v35, v3 row_shr:4 row_mask:0xf bank_mask:0xe
	v_cmp_eq_u32_e32 vcc, 7, v0
	s_and_b64 exec, exec, vcc
	s_cbranch_execz .LBB56_12
; %bb.30:
	s_load_dwordx2 s[2:3], s[2:3], 0x68
	v_add_f64 v[0:1], v[4:5], v[22:23]
	v_add_f64 v[6:7], v[6:7], v[30:31]
	;; [unrolled: 1-line block ×6, first 2 shown]
	v_cmp_eq_f64_e32 vcc, 0, v[12:13]
	v_cmp_eq_f64_e64 s[0:1], 0, v[14:15]
	v_mul_f64 v[8:9], v[0:1], -v[18:19]
	v_mul_f64 v[10:11], v[16:17], v[0:1]
	v_mul_f64 v[4:5], v[6:7], -v[18:19]
	v_mul_f64 v[6:7], v[16:17], v[6:7]
	;; [unrolled: 2-line block ×3, first 2 shown]
	s_and_b64 s[0:1], vcc, s[0:1]
	v_fmac_f64_e32 v[8:9], v[16:17], v[36:37]
	v_fmac_f64_e32 v[10:11], v[18:19], v[36:37]
	;; [unrolled: 1-line block ×6, first 2 shown]
	s_waitcnt lgkmcnt(0)
	s_and_saveexec_b64 s[4:5], s[0:1]
	s_xor_b64 s[0:1], exec, s[4:5]
	s_cbranch_execz .LBB56_32
; %bb.31:
	v_mad_u64_u32 v[12:13], s[4:5], v20, 48, s[2:3]
	v_mov_b32_e32 v14, v13
	v_mad_u64_u32 v[14:15], s[4:5], v21, 48, v[14:15]
	v_mov_b32_e32 v13, v14
	global_store_dwordx4 v[12:13], v[8:11], off
	global_store_dwordx4 v[12:13], v[4:7], off offset:16
	global_store_dwordx4 v[12:13], v[0:3], off offset:32
                                        ; implicit-def: $vgpr12_vgpr13
                                        ; implicit-def: $vgpr14_vgpr15
                                        ; implicit-def: $vgpr20_vgpr21
                                        ; implicit-def: $vgpr8_vgpr9
                                        ; implicit-def: $vgpr4_vgpr5
                                        ; implicit-def: $vgpr0_vgpr1
.LBB56_32:
	s_andn2_saveexec_b64 s[0:1], s[0:1]
	s_cbranch_execz .LBB56_12
; %bb.33:
	v_mad_u64_u32 v[28:29], s[0:1], v20, 48, s[2:3]
	v_mov_b32_e32 v16, v29
	v_mad_u64_u32 v[16:17], s[0:1], v21, 48, v[16:17]
	v_mov_b32_e32 v29, v16
	global_load_dwordx4 v[16:19], v[28:29], off
	global_load_dwordx4 v[20:23], v[28:29], off offset:16
	global_load_dwordx4 v[24:27], v[28:29], off offset:32
	s_waitcnt vmcnt(2)
	v_fmac_f64_e32 v[8:9], v[12:13], v[16:17]
	v_fmac_f64_e32 v[10:11], v[14:15], v[16:17]
	s_waitcnt vmcnt(1)
	v_fmac_f64_e32 v[4:5], v[12:13], v[20:21]
	v_fmac_f64_e32 v[6:7], v[14:15], v[20:21]
	;; [unrolled: 3-line block ×3, first 2 shown]
	v_fma_f64 v[8:9], -v[14:15], v[18:19], v[8:9]
	v_fmac_f64_e32 v[10:11], v[12:13], v[18:19]
	v_fma_f64 v[4:5], -v[14:15], v[22:23], v[4:5]
	v_fmac_f64_e32 v[6:7], v[12:13], v[22:23]
	v_fma_f64 v[0:1], -v[14:15], v[26:27], v[0:1]
	v_fmac_f64_e32 v[2:3], v[12:13], v[26:27]
	global_store_dwordx4 v[28:29], v[8:11], off
	global_store_dwordx4 v[28:29], v[4:7], off offset:16
	global_store_dwordx4 v[28:29], v[0:3], off offset:32
	s_endpgm
	.section	.rodata,"a",@progbits
	.p2align	6, 0x0
	.amdhsa_kernel _ZN9rocsparseL18bsrxmvn_3x3_kernelILj256ELj8E21rocsparse_complex_numIdEllS2_S2_S2_EEvT3_20rocsparse_direction_NS_24const_host_device_scalarIT1_EES3_PKS3_PKT2_SC_S9_PKT4_PKT5_S7_PT6_21rocsparse_index_base_b
		.amdhsa_group_segment_fixed_size 4096
		.amdhsa_private_segment_fixed_size 0
		.amdhsa_kernarg_size 120
		.amdhsa_user_sgpr_count 4
		.amdhsa_user_sgpr_dispatch_ptr 1
		.amdhsa_user_sgpr_queue_ptr 0
		.amdhsa_user_sgpr_kernarg_segment_ptr 1
		.amdhsa_user_sgpr_dispatch_id 0
		.amdhsa_user_sgpr_kernarg_preload_length 0
		.amdhsa_user_sgpr_kernarg_preload_offset 0
		.amdhsa_user_sgpr_private_segment_size 0
		.amdhsa_uses_dynamic_stack 0
		.amdhsa_enable_private_segment 0
		.amdhsa_system_sgpr_workgroup_id_x 1
		.amdhsa_system_sgpr_workgroup_id_y 0
		.amdhsa_system_sgpr_workgroup_id_z 0
		.amdhsa_system_sgpr_workgroup_info 0
		.amdhsa_system_vgpr_workitem_id 2
		.amdhsa_next_free_vgpr 86
		.amdhsa_next_free_sgpr 22
		.amdhsa_accum_offset 88
		.amdhsa_reserve_vcc 1
		.amdhsa_float_round_mode_32 0
		.amdhsa_float_round_mode_16_64 0
		.amdhsa_float_denorm_mode_32 3
		.amdhsa_float_denorm_mode_16_64 3
		.amdhsa_dx10_clamp 1
		.amdhsa_ieee_mode 1
		.amdhsa_fp16_overflow 0
		.amdhsa_tg_split 0
		.amdhsa_exception_fp_ieee_invalid_op 0
		.amdhsa_exception_fp_denorm_src 0
		.amdhsa_exception_fp_ieee_div_zero 0
		.amdhsa_exception_fp_ieee_overflow 0
		.amdhsa_exception_fp_ieee_underflow 0
		.amdhsa_exception_fp_ieee_inexact 0
		.amdhsa_exception_int_div_zero 0
	.end_amdhsa_kernel
	.section	.text._ZN9rocsparseL18bsrxmvn_3x3_kernelILj256ELj8E21rocsparse_complex_numIdEllS2_S2_S2_EEvT3_20rocsparse_direction_NS_24const_host_device_scalarIT1_EES3_PKS3_PKT2_SC_S9_PKT4_PKT5_S7_PT6_21rocsparse_index_base_b,"axG",@progbits,_ZN9rocsparseL18bsrxmvn_3x3_kernelILj256ELj8E21rocsparse_complex_numIdEllS2_S2_S2_EEvT3_20rocsparse_direction_NS_24const_host_device_scalarIT1_EES3_PKS3_PKT2_SC_S9_PKT4_PKT5_S7_PT6_21rocsparse_index_base_b,comdat
.Lfunc_end56:
	.size	_ZN9rocsparseL18bsrxmvn_3x3_kernelILj256ELj8E21rocsparse_complex_numIdEllS2_S2_S2_EEvT3_20rocsparse_direction_NS_24const_host_device_scalarIT1_EES3_PKS3_PKT2_SC_S9_PKT4_PKT5_S7_PT6_21rocsparse_index_base_b, .Lfunc_end56-_ZN9rocsparseL18bsrxmvn_3x3_kernelILj256ELj8E21rocsparse_complex_numIdEllS2_S2_S2_EEvT3_20rocsparse_direction_NS_24const_host_device_scalarIT1_EES3_PKS3_PKT2_SC_S9_PKT4_PKT5_S7_PT6_21rocsparse_index_base_b
                                        ; -- End function
	.section	.AMDGPU.csdata,"",@progbits
; Kernel info:
; codeLenInByte = 2376
; NumSgprs: 28
; NumVgprs: 86
; NumAgprs: 0
; TotalNumVgprs: 86
; ScratchSize: 0
; MemoryBound: 1
; FloatMode: 240
; IeeeMode: 1
; LDSByteSize: 4096 bytes/workgroup (compile time only)
; SGPRBlocks: 3
; VGPRBlocks: 10
; NumSGPRsForWavesPerEU: 28
; NumVGPRsForWavesPerEU: 86
; AccumOffset: 88
; Occupancy: 5
; WaveLimiterHint : 1
; COMPUTE_PGM_RSRC2:SCRATCH_EN: 0
; COMPUTE_PGM_RSRC2:USER_SGPR: 4
; COMPUTE_PGM_RSRC2:TRAP_HANDLER: 0
; COMPUTE_PGM_RSRC2:TGID_X_EN: 1
; COMPUTE_PGM_RSRC2:TGID_Y_EN: 0
; COMPUTE_PGM_RSRC2:TGID_Z_EN: 0
; COMPUTE_PGM_RSRC2:TIDIG_COMP_CNT: 2
; COMPUTE_PGM_RSRC3_GFX90A:ACCUM_OFFSET: 21
; COMPUTE_PGM_RSRC3_GFX90A:TG_SPLIT: 0
	.section	.text._ZN9rocsparseL18bsrxmvn_3x3_kernelILj256ELj16E21rocsparse_complex_numIdEllS2_S2_S2_EEvT3_20rocsparse_direction_NS_24const_host_device_scalarIT1_EES3_PKS3_PKT2_SC_S9_PKT4_PKT5_S7_PT6_21rocsparse_index_base_b,"axG",@progbits,_ZN9rocsparseL18bsrxmvn_3x3_kernelILj256ELj16E21rocsparse_complex_numIdEllS2_S2_S2_EEvT3_20rocsparse_direction_NS_24const_host_device_scalarIT1_EES3_PKS3_PKT2_SC_S9_PKT4_PKT5_S7_PT6_21rocsparse_index_base_b,comdat
	.globl	_ZN9rocsparseL18bsrxmvn_3x3_kernelILj256ELj16E21rocsparse_complex_numIdEllS2_S2_S2_EEvT3_20rocsparse_direction_NS_24const_host_device_scalarIT1_EES3_PKS3_PKT2_SC_S9_PKT4_PKT5_S7_PT6_21rocsparse_index_base_b ; -- Begin function _ZN9rocsparseL18bsrxmvn_3x3_kernelILj256ELj16E21rocsparse_complex_numIdEllS2_S2_S2_EEvT3_20rocsparse_direction_NS_24const_host_device_scalarIT1_EES3_PKS3_PKT2_SC_S9_PKT4_PKT5_S7_PT6_21rocsparse_index_base_b
	.p2align	8
	.type	_ZN9rocsparseL18bsrxmvn_3x3_kernelILj256ELj16E21rocsparse_complex_numIdEllS2_S2_S2_EEvT3_20rocsparse_direction_NS_24const_host_device_scalarIT1_EES3_PKS3_PKT2_SC_S9_PKT4_PKT5_S7_PT6_21rocsparse_index_base_b,@function
_ZN9rocsparseL18bsrxmvn_3x3_kernelILj256ELj16E21rocsparse_complex_numIdEllS2_S2_S2_EEvT3_20rocsparse_direction_NS_24const_host_device_scalarIT1_EES3_PKS3_PKT2_SC_S9_PKT4_PKT5_S7_PT6_21rocsparse_index_base_b: ; @_ZN9rocsparseL18bsrxmvn_3x3_kernelILj256ELj16E21rocsparse_complex_numIdEllS2_S2_S2_EEvT3_20rocsparse_direction_NS_24const_host_device_scalarIT1_EES3_PKS3_PKT2_SC_S9_PKT4_PKT5_S7_PT6_21rocsparse_index_base_b
; %bb.0:
	s_load_dwordx2 s[16:17], s[2:3], 0x70
	s_load_dwordx4 s[12:15], s[2:3], 0x10
	s_load_dwordx2 s[18:19], s[0:1], 0x4
	s_load_dwordx4 s[8:11], s[2:3], 0x58
	s_mov_b64 s[6:7], src_shared_base
	v_and_b32_e32 v2, 0x3ff, v0
	s_waitcnt lgkmcnt(0)
	s_bitcmp1_b32 s17, 0
	s_cselect_b64 s[0:1], -1, 0
	s_and_b64 vcc, s[0:1], exec
	s_cselect_b32 s5, s7, s13
	s_lshr_b32 s6, s18, 16
	s_mul_i32 s6, s6, s19
	v_mul_lo_u32 v3, s6, v2
	v_bfe_u32 v4, v0, 10, 10
	v_mad_u32_u24 v3, v4, s19, v3
	v_bfe_u32 v0, v0, 20, 10
	v_add_lshl_u32 v0, v3, v0, 3
	v_mov_b32_e32 v1, s12
	v_add_u32_e32 v3, 0x800, v0
	v_mov_b64_e32 v[4:5], s[12:13]
	v_mov_b64_e32 v[6:7], s[8:9]
	ds_write2st64_b64 v0, v[6:7], v[4:5] offset1:4
	v_cndmask_b32_e64 v4, v1, v3, s[0:1]
	v_mov_b32_e32 v5, s5
	flat_load_dwordx2 v[16:17], v[4:5]
	s_xor_b64 s[18:19], s[0:1], -1
	v_mov_b64_e32 v[18:19], s[14:15]
	s_cbranch_vccnz .LBB57_2
; %bb.1:
	v_mov_b64_e32 v[4:5], s[12:13]
	flat_load_dwordx2 v[18:19], v[4:5] offset:8
.LBB57_2:
	s_and_b64 s[12:13], s[0:1], exec
	s_cselect_b32 s5, s7, s9
	v_mov_b32_e32 v1, s8
	v_cndmask_b32_e64 v0, v1, v0, s[0:1]
	v_mov_b32_e32 v1, s5
	flat_load_dwordx2 v[12:13], v[0:1]
	s_andn2_b64 vcc, exec, s[18:19]
	v_mov_b64_e32 v[14:15], s[10:11]
	s_cbranch_vccnz .LBB57_4
; %bb.3:
	v_mov_b64_e32 v[0:1], s[8:9]
	flat_load_dwordx2 v[14:15], v[0:1] offset:8
.LBB57_4:
	s_waitcnt vmcnt(0) lgkmcnt(0)
	v_cmp_eq_f64_e32 vcc, 0, v[16:17]
	v_cmp_eq_f64_e64 s[0:1], 0, v[18:19]
	s_and_b64 s[8:9], vcc, s[0:1]
	s_mov_b64 s[0:1], -1
	s_and_saveexec_b64 s[6:7], s[8:9]
; %bb.5:
	v_cmp_neq_f64_e32 vcc, 1.0, v[12:13]
	v_cmp_neq_f64_e64 s[0:1], 0, v[14:15]
	s_or_b64 s[0:1], vcc, s[0:1]
	s_orn2_b64 s[0:1], s[0:1], exec
; %bb.6:
	s_or_b64 exec, exec, s[6:7]
	s_and_saveexec_b64 s[6:7], s[0:1]
	s_cbranch_execz .LBB57_12
; %bb.7:
	s_load_dwordx2 s[6:7], s[2:3], 0x28
	v_lshrrev_b32_e32 v0, 4, v2
	v_lshl_or_b32 v0, s4, 4, v0
	v_mov_b32_e32 v1, 0
	s_mov_b64 s[0:1], 0
	s_waitcnt lgkmcnt(0)
	s_cmp_lg_u64 s[6:7], 0
	s_cbranch_scc0 .LBB57_13
; %bb.8:
	s_load_dwordx2 s[4:5], s[2:3], 0x20
                                        ; implicit-def: $vgpr20_vgpr21
	s_waitcnt lgkmcnt(0)
	v_cmp_gt_i64_e32 vcc, s[4:5], v[0:1]
	s_and_saveexec_b64 s[4:5], vcc
	s_xor_b64 s[4:5], exec, s[4:5]
                                        ; implicit-def: $sgpr12_sgpr13
	s_cbranch_execz .LBB57_10
; %bb.9:
	v_lshl_add_u64 v[4:5], v[0:1], 3, s[6:7]
	global_load_dwordx2 v[4:5], v[4:5], off
	s_mov_b64 s[0:1], exec
	s_mov_b32 s13, 0
	s_waitcnt vmcnt(0)
	v_subrev_co_u32_e32 v20, vcc, s16, v4
	s_nop 1
	v_subbrev_co_u32_e32 v21, vcc, 0, v5, vcc
.LBB57_10:
	s_or_b64 exec, exec, s[4:5]
.LBB57_11:
	s_and_b64 exec, exec, s[0:1]
	s_cbranch_execnz .LBB57_17
.LBB57_12:
	s_endpgm
.LBB57_13:
                                        ; implicit-def: $vgpr20_vgpr21
                                        ; implicit-def: $sgpr12_sgpr13
	s_cbranch_execz .LBB57_11
; %bb.14:
	s_load_dwordx2 s[4:5], s[2:3], 0x0
                                        ; implicit-def: $vgpr20_vgpr21
	s_waitcnt lgkmcnt(0)
	v_cmp_gt_i64_e32 vcc, s[4:5], v[0:1]
	s_and_saveexec_b64 s[4:5], vcc
                                        ; implicit-def: $sgpr12_sgpr13
; %bb.15:
	s_mov_b32 s13, 0
	s_or_b64 s[0:1], s[0:1], exec
	v_mov_b64_e32 v[20:21], v[0:1]
; %bb.16:
	s_or_b64 exec, exec, s[4:5]
	s_and_b64 exec, exec, s[0:1]
	s_cbranch_execz .LBB57_12
.LBB57_17:
	s_load_dwordx8 s[4:11], s[2:3], 0x30
	v_lshlrev_b64 v[0:1], 3, v[20:21]
	s_load_dword s0, s[2:3], 0x8
	v_mov_b32_e32 v8, s13
	s_waitcnt lgkmcnt(0)
	v_lshl_add_u64 v[4:5], s[4:5], 0, v[0:1]
	global_load_dwordx2 v[6:7], v[4:5], off
	s_cmp_eq_u64 s[6:7], 0
	v_lshl_add_u64 v[0:1], s[6:7], 0, v[0:1]
	v_lshl_add_u64 v[4:5], v[4:5], 0, 8
	s_cselect_b64 vcc, -1, 0
	v_cndmask_b32_e32 v1, v1, v5, vcc
	v_cndmask_b32_e32 v0, v0, v4, vcc
	global_load_dwordx2 v[4:5], v[0:1], off
	v_and_b32_e32 v0, 15, v2
	v_mov_b32_e32 v1, 0
	s_load_dwordx2 s[4:5], s[2:3], 0x50
	s_movk_i32 s6, 0x90
	v_mov_b64_e32 v[2:3], s[10:11]
	s_cmp_eq_u32 s0, 1
	s_waitcnt vmcnt(1)
	v_subrev_co_u32_e32 v6, vcc, s16, v6
	s_nop 1
	v_subb_co_u32_e32 v7, vcc, v7, v8, vcc
	v_lshl_add_u64 v[10:11], v[6:7], 0, v[0:1]
	v_mad_u64_u32 v[24:25], s[0:1], v10, s6, v[2:3]
	s_waitcnt vmcnt(0)
	v_subrev_co_u32_e32 v22, vcc, s16, v4
	v_mov_b32_e32 v2, v25
	s_nop 0
	v_subb_co_u32_e32 v23, vcc, v5, v8, vcc
	v_mad_u64_u32 v[2:3], s[0:1], v11, s6, v[2:3]
	v_mov_b32_e32 v25, v2
	v_cmp_lt_i64_e64 s[0:1], v[10:11], v[22:23]
	s_cbranch_scc1 .LBB57_23
; %bb.18:
	v_mov_b64_e32 v[4:5], 0
	s_mov_b64 s[6:7], 0
	v_mov_b64_e32 v[28:29], v[4:5]
	v_mov_b64_e32 v[8:9], v[4:5]
	;; [unrolled: 1-line block ×5, first 2 shown]
	s_and_saveexec_b64 s[10:11], s[0:1]
	s_cbranch_execz .LBB57_22
; %bb.19:
	v_mov_b64_e32 v[4:5], 0
	v_lshl_add_u64 v[30:31], v[10:11], 3, s[8:9]
	s_mov_b64 s[14:15], 0
	v_mov_b32_e32 v1, s13
	s_mov_b64 s[18:19], 0x900
	s_mov_b64 s[20:21], 0x80
	v_mov_b64_e32 v[32:33], v[10:11]
	v_mov_b64_e32 v[34:35], v[24:25]
	;; [unrolled: 1-line block ×7, first 2 shown]
.LBB57_20:                              ; =>This Inner Loop Header: Depth=1
	global_load_dwordx2 v[72:73], v[30:31], off
	global_load_dwordx4 v[36:39], v[34:35], off offset:48
	global_load_dwordx4 v[40:43], v[34:35], off offset:32
	;; [unrolled: 1-line block ×3, first 2 shown]
	global_load_dwordx4 v[48:51], v[34:35], off
	global_load_dwordx4 v[52:55], v[34:35], off offset:112
	global_load_dwordx4 v[56:59], v[34:35], off offset:96
	;; [unrolled: 1-line block ×5, first 2 shown]
	v_lshl_add_u64 v[32:33], v[32:33], 0, 16
	v_lshl_add_u64 v[34:35], v[34:35], 0, s[18:19]
	;; [unrolled: 1-line block ×3, first 2 shown]
	s_waitcnt vmcnt(9)
	v_subrev_co_u32_e32 v72, vcc, s16, v72
	s_waitcnt lgkmcnt(0)
	v_mad_u64_u32 v[84:85], s[22:23], v72, 48, s[4:5]
	v_subb_co_u32_e32 v73, vcc, v73, v1, vcc
	v_mov_b32_e32 v72, v85
	v_mad_u64_u32 v[72:73], s[22:23], v73, 48, v[72:73]
	v_mov_b32_e32 v85, v72
	global_load_dwordx4 v[72:75], v[84:85], off
	global_load_dwordx4 v[76:79], v[84:85], off offset:16
	global_load_dwordx4 v[80:83], v[84:85], off offset:32
	v_cmp_ge_i64_e32 vcc, v[32:33], v[22:23]
	s_or_b64 s[14:15], vcc, s[14:15]
	s_waitcnt vmcnt(2)
	v_fmac_f64_e32 v[28:29], v[48:49], v[72:73]
	v_fmac_f64_e32 v[4:5], v[50:51], v[72:73]
	v_fmac_f64_e32 v[26:27], v[36:37], v[72:73]
	v_fmac_f64_e32 v[6:7], v[38:39], v[72:73]
	v_fmac_f64_e32 v[8:9], v[56:57], v[72:73]
	v_fmac_f64_e32 v[2:3], v[58:59], v[72:73]
	v_fma_f64 v[28:29], -v[50:51], v[74:75], v[28:29]
	v_fmac_f64_e32 v[4:5], v[48:49], v[74:75]
	v_fma_f64 v[26:27], -v[38:39], v[74:75], v[26:27]
	v_fmac_f64_e32 v[6:7], v[36:37], v[74:75]
	v_fma_f64 v[8:9], -v[58:59], v[74:75], v[8:9]
	v_fmac_f64_e32 v[2:3], v[56:57], v[74:75]
	s_waitcnt vmcnt(1)
	v_fmac_f64_e32 v[28:29], v[44:45], v[76:77]
	v_fmac_f64_e32 v[4:5], v[46:47], v[76:77]
	v_fmac_f64_e32 v[26:27], v[64:65], v[76:77]
	v_fmac_f64_e32 v[6:7], v[66:67], v[76:77]
	v_fmac_f64_e32 v[8:9], v[52:53], v[76:77]
	v_fmac_f64_e32 v[2:3], v[54:55], v[76:77]
	v_fma_f64 v[28:29], -v[46:47], v[78:79], v[28:29]
	v_fmac_f64_e32 v[4:5], v[44:45], v[78:79]
	v_fma_f64 v[26:27], -v[66:67], v[78:79], v[26:27]
	v_fmac_f64_e32 v[6:7], v[64:65], v[78:79]
	v_fma_f64 v[8:9], -v[54:55], v[78:79], v[8:9]
	v_fmac_f64_e32 v[2:3], v[52:53], v[78:79]
	;; [unrolled: 13-line block ×3, first 2 shown]
	s_andn2_b64 exec, exec, s[14:15]
	s_cbranch_execnz .LBB57_20
; %bb.21:
	s_or_b64 exec, exec, s[14:15]
.LBB57_22:
	s_or_b64 exec, exec, s[10:11]
	s_andn2_b64 vcc, exec, s[6:7]
	s_cbranch_vccz .LBB57_24
	s_branch .LBB57_29
.LBB57_23:
                                        ; implicit-def: $vgpr4_vgpr5
                                        ; implicit-def: $vgpr28_vgpr29
                                        ; implicit-def: $vgpr8_vgpr9
                                        ; implicit-def: $vgpr2_vgpr3
                                        ; implicit-def: $vgpr26_vgpr27
                                        ; implicit-def: $vgpr6_vgpr7
.LBB57_24:
	v_mov_b64_e32 v[4:5], 0
	v_mov_b64_e32 v[28:29], v[4:5]
	;; [unrolled: 1-line block ×6, first 2 shown]
	s_and_saveexec_b64 s[6:7], s[0:1]
	s_cbranch_execz .LBB57_28
; %bb.25:
	v_mov_b64_e32 v[4:5], 0
	v_lshl_add_u64 v[30:31], v[10:11], 3, s[8:9]
	s_mov_b64 s[0:1], 0
	v_mov_b32_e32 v1, s13
	s_mov_b64 s[8:9], 0x900
	s_mov_b64 s[10:11], 0x80
	v_mov_b64_e32 v[28:29], v[4:5]
	v_mov_b64_e32 v[8:9], v[4:5]
	;; [unrolled: 1-line block ×5, first 2 shown]
.LBB57_26:                              ; =>This Inner Loop Header: Depth=1
	global_load_dwordx2 v[68:69], v[30:31], off
	global_load_dwordx4 v[32:35], v[24:25], off offset:48
	global_load_dwordx4 v[36:39], v[24:25], off offset:32
	;; [unrolled: 1-line block ×3, first 2 shown]
	global_load_dwordx4 v[44:47], v[24:25], off
	global_load_dwordx4 v[48:51], v[24:25], off offset:112
	global_load_dwordx4 v[52:55], v[24:25], off offset:96
	global_load_dwordx4 v[56:59], v[24:25], off offset:80
	global_load_dwordx4 v[60:63], v[24:25], off offset:64
	global_load_dwordx4 v[64:67], v[24:25], off offset:128
	v_lshl_add_u64 v[10:11], v[10:11], 0, 16
	v_lshl_add_u64 v[24:25], v[24:25], 0, s[8:9]
	;; [unrolled: 1-line block ×3, first 2 shown]
	s_waitcnt vmcnt(9)
	v_subrev_co_u32_e32 v68, vcc, s16, v68
	s_waitcnt lgkmcnt(0)
	v_mad_u64_u32 v[80:81], s[12:13], v68, 48, s[4:5]
	v_subb_co_u32_e32 v69, vcc, v69, v1, vcc
	v_mov_b32_e32 v68, v81
	v_mad_u64_u32 v[68:69], s[12:13], v69, 48, v[68:69]
	v_mov_b32_e32 v81, v68
	global_load_dwordx4 v[68:71], v[80:81], off
	global_load_dwordx4 v[72:75], v[80:81], off offset:16
	global_load_dwordx4 v[76:79], v[80:81], off offset:32
	v_cmp_ge_i64_e32 vcc, v[10:11], v[22:23]
	s_or_b64 s[0:1], vcc, s[0:1]
	s_waitcnt vmcnt(2)
	v_fmac_f64_e32 v[28:29], v[44:45], v[68:69]
	v_fmac_f64_e32 v[4:5], v[46:47], v[68:69]
	v_fmac_f64_e32 v[26:27], v[40:41], v[68:69]
	v_fmac_f64_e32 v[6:7], v[42:43], v[68:69]
	v_fmac_f64_e32 v[8:9], v[36:37], v[68:69]
	v_fmac_f64_e32 v[2:3], v[38:39], v[68:69]
	v_fma_f64 v[28:29], -v[46:47], v[70:71], v[28:29]
	v_fmac_f64_e32 v[4:5], v[44:45], v[70:71]
	v_fma_f64 v[26:27], -v[42:43], v[70:71], v[26:27]
	v_fmac_f64_e32 v[6:7], v[40:41], v[70:71]
	v_fma_f64 v[8:9], -v[38:39], v[70:71], v[8:9]
	v_fmac_f64_e32 v[2:3], v[36:37], v[70:71]
	s_waitcnt vmcnt(1)
	v_fmac_f64_e32 v[28:29], v[32:33], v[72:73]
	v_fmac_f64_e32 v[4:5], v[34:35], v[72:73]
	v_fmac_f64_e32 v[26:27], v[60:61], v[72:73]
	v_fmac_f64_e32 v[6:7], v[62:63], v[72:73]
	v_fmac_f64_e32 v[8:9], v[56:57], v[72:73]
	v_fmac_f64_e32 v[2:3], v[58:59], v[72:73]
	v_fma_f64 v[28:29], -v[34:35], v[74:75], v[28:29]
	v_fmac_f64_e32 v[4:5], v[32:33], v[74:75]
	v_fma_f64 v[26:27], -v[62:63], v[74:75], v[26:27]
	v_fmac_f64_e32 v[6:7], v[60:61], v[74:75]
	v_fma_f64 v[8:9], -v[58:59], v[74:75], v[8:9]
	v_fmac_f64_e32 v[2:3], v[56:57], v[74:75]
	;; [unrolled: 13-line block ×3, first 2 shown]
	s_andn2_b64 exec, exec, s[0:1]
	s_cbranch_execnz .LBB57_26
; %bb.27:
	s_or_b64 exec, exec, s[0:1]
.LBB57_28:
	s_or_b64 exec, exec, s[6:7]
.LBB57_29:
	v_mov_b32_dpp v10, v28 row_shr:1 row_mask:0xf bank_mask:0xf
	v_mov_b32_dpp v11, v29 row_shr:1 row_mask:0xf bank_mask:0xf
	v_add_f64 v[10:11], v[28:29], v[10:11]
	v_mov_b32_dpp v24, v4 row_shr:1 row_mask:0xf bank_mask:0xf
	v_mov_b32_dpp v25, v5 row_shr:1 row_mask:0xf bank_mask:0xf
	;; [unrolled: 1-line block ×10, first 2 shown]
	v_add_f64 v[4:5], v[4:5], v[24:25]
	v_add_f64 v[26:27], v[26:27], v[28:29]
	;; [unrolled: 1-line block ×5, first 2 shown]
	v_mov_b32_dpp v22, v10 row_shr:2 row_mask:0xf bank_mask:0xf
	v_mov_b32_dpp v23, v11 row_shr:2 row_mask:0xf bank_mask:0xf
	;; [unrolled: 1-line block ×12, first 2 shown]
	v_add_f64 v[10:11], v[10:11], v[22:23]
	v_add_f64 v[4:5], v[4:5], v[24:25]
	;; [unrolled: 1-line block ×6, first 2 shown]
	v_mov_b32_dpp v22, v10 row_shr:4 row_mask:0xf bank_mask:0xe
	v_mov_b32_dpp v23, v11 row_shr:4 row_mask:0xf bank_mask:0xe
	;; [unrolled: 1-line block ×12, first 2 shown]
	v_add_f64 v[10:11], v[10:11], v[22:23]
	v_add_f64 v[4:5], v[4:5], v[24:25]
	;; [unrolled: 1-line block ×6, first 2 shown]
	v_mov_b32_dpp v22, v10 row_shr:8 row_mask:0xf bank_mask:0xc
	v_mov_b32_dpp v23, v11 row_shr:8 row_mask:0xf bank_mask:0xc
	;; [unrolled: 1-line block ×12, first 2 shown]
	v_cmp_eq_u32_e32 vcc, 15, v0
	s_and_b64 exec, exec, vcc
	s_cbranch_execz .LBB57_12
; %bb.30:
	s_load_dwordx2 s[2:3], s[2:3], 0x68
	v_add_f64 v[0:1], v[4:5], v[24:25]
	v_add_f64 v[6:7], v[6:7], v[30:31]
	;; [unrolled: 1-line block ×6, first 2 shown]
	v_cmp_eq_f64_e32 vcc, 0, v[12:13]
	v_cmp_eq_f64_e64 s[0:1], 0, v[14:15]
	v_mul_f64 v[8:9], v[0:1], -v[18:19]
	v_mul_f64 v[10:11], v[16:17], v[0:1]
	v_mul_f64 v[4:5], v[6:7], -v[18:19]
	v_mul_f64 v[6:7], v[16:17], v[6:7]
	;; [unrolled: 2-line block ×3, first 2 shown]
	s_and_b64 s[0:1], vcc, s[0:1]
	v_fmac_f64_e32 v[8:9], v[16:17], v[22:23]
	v_fmac_f64_e32 v[10:11], v[18:19], v[22:23]
	;; [unrolled: 1-line block ×6, first 2 shown]
	s_waitcnt lgkmcnt(0)
	s_and_saveexec_b64 s[4:5], s[0:1]
	s_xor_b64 s[0:1], exec, s[4:5]
	s_cbranch_execz .LBB57_32
; %bb.31:
	v_mad_u64_u32 v[12:13], s[4:5], v20, 48, s[2:3]
	v_mov_b32_e32 v14, v13
	v_mad_u64_u32 v[14:15], s[4:5], v21, 48, v[14:15]
	v_mov_b32_e32 v13, v14
	global_store_dwordx4 v[12:13], v[8:11], off
	global_store_dwordx4 v[12:13], v[4:7], off offset:16
	global_store_dwordx4 v[12:13], v[0:3], off offset:32
                                        ; implicit-def: $vgpr12_vgpr13
                                        ; implicit-def: $vgpr14_vgpr15
                                        ; implicit-def: $vgpr20_vgpr21
                                        ; implicit-def: $vgpr8_vgpr9
                                        ; implicit-def: $vgpr4_vgpr5
                                        ; implicit-def: $vgpr0_vgpr1
.LBB57_32:
	s_andn2_saveexec_b64 s[0:1], s[0:1]
	s_cbranch_execz .LBB57_12
; %bb.33:
	v_mad_u64_u32 v[28:29], s[0:1], v20, 48, s[2:3]
	v_mov_b32_e32 v16, v29
	v_mad_u64_u32 v[16:17], s[0:1], v21, 48, v[16:17]
	v_mov_b32_e32 v29, v16
	global_load_dwordx4 v[16:19], v[28:29], off
	global_load_dwordx4 v[20:23], v[28:29], off offset:16
	global_load_dwordx4 v[24:27], v[28:29], off offset:32
	s_waitcnt vmcnt(2)
	v_fmac_f64_e32 v[8:9], v[12:13], v[16:17]
	v_fmac_f64_e32 v[10:11], v[14:15], v[16:17]
	s_waitcnt vmcnt(1)
	v_fmac_f64_e32 v[4:5], v[12:13], v[20:21]
	v_fmac_f64_e32 v[6:7], v[14:15], v[20:21]
	;; [unrolled: 3-line block ×3, first 2 shown]
	v_fma_f64 v[8:9], -v[14:15], v[18:19], v[8:9]
	v_fmac_f64_e32 v[10:11], v[12:13], v[18:19]
	v_fma_f64 v[4:5], -v[14:15], v[22:23], v[4:5]
	v_fmac_f64_e32 v[6:7], v[12:13], v[22:23]
	;; [unrolled: 2-line block ×3, first 2 shown]
	global_store_dwordx4 v[28:29], v[8:11], off
	global_store_dwordx4 v[28:29], v[4:7], off offset:16
	global_store_dwordx4 v[28:29], v[0:3], off offset:32
	s_endpgm
	.section	.rodata,"a",@progbits
	.p2align	6, 0x0
	.amdhsa_kernel _ZN9rocsparseL18bsrxmvn_3x3_kernelILj256ELj16E21rocsparse_complex_numIdEllS2_S2_S2_EEvT3_20rocsparse_direction_NS_24const_host_device_scalarIT1_EES3_PKS3_PKT2_SC_S9_PKT4_PKT5_S7_PT6_21rocsparse_index_base_b
		.amdhsa_group_segment_fixed_size 4096
		.amdhsa_private_segment_fixed_size 0
		.amdhsa_kernarg_size 120
		.amdhsa_user_sgpr_count 4
		.amdhsa_user_sgpr_dispatch_ptr 1
		.amdhsa_user_sgpr_queue_ptr 0
		.amdhsa_user_sgpr_kernarg_segment_ptr 1
		.amdhsa_user_sgpr_dispatch_id 0
		.amdhsa_user_sgpr_kernarg_preload_length 0
		.amdhsa_user_sgpr_kernarg_preload_offset 0
		.amdhsa_user_sgpr_private_segment_size 0
		.amdhsa_uses_dynamic_stack 0
		.amdhsa_enable_private_segment 0
		.amdhsa_system_sgpr_workgroup_id_x 1
		.amdhsa_system_sgpr_workgroup_id_y 0
		.amdhsa_system_sgpr_workgroup_id_z 0
		.amdhsa_system_sgpr_workgroup_info 0
		.amdhsa_system_vgpr_workitem_id 2
		.amdhsa_next_free_vgpr 86
		.amdhsa_next_free_sgpr 24
		.amdhsa_accum_offset 88
		.amdhsa_reserve_vcc 1
		.amdhsa_float_round_mode_32 0
		.amdhsa_float_round_mode_16_64 0
		.amdhsa_float_denorm_mode_32 3
		.amdhsa_float_denorm_mode_16_64 3
		.amdhsa_dx10_clamp 1
		.amdhsa_ieee_mode 1
		.amdhsa_fp16_overflow 0
		.amdhsa_tg_split 0
		.amdhsa_exception_fp_ieee_invalid_op 0
		.amdhsa_exception_fp_denorm_src 0
		.amdhsa_exception_fp_ieee_div_zero 0
		.amdhsa_exception_fp_ieee_overflow 0
		.amdhsa_exception_fp_ieee_underflow 0
		.amdhsa_exception_fp_ieee_inexact 0
		.amdhsa_exception_int_div_zero 0
	.end_amdhsa_kernel
	.section	.text._ZN9rocsparseL18bsrxmvn_3x3_kernelILj256ELj16E21rocsparse_complex_numIdEllS2_S2_S2_EEvT3_20rocsparse_direction_NS_24const_host_device_scalarIT1_EES3_PKS3_PKT2_SC_S9_PKT4_PKT5_S7_PT6_21rocsparse_index_base_b,"axG",@progbits,_ZN9rocsparseL18bsrxmvn_3x3_kernelILj256ELj16E21rocsparse_complex_numIdEllS2_S2_S2_EEvT3_20rocsparse_direction_NS_24const_host_device_scalarIT1_EES3_PKS3_PKT2_SC_S9_PKT4_PKT5_S7_PT6_21rocsparse_index_base_b,comdat
.Lfunc_end57:
	.size	_ZN9rocsparseL18bsrxmvn_3x3_kernelILj256ELj16E21rocsparse_complex_numIdEllS2_S2_S2_EEvT3_20rocsparse_direction_NS_24const_host_device_scalarIT1_EES3_PKS3_PKT2_SC_S9_PKT4_PKT5_S7_PT6_21rocsparse_index_base_b, .Lfunc_end57-_ZN9rocsparseL18bsrxmvn_3x3_kernelILj256ELj16E21rocsparse_complex_numIdEllS2_S2_S2_EEvT3_20rocsparse_direction_NS_24const_host_device_scalarIT1_EES3_PKS3_PKT2_SC_S9_PKT4_PKT5_S7_PT6_21rocsparse_index_base_b
                                        ; -- End function
	.section	.AMDGPU.csdata,"",@progbits
; Kernel info:
; codeLenInByte = 2536
; NumSgprs: 30
; NumVgprs: 86
; NumAgprs: 0
; TotalNumVgprs: 86
; ScratchSize: 0
; MemoryBound: 1
; FloatMode: 240
; IeeeMode: 1
; LDSByteSize: 4096 bytes/workgroup (compile time only)
; SGPRBlocks: 3
; VGPRBlocks: 10
; NumSGPRsForWavesPerEU: 30
; NumVGPRsForWavesPerEU: 86
; AccumOffset: 88
; Occupancy: 5
; WaveLimiterHint : 1
; COMPUTE_PGM_RSRC2:SCRATCH_EN: 0
; COMPUTE_PGM_RSRC2:USER_SGPR: 4
; COMPUTE_PGM_RSRC2:TRAP_HANDLER: 0
; COMPUTE_PGM_RSRC2:TGID_X_EN: 1
; COMPUTE_PGM_RSRC2:TGID_Y_EN: 0
; COMPUTE_PGM_RSRC2:TGID_Z_EN: 0
; COMPUTE_PGM_RSRC2:TIDIG_COMP_CNT: 2
; COMPUTE_PGM_RSRC3_GFX90A:ACCUM_OFFSET: 21
; COMPUTE_PGM_RSRC3_GFX90A:TG_SPLIT: 0
	.section	.text._ZN9rocsparseL18bsrxmvn_3x3_kernelILj256ELj32E21rocsparse_complex_numIdEllS2_S2_S2_EEvT3_20rocsparse_direction_NS_24const_host_device_scalarIT1_EES3_PKS3_PKT2_SC_S9_PKT4_PKT5_S7_PT6_21rocsparse_index_base_b,"axG",@progbits,_ZN9rocsparseL18bsrxmvn_3x3_kernelILj256ELj32E21rocsparse_complex_numIdEllS2_S2_S2_EEvT3_20rocsparse_direction_NS_24const_host_device_scalarIT1_EES3_PKS3_PKT2_SC_S9_PKT4_PKT5_S7_PT6_21rocsparse_index_base_b,comdat
	.globl	_ZN9rocsparseL18bsrxmvn_3x3_kernelILj256ELj32E21rocsparse_complex_numIdEllS2_S2_S2_EEvT3_20rocsparse_direction_NS_24const_host_device_scalarIT1_EES3_PKS3_PKT2_SC_S9_PKT4_PKT5_S7_PT6_21rocsparse_index_base_b ; -- Begin function _ZN9rocsparseL18bsrxmvn_3x3_kernelILj256ELj32E21rocsparse_complex_numIdEllS2_S2_S2_EEvT3_20rocsparse_direction_NS_24const_host_device_scalarIT1_EES3_PKS3_PKT2_SC_S9_PKT4_PKT5_S7_PT6_21rocsparse_index_base_b
	.p2align	8
	.type	_ZN9rocsparseL18bsrxmvn_3x3_kernelILj256ELj32E21rocsparse_complex_numIdEllS2_S2_S2_EEvT3_20rocsparse_direction_NS_24const_host_device_scalarIT1_EES3_PKS3_PKT2_SC_S9_PKT4_PKT5_S7_PT6_21rocsparse_index_base_b,@function
_ZN9rocsparseL18bsrxmvn_3x3_kernelILj256ELj32E21rocsparse_complex_numIdEllS2_S2_S2_EEvT3_20rocsparse_direction_NS_24const_host_device_scalarIT1_EES3_PKS3_PKT2_SC_S9_PKT4_PKT5_S7_PT6_21rocsparse_index_base_b: ; @_ZN9rocsparseL18bsrxmvn_3x3_kernelILj256ELj32E21rocsparse_complex_numIdEllS2_S2_S2_EEvT3_20rocsparse_direction_NS_24const_host_device_scalarIT1_EES3_PKS3_PKT2_SC_S9_PKT4_PKT5_S7_PT6_21rocsparse_index_base_b
; %bb.0:
	s_load_dwordx2 s[16:17], s[2:3], 0x70
	s_load_dwordx4 s[12:15], s[2:3], 0x10
	s_load_dwordx2 s[18:19], s[0:1], 0x4
	s_load_dwordx4 s[8:11], s[2:3], 0x58
	s_mov_b64 s[6:7], src_shared_base
	v_and_b32_e32 v2, 0x3ff, v0
	s_waitcnt lgkmcnt(0)
	s_bitcmp1_b32 s17, 0
	s_cselect_b64 s[0:1], -1, 0
	s_and_b64 vcc, s[0:1], exec
	s_cselect_b32 s5, s7, s13
	s_lshr_b32 s6, s18, 16
	s_mul_i32 s6, s6, s19
	v_mul_lo_u32 v3, s6, v2
	v_bfe_u32 v4, v0, 10, 10
	v_mad_u32_u24 v3, v4, s19, v3
	v_bfe_u32 v0, v0, 20, 10
	v_add_lshl_u32 v0, v3, v0, 3
	v_mov_b32_e32 v1, s12
	v_add_u32_e32 v3, 0x800, v0
	v_mov_b64_e32 v[4:5], s[12:13]
	v_mov_b64_e32 v[6:7], s[8:9]
	ds_write2st64_b64 v0, v[6:7], v[4:5] offset1:4
	v_cndmask_b32_e64 v4, v1, v3, s[0:1]
	v_mov_b32_e32 v5, s5
	flat_load_dwordx2 v[16:17], v[4:5]
	s_xor_b64 s[18:19], s[0:1], -1
	v_mov_b64_e32 v[18:19], s[14:15]
	s_cbranch_vccnz .LBB58_2
; %bb.1:
	v_mov_b64_e32 v[4:5], s[12:13]
	flat_load_dwordx2 v[18:19], v[4:5] offset:8
.LBB58_2:
	s_and_b64 s[12:13], s[0:1], exec
	s_cselect_b32 s5, s7, s9
	v_mov_b32_e32 v1, s8
	v_cndmask_b32_e64 v0, v1, v0, s[0:1]
	v_mov_b32_e32 v1, s5
	flat_load_dwordx2 v[12:13], v[0:1]
	s_andn2_b64 vcc, exec, s[18:19]
	v_mov_b64_e32 v[14:15], s[10:11]
	s_cbranch_vccnz .LBB58_4
; %bb.3:
	v_mov_b64_e32 v[0:1], s[8:9]
	flat_load_dwordx2 v[14:15], v[0:1] offset:8
.LBB58_4:
	s_waitcnt vmcnt(0) lgkmcnt(0)
	v_cmp_eq_f64_e32 vcc, 0, v[16:17]
	v_cmp_eq_f64_e64 s[0:1], 0, v[18:19]
	s_and_b64 s[8:9], vcc, s[0:1]
	s_mov_b64 s[0:1], -1
	s_and_saveexec_b64 s[6:7], s[8:9]
; %bb.5:
	v_cmp_neq_f64_e32 vcc, 1.0, v[12:13]
	v_cmp_neq_f64_e64 s[0:1], 0, v[14:15]
	s_or_b64 s[0:1], vcc, s[0:1]
	s_orn2_b64 s[0:1], s[0:1], exec
; %bb.6:
	s_or_b64 exec, exec, s[6:7]
	s_and_saveexec_b64 s[6:7], s[0:1]
	s_cbranch_execz .LBB58_12
; %bb.7:
	s_load_dwordx2 s[6:7], s[2:3], 0x28
	v_lshrrev_b32_e32 v0, 5, v2
	v_lshl_or_b32 v0, s4, 3, v0
	v_mov_b32_e32 v1, 0
	s_mov_b64 s[0:1], 0
	s_waitcnt lgkmcnt(0)
	s_cmp_lg_u64 s[6:7], 0
	s_cbranch_scc0 .LBB58_13
; %bb.8:
	s_load_dwordx2 s[4:5], s[2:3], 0x20
                                        ; implicit-def: $vgpr20_vgpr21
	s_waitcnt lgkmcnt(0)
	v_cmp_gt_i64_e32 vcc, s[4:5], v[0:1]
	s_and_saveexec_b64 s[4:5], vcc
	s_xor_b64 s[4:5], exec, s[4:5]
                                        ; implicit-def: $sgpr12_sgpr13
	s_cbranch_execz .LBB58_10
; %bb.9:
	v_lshl_add_u64 v[4:5], v[0:1], 3, s[6:7]
	global_load_dwordx2 v[4:5], v[4:5], off
	s_mov_b64 s[0:1], exec
	s_mov_b32 s13, 0
	s_waitcnt vmcnt(0)
	v_subrev_co_u32_e32 v20, vcc, s16, v4
	s_nop 1
	v_subbrev_co_u32_e32 v21, vcc, 0, v5, vcc
.LBB58_10:
	s_or_b64 exec, exec, s[4:5]
.LBB58_11:
	s_and_b64 exec, exec, s[0:1]
	s_cbranch_execnz .LBB58_17
.LBB58_12:
	s_endpgm
.LBB58_13:
                                        ; implicit-def: $vgpr20_vgpr21
                                        ; implicit-def: $sgpr12_sgpr13
	s_cbranch_execz .LBB58_11
; %bb.14:
	s_load_dwordx2 s[4:5], s[2:3], 0x0
                                        ; implicit-def: $vgpr20_vgpr21
	s_waitcnt lgkmcnt(0)
	v_cmp_gt_i64_e32 vcc, s[4:5], v[0:1]
	s_and_saveexec_b64 s[4:5], vcc
                                        ; implicit-def: $sgpr12_sgpr13
; %bb.15:
	s_mov_b32 s13, 0
	s_or_b64 s[0:1], s[0:1], exec
	v_mov_b64_e32 v[20:21], v[0:1]
; %bb.16:
	s_or_b64 exec, exec, s[4:5]
	s_and_b64 exec, exec, s[0:1]
	s_cbranch_execz .LBB58_12
.LBB58_17:
	s_load_dwordx8 s[4:11], s[2:3], 0x30
	v_lshlrev_b64 v[0:1], 3, v[20:21]
	s_load_dword s0, s[2:3], 0x8
	v_mov_b32_e32 v8, s13
	s_waitcnt lgkmcnt(0)
	v_lshl_add_u64 v[4:5], s[4:5], 0, v[0:1]
	global_load_dwordx2 v[6:7], v[4:5], off
	s_cmp_eq_u64 s[6:7], 0
	v_lshl_add_u64 v[0:1], s[6:7], 0, v[0:1]
	v_lshl_add_u64 v[4:5], v[4:5], 0, 8
	s_cselect_b64 vcc, -1, 0
	v_cndmask_b32_e32 v1, v1, v5, vcc
	v_cndmask_b32_e32 v0, v0, v4, vcc
	global_load_dwordx2 v[4:5], v[0:1], off
	v_and_b32_e32 v0, 31, v2
	v_mov_b32_e32 v1, 0
	s_load_dwordx2 s[4:5], s[2:3], 0x50
	s_movk_i32 s6, 0x90
	v_mov_b64_e32 v[2:3], s[10:11]
	s_cmp_eq_u32 s0, 1
	s_waitcnt vmcnt(1)
	v_subrev_co_u32_e32 v6, vcc, s16, v6
	s_nop 1
	v_subb_co_u32_e32 v7, vcc, v7, v8, vcc
	v_lshl_add_u64 v[10:11], v[6:7], 0, v[0:1]
	v_mad_u64_u32 v[24:25], s[0:1], v10, s6, v[2:3]
	s_waitcnt vmcnt(0)
	v_subrev_co_u32_e32 v22, vcc, s16, v4
	v_mov_b32_e32 v2, v25
	s_nop 0
	v_subb_co_u32_e32 v23, vcc, v5, v8, vcc
	v_mad_u64_u32 v[2:3], s[0:1], v11, s6, v[2:3]
	v_mov_b32_e32 v25, v2
	v_cmp_lt_i64_e64 s[0:1], v[10:11], v[22:23]
	s_cbranch_scc1 .LBB58_23
; %bb.18:
	v_mov_b64_e32 v[6:7], 0
	s_mov_b64 s[6:7], 0
	v_mov_b64_e32 v[28:29], v[6:7]
	v_mov_b64_e32 v[8:9], v[6:7]
	;; [unrolled: 1-line block ×5, first 2 shown]
	s_and_saveexec_b64 s[10:11], s[0:1]
	s_cbranch_execz .LBB58_22
; %bb.19:
	v_mov_b64_e32 v[6:7], 0
	v_lshl_add_u64 v[30:31], v[10:11], 3, s[8:9]
	s_mov_b64 s[14:15], 0
	v_mov_b32_e32 v1, s13
	s_mov_b64 s[18:19], 0x1200
	s_mov_b64 s[20:21], 0x100
	v_mov_b64_e32 v[32:33], v[10:11]
	v_mov_b64_e32 v[34:35], v[24:25]
	;; [unrolled: 1-line block ×7, first 2 shown]
.LBB58_20:                              ; =>This Inner Loop Header: Depth=1
	global_load_dwordx2 v[72:73], v[30:31], off
	global_load_dwordx4 v[36:39], v[34:35], off offset:48
	global_load_dwordx4 v[40:43], v[34:35], off offset:32
	;; [unrolled: 1-line block ×3, first 2 shown]
	global_load_dwordx4 v[48:51], v[34:35], off
	global_load_dwordx4 v[52:55], v[34:35], off offset:112
	global_load_dwordx4 v[56:59], v[34:35], off offset:96
	;; [unrolled: 1-line block ×5, first 2 shown]
	v_lshl_add_u64 v[32:33], v[32:33], 0, 32
	v_lshl_add_u64 v[34:35], v[34:35], 0, s[18:19]
	;; [unrolled: 1-line block ×3, first 2 shown]
	s_waitcnt vmcnt(9)
	v_subrev_co_u32_e32 v72, vcc, s16, v72
	s_waitcnt lgkmcnt(0)
	v_mad_u64_u32 v[84:85], s[22:23], v72, 48, s[4:5]
	v_subb_co_u32_e32 v73, vcc, v73, v1, vcc
	v_mov_b32_e32 v72, v85
	v_mad_u64_u32 v[72:73], s[22:23], v73, 48, v[72:73]
	v_mov_b32_e32 v85, v72
	global_load_dwordx4 v[72:75], v[84:85], off
	global_load_dwordx4 v[76:79], v[84:85], off offset:16
	global_load_dwordx4 v[80:83], v[84:85], off offset:32
	v_cmp_ge_i64_e32 vcc, v[32:33], v[22:23]
	s_or_b64 s[14:15], vcc, s[14:15]
	s_waitcnt vmcnt(2)
	v_fmac_f64_e32 v[28:29], v[48:49], v[72:73]
	v_fmac_f64_e32 v[6:7], v[50:51], v[72:73]
	v_fmac_f64_e32 v[26:27], v[36:37], v[72:73]
	v_fmac_f64_e32 v[4:5], v[38:39], v[72:73]
	v_fmac_f64_e32 v[8:9], v[56:57], v[72:73]
	v_fmac_f64_e32 v[2:3], v[58:59], v[72:73]
	v_fma_f64 v[28:29], -v[50:51], v[74:75], v[28:29]
	v_fmac_f64_e32 v[6:7], v[48:49], v[74:75]
	v_fma_f64 v[26:27], -v[38:39], v[74:75], v[26:27]
	v_fmac_f64_e32 v[4:5], v[36:37], v[74:75]
	v_fma_f64 v[8:9], -v[58:59], v[74:75], v[8:9]
	v_fmac_f64_e32 v[2:3], v[56:57], v[74:75]
	s_waitcnt vmcnt(1)
	v_fmac_f64_e32 v[28:29], v[44:45], v[76:77]
	v_fmac_f64_e32 v[6:7], v[46:47], v[76:77]
	v_fmac_f64_e32 v[26:27], v[64:65], v[76:77]
	v_fmac_f64_e32 v[4:5], v[66:67], v[76:77]
	v_fmac_f64_e32 v[8:9], v[52:53], v[76:77]
	v_fmac_f64_e32 v[2:3], v[54:55], v[76:77]
	v_fma_f64 v[28:29], -v[46:47], v[78:79], v[28:29]
	v_fmac_f64_e32 v[6:7], v[44:45], v[78:79]
	v_fma_f64 v[26:27], -v[66:67], v[78:79], v[26:27]
	v_fmac_f64_e32 v[4:5], v[64:65], v[78:79]
	v_fma_f64 v[8:9], -v[54:55], v[78:79], v[8:9]
	v_fmac_f64_e32 v[2:3], v[52:53], v[78:79]
	;; [unrolled: 13-line block ×3, first 2 shown]
	s_andn2_b64 exec, exec, s[14:15]
	s_cbranch_execnz .LBB58_20
; %bb.21:
	s_or_b64 exec, exec, s[14:15]
.LBB58_22:
	s_or_b64 exec, exec, s[10:11]
	s_andn2_b64 vcc, exec, s[6:7]
	s_cbranch_vccz .LBB58_24
	s_branch .LBB58_29
.LBB58_23:
                                        ; implicit-def: $vgpr6_vgpr7
                                        ; implicit-def: $vgpr28_vgpr29
                                        ; implicit-def: $vgpr8_vgpr9
                                        ; implicit-def: $vgpr2_vgpr3
                                        ; implicit-def: $vgpr26_vgpr27
                                        ; implicit-def: $vgpr4_vgpr5
.LBB58_24:
	v_mov_b64_e32 v[6:7], 0
	v_mov_b64_e32 v[28:29], v[6:7]
	;; [unrolled: 1-line block ×6, first 2 shown]
	s_and_saveexec_b64 s[6:7], s[0:1]
	s_cbranch_execz .LBB58_28
; %bb.25:
	v_mov_b64_e32 v[6:7], 0
	v_lshl_add_u64 v[30:31], v[10:11], 3, s[8:9]
	s_mov_b64 s[0:1], 0
	v_mov_b32_e32 v1, s13
	s_mov_b64 s[8:9], 0x1200
	s_mov_b64 s[10:11], 0x100
	v_mov_b64_e32 v[28:29], v[6:7]
	v_mov_b64_e32 v[8:9], v[6:7]
	;; [unrolled: 1-line block ×5, first 2 shown]
.LBB58_26:                              ; =>This Inner Loop Header: Depth=1
	global_load_dwordx2 v[68:69], v[30:31], off
	global_load_dwordx4 v[32:35], v[24:25], off offset:48
	global_load_dwordx4 v[36:39], v[24:25], off offset:32
	;; [unrolled: 1-line block ×3, first 2 shown]
	global_load_dwordx4 v[44:47], v[24:25], off
	global_load_dwordx4 v[48:51], v[24:25], off offset:112
	global_load_dwordx4 v[52:55], v[24:25], off offset:96
	;; [unrolled: 1-line block ×5, first 2 shown]
	v_lshl_add_u64 v[10:11], v[10:11], 0, 32
	v_lshl_add_u64 v[24:25], v[24:25], 0, s[8:9]
	;; [unrolled: 1-line block ×3, first 2 shown]
	s_waitcnt vmcnt(9)
	v_subrev_co_u32_e32 v68, vcc, s16, v68
	s_waitcnt lgkmcnt(0)
	v_mad_u64_u32 v[80:81], s[12:13], v68, 48, s[4:5]
	v_subb_co_u32_e32 v69, vcc, v69, v1, vcc
	v_mov_b32_e32 v68, v81
	v_mad_u64_u32 v[68:69], s[12:13], v69, 48, v[68:69]
	v_mov_b32_e32 v81, v68
	global_load_dwordx4 v[68:71], v[80:81], off
	global_load_dwordx4 v[72:75], v[80:81], off offset:16
	global_load_dwordx4 v[76:79], v[80:81], off offset:32
	v_cmp_ge_i64_e32 vcc, v[10:11], v[22:23]
	s_or_b64 s[0:1], vcc, s[0:1]
	s_waitcnt vmcnt(2)
	v_fmac_f64_e32 v[28:29], v[44:45], v[68:69]
	v_fmac_f64_e32 v[6:7], v[46:47], v[68:69]
	v_fmac_f64_e32 v[26:27], v[40:41], v[68:69]
	v_fmac_f64_e32 v[4:5], v[42:43], v[68:69]
	v_fmac_f64_e32 v[8:9], v[36:37], v[68:69]
	v_fmac_f64_e32 v[2:3], v[38:39], v[68:69]
	v_fma_f64 v[28:29], -v[46:47], v[70:71], v[28:29]
	v_fmac_f64_e32 v[6:7], v[44:45], v[70:71]
	v_fma_f64 v[26:27], -v[42:43], v[70:71], v[26:27]
	v_fmac_f64_e32 v[4:5], v[40:41], v[70:71]
	v_fma_f64 v[8:9], -v[38:39], v[70:71], v[8:9]
	v_fmac_f64_e32 v[2:3], v[36:37], v[70:71]
	s_waitcnt vmcnt(1)
	v_fmac_f64_e32 v[28:29], v[32:33], v[72:73]
	v_fmac_f64_e32 v[6:7], v[34:35], v[72:73]
	v_fmac_f64_e32 v[26:27], v[60:61], v[72:73]
	v_fmac_f64_e32 v[4:5], v[62:63], v[72:73]
	v_fmac_f64_e32 v[8:9], v[56:57], v[72:73]
	v_fmac_f64_e32 v[2:3], v[58:59], v[72:73]
	v_fma_f64 v[28:29], -v[34:35], v[74:75], v[28:29]
	v_fmac_f64_e32 v[6:7], v[32:33], v[74:75]
	v_fma_f64 v[26:27], -v[62:63], v[74:75], v[26:27]
	v_fmac_f64_e32 v[4:5], v[60:61], v[74:75]
	v_fma_f64 v[8:9], -v[58:59], v[74:75], v[8:9]
	v_fmac_f64_e32 v[2:3], v[56:57], v[74:75]
	;; [unrolled: 13-line block ×3, first 2 shown]
	s_andn2_b64 exec, exec, s[0:1]
	s_cbranch_execnz .LBB58_26
; %bb.27:
	s_or_b64 exec, exec, s[0:1]
.LBB58_28:
	s_or_b64 exec, exec, s[6:7]
.LBB58_29:
	v_mov_b32_dpp v10, v28 row_shr:1 row_mask:0xf bank_mask:0xf
	v_mov_b32_dpp v11, v29 row_shr:1 row_mask:0xf bank_mask:0xf
	v_add_f64 v[10:11], v[28:29], v[10:11]
	v_mov_b32_dpp v24, v6 row_shr:1 row_mask:0xf bank_mask:0xf
	v_mov_b32_dpp v25, v7 row_shr:1 row_mask:0xf bank_mask:0xf
	v_mov_b32_dpp v28, v26 row_shr:1 row_mask:0xf bank_mask:0xf
	v_mov_b32_dpp v29, v27 row_shr:1 row_mask:0xf bank_mask:0xf
	v_mov_b32_dpp v30, v4 row_shr:1 row_mask:0xf bank_mask:0xf
	v_mov_b32_dpp v31, v5 row_shr:1 row_mask:0xf bank_mask:0xf
	v_mov_b32_dpp v32, v8 row_shr:1 row_mask:0xf bank_mask:0xf
	v_mov_b32_dpp v33, v9 row_shr:1 row_mask:0xf bank_mask:0xf
	v_mov_b32_dpp v34, v2 row_shr:1 row_mask:0xf bank_mask:0xf
	v_mov_b32_dpp v35, v3 row_shr:1 row_mask:0xf bank_mask:0xf
	v_add_f64 v[6:7], v[6:7], v[24:25]
	v_add_f64 v[26:27], v[26:27], v[28:29]
	v_add_f64 v[4:5], v[4:5], v[30:31]
	v_add_f64 v[8:9], v[8:9], v[32:33]
	v_add_f64 v[2:3], v[2:3], v[34:35]
	v_mov_b32_dpp v22, v10 row_shr:2 row_mask:0xf bank_mask:0xf
	v_mov_b32_dpp v23, v11 row_shr:2 row_mask:0xf bank_mask:0xf
	v_mov_b32_dpp v24, v6 row_shr:2 row_mask:0xf bank_mask:0xf
	v_mov_b32_dpp v25, v7 row_shr:2 row_mask:0xf bank_mask:0xf
	v_mov_b32_dpp v28, v26 row_shr:2 row_mask:0xf bank_mask:0xf
	v_mov_b32_dpp v29, v27 row_shr:2 row_mask:0xf bank_mask:0xf
	v_mov_b32_dpp v30, v4 row_shr:2 row_mask:0xf bank_mask:0xf
	v_mov_b32_dpp v31, v5 row_shr:2 row_mask:0xf bank_mask:0xf
	v_mov_b32_dpp v32, v8 row_shr:2 row_mask:0xf bank_mask:0xf
	v_mov_b32_dpp v33, v9 row_shr:2 row_mask:0xf bank_mask:0xf
	v_mov_b32_dpp v34, v2 row_shr:2 row_mask:0xf bank_mask:0xf
	v_mov_b32_dpp v35, v3 row_shr:2 row_mask:0xf bank_mask:0xf
	v_add_f64 v[10:11], v[10:11], v[22:23]
	v_add_f64 v[6:7], v[6:7], v[24:25]
	v_add_f64 v[26:27], v[26:27], v[28:29]
	v_add_f64 v[4:5], v[4:5], v[30:31]
	v_add_f64 v[8:9], v[8:9], v[32:33]
	v_add_f64 v[2:3], v[2:3], v[34:35]
	v_mov_b32_dpp v22, v10 row_shr:4 row_mask:0xf bank_mask:0xe
	v_mov_b32_dpp v23, v11 row_shr:4 row_mask:0xf bank_mask:0xe
	v_mov_b32_dpp v24, v6 row_shr:4 row_mask:0xf bank_mask:0xe
	v_mov_b32_dpp v25, v7 row_shr:4 row_mask:0xf bank_mask:0xe
	v_mov_b32_dpp v28, v26 row_shr:4 row_mask:0xf bank_mask:0xe
	v_mov_b32_dpp v29, v27 row_shr:4 row_mask:0xf bank_mask:0xe
	v_mov_b32_dpp v30, v4 row_shr:4 row_mask:0xf bank_mask:0xe
	v_mov_b32_dpp v31, v5 row_shr:4 row_mask:0xf bank_mask:0xe
	v_mov_b32_dpp v32, v8 row_shr:4 row_mask:0xf bank_mask:0xe
	v_mov_b32_dpp v33, v9 row_shr:4 row_mask:0xf bank_mask:0xe
	v_mov_b32_dpp v34, v2 row_shr:4 row_mask:0xf bank_mask:0xe
	v_mov_b32_dpp v35, v3 row_shr:4 row_mask:0xf bank_mask:0xe
	v_add_f64 v[10:11], v[10:11], v[22:23]
	;; [unrolled: 18-line block ×3, first 2 shown]
	v_add_f64 v[6:7], v[6:7], v[24:25]
	v_add_f64 v[26:27], v[26:27], v[28:29]
	v_add_f64 v[4:5], v[4:5], v[30:31]
	v_add_f64 v[8:9], v[8:9], v[32:33]
	v_add_f64 v[2:3], v[2:3], v[34:35]
	v_mov_b32_dpp v22, v10 row_bcast:15 row_mask:0xa bank_mask:0xf
	v_mov_b32_dpp v23, v11 row_bcast:15 row_mask:0xa bank_mask:0xf
	v_mov_b32_dpp v24, v6 row_bcast:15 row_mask:0xa bank_mask:0xf
	v_mov_b32_dpp v25, v7 row_bcast:15 row_mask:0xa bank_mask:0xf
	v_mov_b32_dpp v28, v26 row_bcast:15 row_mask:0xa bank_mask:0xf
	v_mov_b32_dpp v29, v27 row_bcast:15 row_mask:0xa bank_mask:0xf
	v_mov_b32_dpp v30, v4 row_bcast:15 row_mask:0xa bank_mask:0xf
	v_mov_b32_dpp v31, v5 row_bcast:15 row_mask:0xa bank_mask:0xf
	v_mov_b32_dpp v32, v8 row_bcast:15 row_mask:0xa bank_mask:0xf
	v_mov_b32_dpp v33, v9 row_bcast:15 row_mask:0xa bank_mask:0xf
	v_mov_b32_dpp v34, v2 row_bcast:15 row_mask:0xa bank_mask:0xf
	v_mov_b32_dpp v35, v3 row_bcast:15 row_mask:0xa bank_mask:0xf
	v_cmp_eq_u32_e32 vcc, 31, v0
	s_and_b64 exec, exec, vcc
	s_cbranch_execz .LBB58_12
; %bb.30:
	s_load_dwordx2 s[2:3], s[2:3], 0x68
	v_add_f64 v[0:1], v[6:7], v[24:25]
	v_add_f64 v[6:7], v[4:5], v[30:31]
	;; [unrolled: 1-line block ×6, first 2 shown]
	v_cmp_eq_f64_e32 vcc, 0, v[12:13]
	v_cmp_eq_f64_e64 s[0:1], 0, v[14:15]
	v_mul_f64 v[8:9], v[0:1], -v[18:19]
	v_mul_f64 v[10:11], v[16:17], v[0:1]
	v_mul_f64 v[4:5], v[6:7], -v[18:19]
	v_mul_f64 v[6:7], v[16:17], v[6:7]
	;; [unrolled: 2-line block ×3, first 2 shown]
	s_and_b64 s[0:1], vcc, s[0:1]
	v_fmac_f64_e32 v[8:9], v[16:17], v[22:23]
	v_fmac_f64_e32 v[10:11], v[18:19], v[22:23]
	;; [unrolled: 1-line block ×6, first 2 shown]
	s_waitcnt lgkmcnt(0)
	s_and_saveexec_b64 s[4:5], s[0:1]
	s_xor_b64 s[0:1], exec, s[4:5]
	s_cbranch_execz .LBB58_32
; %bb.31:
	v_mad_u64_u32 v[12:13], s[4:5], v20, 48, s[2:3]
	v_mov_b32_e32 v14, v13
	v_mad_u64_u32 v[14:15], s[4:5], v21, 48, v[14:15]
	v_mov_b32_e32 v13, v14
	global_store_dwordx4 v[12:13], v[8:11], off
	global_store_dwordx4 v[12:13], v[4:7], off offset:16
	global_store_dwordx4 v[12:13], v[0:3], off offset:32
                                        ; implicit-def: $vgpr12_vgpr13
                                        ; implicit-def: $vgpr14_vgpr15
                                        ; implicit-def: $vgpr20_vgpr21
                                        ; implicit-def: $vgpr8_vgpr9
                                        ; implicit-def: $vgpr4_vgpr5
                                        ; implicit-def: $vgpr0_vgpr1
.LBB58_32:
	s_andn2_saveexec_b64 s[0:1], s[0:1]
	s_cbranch_execz .LBB58_12
; %bb.33:
	v_mad_u64_u32 v[28:29], s[0:1], v20, 48, s[2:3]
	v_mov_b32_e32 v16, v29
	v_mad_u64_u32 v[16:17], s[0:1], v21, 48, v[16:17]
	v_mov_b32_e32 v29, v16
	global_load_dwordx4 v[16:19], v[28:29], off
	global_load_dwordx4 v[20:23], v[28:29], off offset:16
	global_load_dwordx4 v[24:27], v[28:29], off offset:32
	s_waitcnt vmcnt(2)
	v_fmac_f64_e32 v[8:9], v[12:13], v[16:17]
	v_fmac_f64_e32 v[10:11], v[14:15], v[16:17]
	s_waitcnt vmcnt(1)
	v_fmac_f64_e32 v[4:5], v[12:13], v[20:21]
	v_fmac_f64_e32 v[6:7], v[14:15], v[20:21]
	;; [unrolled: 3-line block ×3, first 2 shown]
	v_fma_f64 v[8:9], -v[14:15], v[18:19], v[8:9]
	v_fmac_f64_e32 v[10:11], v[12:13], v[18:19]
	v_fma_f64 v[4:5], -v[14:15], v[22:23], v[4:5]
	v_fmac_f64_e32 v[6:7], v[12:13], v[22:23]
	;; [unrolled: 2-line block ×3, first 2 shown]
	global_store_dwordx4 v[28:29], v[8:11], off
	global_store_dwordx4 v[28:29], v[4:7], off offset:16
	global_store_dwordx4 v[28:29], v[0:3], off offset:32
	s_endpgm
	.section	.rodata,"a",@progbits
	.p2align	6, 0x0
	.amdhsa_kernel _ZN9rocsparseL18bsrxmvn_3x3_kernelILj256ELj32E21rocsparse_complex_numIdEllS2_S2_S2_EEvT3_20rocsparse_direction_NS_24const_host_device_scalarIT1_EES3_PKS3_PKT2_SC_S9_PKT4_PKT5_S7_PT6_21rocsparse_index_base_b
		.amdhsa_group_segment_fixed_size 4096
		.amdhsa_private_segment_fixed_size 0
		.amdhsa_kernarg_size 120
		.amdhsa_user_sgpr_count 4
		.amdhsa_user_sgpr_dispatch_ptr 1
		.amdhsa_user_sgpr_queue_ptr 0
		.amdhsa_user_sgpr_kernarg_segment_ptr 1
		.amdhsa_user_sgpr_dispatch_id 0
		.amdhsa_user_sgpr_kernarg_preload_length 0
		.amdhsa_user_sgpr_kernarg_preload_offset 0
		.amdhsa_user_sgpr_private_segment_size 0
		.amdhsa_uses_dynamic_stack 0
		.amdhsa_enable_private_segment 0
		.amdhsa_system_sgpr_workgroup_id_x 1
		.amdhsa_system_sgpr_workgroup_id_y 0
		.amdhsa_system_sgpr_workgroup_id_z 0
		.amdhsa_system_sgpr_workgroup_info 0
		.amdhsa_system_vgpr_workitem_id 2
		.amdhsa_next_free_vgpr 86
		.amdhsa_next_free_sgpr 24
		.amdhsa_accum_offset 88
		.amdhsa_reserve_vcc 1
		.amdhsa_float_round_mode_32 0
		.amdhsa_float_round_mode_16_64 0
		.amdhsa_float_denorm_mode_32 3
		.amdhsa_float_denorm_mode_16_64 3
		.amdhsa_dx10_clamp 1
		.amdhsa_ieee_mode 1
		.amdhsa_fp16_overflow 0
		.amdhsa_tg_split 0
		.amdhsa_exception_fp_ieee_invalid_op 0
		.amdhsa_exception_fp_denorm_src 0
		.amdhsa_exception_fp_ieee_div_zero 0
		.amdhsa_exception_fp_ieee_overflow 0
		.amdhsa_exception_fp_ieee_underflow 0
		.amdhsa_exception_fp_ieee_inexact 0
		.amdhsa_exception_int_div_zero 0
	.end_amdhsa_kernel
	.section	.text._ZN9rocsparseL18bsrxmvn_3x3_kernelILj256ELj32E21rocsparse_complex_numIdEllS2_S2_S2_EEvT3_20rocsparse_direction_NS_24const_host_device_scalarIT1_EES3_PKS3_PKT2_SC_S9_PKT4_PKT5_S7_PT6_21rocsparse_index_base_b,"axG",@progbits,_ZN9rocsparseL18bsrxmvn_3x3_kernelILj256ELj32E21rocsparse_complex_numIdEllS2_S2_S2_EEvT3_20rocsparse_direction_NS_24const_host_device_scalarIT1_EES3_PKS3_PKT2_SC_S9_PKT4_PKT5_S7_PT6_21rocsparse_index_base_b,comdat
.Lfunc_end58:
	.size	_ZN9rocsparseL18bsrxmvn_3x3_kernelILj256ELj32E21rocsparse_complex_numIdEllS2_S2_S2_EEvT3_20rocsparse_direction_NS_24const_host_device_scalarIT1_EES3_PKS3_PKT2_SC_S9_PKT4_PKT5_S7_PT6_21rocsparse_index_base_b, .Lfunc_end58-_ZN9rocsparseL18bsrxmvn_3x3_kernelILj256ELj32E21rocsparse_complex_numIdEllS2_S2_S2_EEvT3_20rocsparse_direction_NS_24const_host_device_scalarIT1_EES3_PKS3_PKT2_SC_S9_PKT4_PKT5_S7_PT6_21rocsparse_index_base_b
                                        ; -- End function
	.section	.AMDGPU.csdata,"",@progbits
; Kernel info:
; codeLenInByte = 2680
; NumSgprs: 30
; NumVgprs: 86
; NumAgprs: 0
; TotalNumVgprs: 86
; ScratchSize: 0
; MemoryBound: 1
; FloatMode: 240
; IeeeMode: 1
; LDSByteSize: 4096 bytes/workgroup (compile time only)
; SGPRBlocks: 3
; VGPRBlocks: 10
; NumSGPRsForWavesPerEU: 30
; NumVGPRsForWavesPerEU: 86
; AccumOffset: 88
; Occupancy: 5
; WaveLimiterHint : 1
; COMPUTE_PGM_RSRC2:SCRATCH_EN: 0
; COMPUTE_PGM_RSRC2:USER_SGPR: 4
; COMPUTE_PGM_RSRC2:TRAP_HANDLER: 0
; COMPUTE_PGM_RSRC2:TGID_X_EN: 1
; COMPUTE_PGM_RSRC2:TGID_Y_EN: 0
; COMPUTE_PGM_RSRC2:TGID_Z_EN: 0
; COMPUTE_PGM_RSRC2:TIDIG_COMP_CNT: 2
; COMPUTE_PGM_RSRC3_GFX90A:ACCUM_OFFSET: 21
; COMPUTE_PGM_RSRC3_GFX90A:TG_SPLIT: 0
	.section	.text._ZN9rocsparseL18bsrxmvn_3x3_kernelILj256ELj64E21rocsparse_complex_numIdEllS2_S2_S2_EEvT3_20rocsparse_direction_NS_24const_host_device_scalarIT1_EES3_PKS3_PKT2_SC_S9_PKT4_PKT5_S7_PT6_21rocsparse_index_base_b,"axG",@progbits,_ZN9rocsparseL18bsrxmvn_3x3_kernelILj256ELj64E21rocsparse_complex_numIdEllS2_S2_S2_EEvT3_20rocsparse_direction_NS_24const_host_device_scalarIT1_EES3_PKS3_PKT2_SC_S9_PKT4_PKT5_S7_PT6_21rocsparse_index_base_b,comdat
	.globl	_ZN9rocsparseL18bsrxmvn_3x3_kernelILj256ELj64E21rocsparse_complex_numIdEllS2_S2_S2_EEvT3_20rocsparse_direction_NS_24const_host_device_scalarIT1_EES3_PKS3_PKT2_SC_S9_PKT4_PKT5_S7_PT6_21rocsparse_index_base_b ; -- Begin function _ZN9rocsparseL18bsrxmvn_3x3_kernelILj256ELj64E21rocsparse_complex_numIdEllS2_S2_S2_EEvT3_20rocsparse_direction_NS_24const_host_device_scalarIT1_EES3_PKS3_PKT2_SC_S9_PKT4_PKT5_S7_PT6_21rocsparse_index_base_b
	.p2align	8
	.type	_ZN9rocsparseL18bsrxmvn_3x3_kernelILj256ELj64E21rocsparse_complex_numIdEllS2_S2_S2_EEvT3_20rocsparse_direction_NS_24const_host_device_scalarIT1_EES3_PKS3_PKT2_SC_S9_PKT4_PKT5_S7_PT6_21rocsparse_index_base_b,@function
_ZN9rocsparseL18bsrxmvn_3x3_kernelILj256ELj64E21rocsparse_complex_numIdEllS2_S2_S2_EEvT3_20rocsparse_direction_NS_24const_host_device_scalarIT1_EES3_PKS3_PKT2_SC_S9_PKT4_PKT5_S7_PT6_21rocsparse_index_base_b: ; @_ZN9rocsparseL18bsrxmvn_3x3_kernelILj256ELj64E21rocsparse_complex_numIdEllS2_S2_S2_EEvT3_20rocsparse_direction_NS_24const_host_device_scalarIT1_EES3_PKS3_PKT2_SC_S9_PKT4_PKT5_S7_PT6_21rocsparse_index_base_b
; %bb.0:
	s_load_dwordx2 s[16:17], s[2:3], 0x70
	s_load_dwordx4 s[12:15], s[2:3], 0x10
	s_load_dwordx2 s[18:19], s[0:1], 0x4
	s_load_dwordx4 s[8:11], s[2:3], 0x58
	s_mov_b64 s[6:7], src_shared_base
	v_and_b32_e32 v2, 0x3ff, v0
	s_waitcnt lgkmcnt(0)
	s_bitcmp1_b32 s17, 0
	s_cselect_b64 s[0:1], -1, 0
	s_and_b64 vcc, s[0:1], exec
	s_cselect_b32 s5, s7, s13
	s_lshr_b32 s6, s18, 16
	s_mul_i32 s6, s6, s19
	v_mul_lo_u32 v3, s6, v2
	v_bfe_u32 v4, v0, 10, 10
	v_mad_u32_u24 v3, v4, s19, v3
	v_bfe_u32 v0, v0, 20, 10
	v_add_lshl_u32 v0, v3, v0, 3
	v_mov_b32_e32 v1, s12
	v_add_u32_e32 v3, 0x800, v0
	v_mov_b64_e32 v[4:5], s[12:13]
	v_mov_b64_e32 v[6:7], s[8:9]
	ds_write2st64_b64 v0, v[6:7], v[4:5] offset1:4
	v_cndmask_b32_e64 v4, v1, v3, s[0:1]
	v_mov_b32_e32 v5, s5
	flat_load_dwordx2 v[16:17], v[4:5]
	s_xor_b64 s[18:19], s[0:1], -1
	v_mov_b64_e32 v[18:19], s[14:15]
	s_cbranch_vccnz .LBB59_2
; %bb.1:
	v_mov_b64_e32 v[4:5], s[12:13]
	flat_load_dwordx2 v[18:19], v[4:5] offset:8
.LBB59_2:
	s_and_b64 s[12:13], s[0:1], exec
	s_cselect_b32 s5, s7, s9
	v_mov_b32_e32 v1, s8
	v_cndmask_b32_e64 v0, v1, v0, s[0:1]
	v_mov_b32_e32 v1, s5
	flat_load_dwordx2 v[12:13], v[0:1]
	s_andn2_b64 vcc, exec, s[18:19]
	v_mov_b64_e32 v[14:15], s[10:11]
	s_cbranch_vccnz .LBB59_4
; %bb.3:
	v_mov_b64_e32 v[0:1], s[8:9]
	flat_load_dwordx2 v[14:15], v[0:1] offset:8
.LBB59_4:
	s_waitcnt vmcnt(0) lgkmcnt(0)
	v_cmp_eq_f64_e32 vcc, 0, v[16:17]
	v_cmp_eq_f64_e64 s[0:1], 0, v[18:19]
	s_and_b64 s[8:9], vcc, s[0:1]
	s_mov_b64 s[0:1], -1
	s_and_saveexec_b64 s[6:7], s[8:9]
; %bb.5:
	v_cmp_neq_f64_e32 vcc, 1.0, v[12:13]
	v_cmp_neq_f64_e64 s[0:1], 0, v[14:15]
	s_or_b64 s[0:1], vcc, s[0:1]
	s_orn2_b64 s[0:1], s[0:1], exec
; %bb.6:
	s_or_b64 exec, exec, s[6:7]
	s_and_saveexec_b64 s[6:7], s[0:1]
	s_cbranch_execz .LBB59_12
; %bb.7:
	s_load_dwordx2 s[6:7], s[2:3], 0x28
	v_lshrrev_b32_e32 v0, 6, v2
	v_lshl_or_b32 v0, s4, 2, v0
	v_mov_b32_e32 v1, 0
	s_mov_b64 s[0:1], 0
	s_waitcnt lgkmcnt(0)
	s_cmp_lg_u64 s[6:7], 0
	s_cbranch_scc0 .LBB59_13
; %bb.8:
	s_load_dwordx2 s[4:5], s[2:3], 0x20
                                        ; implicit-def: $vgpr20_vgpr21
	s_waitcnt lgkmcnt(0)
	v_cmp_gt_i64_e32 vcc, s[4:5], v[0:1]
	s_and_saveexec_b64 s[4:5], vcc
	s_xor_b64 s[4:5], exec, s[4:5]
                                        ; implicit-def: $sgpr12_sgpr13
	s_cbranch_execz .LBB59_10
; %bb.9:
	v_lshl_add_u64 v[4:5], v[0:1], 3, s[6:7]
	global_load_dwordx2 v[4:5], v[4:5], off
	s_mov_b64 s[0:1], exec
	s_mov_b32 s13, 0
	s_waitcnt vmcnt(0)
	v_subrev_co_u32_e32 v20, vcc, s16, v4
	s_nop 1
	v_subbrev_co_u32_e32 v21, vcc, 0, v5, vcc
.LBB59_10:
	s_or_b64 exec, exec, s[4:5]
.LBB59_11:
	s_and_b64 exec, exec, s[0:1]
	s_cbranch_execnz .LBB59_17
.LBB59_12:
	s_endpgm
.LBB59_13:
                                        ; implicit-def: $vgpr20_vgpr21
                                        ; implicit-def: $sgpr12_sgpr13
	s_cbranch_execz .LBB59_11
; %bb.14:
	s_load_dwordx2 s[4:5], s[2:3], 0x0
                                        ; implicit-def: $vgpr20_vgpr21
	s_waitcnt lgkmcnt(0)
	v_cmp_gt_i64_e32 vcc, s[4:5], v[0:1]
	s_and_saveexec_b64 s[4:5], vcc
                                        ; implicit-def: $sgpr12_sgpr13
; %bb.15:
	s_mov_b32 s13, 0
	s_or_b64 s[0:1], s[0:1], exec
	v_mov_b64_e32 v[20:21], v[0:1]
; %bb.16:
	s_or_b64 exec, exec, s[4:5]
	s_and_b64 exec, exec, s[0:1]
	s_cbranch_execz .LBB59_12
.LBB59_17:
	s_load_dwordx8 s[4:11], s[2:3], 0x30
	v_lshlrev_b64 v[0:1], 3, v[20:21]
	s_load_dword s0, s[2:3], 0x8
	v_mov_b32_e32 v8, s13
	s_waitcnt lgkmcnt(0)
	v_lshl_add_u64 v[4:5], s[4:5], 0, v[0:1]
	global_load_dwordx2 v[6:7], v[4:5], off
	s_cmp_eq_u64 s[6:7], 0
	v_lshl_add_u64 v[0:1], s[6:7], 0, v[0:1]
	v_lshl_add_u64 v[4:5], v[4:5], 0, 8
	s_cselect_b64 vcc, -1, 0
	v_cndmask_b32_e32 v1, v1, v5, vcc
	v_cndmask_b32_e32 v0, v0, v4, vcc
	global_load_dwordx2 v[4:5], v[0:1], off
	v_and_b32_e32 v0, 63, v2
	v_mov_b32_e32 v1, 0
	s_load_dwordx2 s[4:5], s[2:3], 0x50
	s_movk_i32 s6, 0x90
	v_mov_b64_e32 v[2:3], s[10:11]
	s_cmp_eq_u32 s0, 1
	s_waitcnt vmcnt(1)
	v_subrev_co_u32_e32 v6, vcc, s16, v6
	s_nop 1
	v_subb_co_u32_e32 v7, vcc, v7, v8, vcc
	v_lshl_add_u64 v[10:11], v[6:7], 0, v[0:1]
	v_mad_u64_u32 v[24:25], s[0:1], v10, s6, v[2:3]
	s_waitcnt vmcnt(0)
	v_subrev_co_u32_e32 v22, vcc, s16, v4
	v_mov_b32_e32 v2, v25
	s_nop 0
	v_subb_co_u32_e32 v23, vcc, v5, v8, vcc
	v_mad_u64_u32 v[2:3], s[0:1], v11, s6, v[2:3]
	v_mov_b32_e32 v25, v2
	v_cmp_lt_i64_e64 s[0:1], v[10:11], v[22:23]
	s_cbranch_scc1 .LBB59_23
; %bb.18:
	v_mov_b64_e32 v[8:9], 0
	s_mov_b64 s[6:7], 0
	v_mov_b64_e32 v[28:29], v[8:9]
	v_mov_b64_e32 v[6:7], v[8:9]
	;; [unrolled: 1-line block ×5, first 2 shown]
	s_and_saveexec_b64 s[10:11], s[0:1]
	s_cbranch_execz .LBB59_22
; %bb.19:
	v_mov_b64_e32 v[8:9], 0
	v_lshl_add_u64 v[30:31], v[10:11], 3, s[8:9]
	s_mov_b64 s[14:15], 0
	v_mov_b32_e32 v1, s13
	s_mov_b64 s[18:19], 0x2400
	s_mov_b64 s[20:21], 0x200
	v_mov_b64_e32 v[32:33], v[10:11]
	v_mov_b64_e32 v[34:35], v[24:25]
	;; [unrolled: 1-line block ×7, first 2 shown]
.LBB59_20:                              ; =>This Inner Loop Header: Depth=1
	global_load_dwordx2 v[72:73], v[30:31], off
	global_load_dwordx4 v[36:39], v[34:35], off offset:48
	global_load_dwordx4 v[40:43], v[34:35], off offset:32
	;; [unrolled: 1-line block ×3, first 2 shown]
	global_load_dwordx4 v[48:51], v[34:35], off
	global_load_dwordx4 v[52:55], v[34:35], off offset:112
	global_load_dwordx4 v[56:59], v[34:35], off offset:96
	global_load_dwordx4 v[60:63], v[34:35], off offset:80
	global_load_dwordx4 v[64:67], v[34:35], off offset:64
	global_load_dwordx4 v[68:71], v[34:35], off offset:128
	v_lshl_add_u64 v[32:33], v[32:33], 0, 64
	v_lshl_add_u64 v[34:35], v[34:35], 0, s[18:19]
	;; [unrolled: 1-line block ×3, first 2 shown]
	s_waitcnt vmcnt(9)
	v_subrev_co_u32_e32 v72, vcc, s16, v72
	s_waitcnt lgkmcnt(0)
	v_mad_u64_u32 v[84:85], s[22:23], v72, 48, s[4:5]
	v_subb_co_u32_e32 v73, vcc, v73, v1, vcc
	v_mov_b32_e32 v72, v85
	v_mad_u64_u32 v[72:73], s[22:23], v73, 48, v[72:73]
	v_mov_b32_e32 v85, v72
	global_load_dwordx4 v[72:75], v[84:85], off
	global_load_dwordx4 v[76:79], v[84:85], off offset:16
	global_load_dwordx4 v[80:83], v[84:85], off offset:32
	v_cmp_ge_i64_e32 vcc, v[32:33], v[22:23]
	s_or_b64 s[14:15], vcc, s[14:15]
	s_waitcnt vmcnt(2)
	v_fmac_f64_e32 v[28:29], v[48:49], v[72:73]
	v_fmac_f64_e32 v[8:9], v[50:51], v[72:73]
	v_fmac_f64_e32 v[26:27], v[36:37], v[72:73]
	v_fmac_f64_e32 v[4:5], v[38:39], v[72:73]
	v_fmac_f64_e32 v[6:7], v[56:57], v[72:73]
	v_fmac_f64_e32 v[2:3], v[58:59], v[72:73]
	v_fma_f64 v[28:29], -v[50:51], v[74:75], v[28:29]
	v_fmac_f64_e32 v[8:9], v[48:49], v[74:75]
	v_fma_f64 v[26:27], -v[38:39], v[74:75], v[26:27]
	v_fmac_f64_e32 v[4:5], v[36:37], v[74:75]
	v_fma_f64 v[6:7], -v[58:59], v[74:75], v[6:7]
	v_fmac_f64_e32 v[2:3], v[56:57], v[74:75]
	s_waitcnt vmcnt(1)
	v_fmac_f64_e32 v[28:29], v[44:45], v[76:77]
	v_fmac_f64_e32 v[8:9], v[46:47], v[76:77]
	v_fmac_f64_e32 v[26:27], v[64:65], v[76:77]
	v_fmac_f64_e32 v[4:5], v[66:67], v[76:77]
	v_fmac_f64_e32 v[6:7], v[52:53], v[76:77]
	v_fmac_f64_e32 v[2:3], v[54:55], v[76:77]
	v_fma_f64 v[28:29], -v[46:47], v[78:79], v[28:29]
	v_fmac_f64_e32 v[8:9], v[44:45], v[78:79]
	v_fma_f64 v[26:27], -v[66:67], v[78:79], v[26:27]
	v_fmac_f64_e32 v[4:5], v[64:65], v[78:79]
	v_fma_f64 v[6:7], -v[54:55], v[78:79], v[6:7]
	v_fmac_f64_e32 v[2:3], v[52:53], v[78:79]
	;; [unrolled: 13-line block ×3, first 2 shown]
	s_andn2_b64 exec, exec, s[14:15]
	s_cbranch_execnz .LBB59_20
; %bb.21:
	s_or_b64 exec, exec, s[14:15]
.LBB59_22:
	s_or_b64 exec, exec, s[10:11]
	s_andn2_b64 vcc, exec, s[6:7]
	s_cbranch_vccz .LBB59_24
	s_branch .LBB59_29
.LBB59_23:
                                        ; implicit-def: $vgpr8_vgpr9
                                        ; implicit-def: $vgpr28_vgpr29
                                        ; implicit-def: $vgpr6_vgpr7
                                        ; implicit-def: $vgpr2_vgpr3
                                        ; implicit-def: $vgpr26_vgpr27
                                        ; implicit-def: $vgpr4_vgpr5
.LBB59_24:
	v_mov_b64_e32 v[8:9], 0
	v_mov_b64_e32 v[28:29], v[8:9]
	;; [unrolled: 1-line block ×6, first 2 shown]
	s_and_saveexec_b64 s[6:7], s[0:1]
	s_cbranch_execz .LBB59_28
; %bb.25:
	v_mov_b64_e32 v[8:9], 0
	v_lshl_add_u64 v[30:31], v[10:11], 3, s[8:9]
	s_mov_b64 s[0:1], 0
	v_mov_b32_e32 v1, s13
	s_mov_b64 s[8:9], 0x2400
	s_mov_b64 s[10:11], 0x200
	v_mov_b64_e32 v[28:29], v[8:9]
	v_mov_b64_e32 v[6:7], v[8:9]
	;; [unrolled: 1-line block ×5, first 2 shown]
.LBB59_26:                              ; =>This Inner Loop Header: Depth=1
	global_load_dwordx2 v[68:69], v[30:31], off
	global_load_dwordx4 v[32:35], v[24:25], off offset:48
	global_load_dwordx4 v[36:39], v[24:25], off offset:32
	;; [unrolled: 1-line block ×3, first 2 shown]
	global_load_dwordx4 v[44:47], v[24:25], off
	global_load_dwordx4 v[48:51], v[24:25], off offset:112
	global_load_dwordx4 v[52:55], v[24:25], off offset:96
	;; [unrolled: 1-line block ×5, first 2 shown]
	v_lshl_add_u64 v[10:11], v[10:11], 0, 64
	v_lshl_add_u64 v[24:25], v[24:25], 0, s[8:9]
	v_lshl_add_u64 v[30:31], v[30:31], 0, s[10:11]
	s_waitcnt vmcnt(9)
	v_subrev_co_u32_e32 v68, vcc, s16, v68
	s_waitcnt lgkmcnt(0)
	v_mad_u64_u32 v[80:81], s[12:13], v68, 48, s[4:5]
	v_subb_co_u32_e32 v69, vcc, v69, v1, vcc
	v_mov_b32_e32 v68, v81
	v_mad_u64_u32 v[68:69], s[12:13], v69, 48, v[68:69]
	v_mov_b32_e32 v81, v68
	global_load_dwordx4 v[68:71], v[80:81], off
	global_load_dwordx4 v[72:75], v[80:81], off offset:16
	global_load_dwordx4 v[76:79], v[80:81], off offset:32
	v_cmp_ge_i64_e32 vcc, v[10:11], v[22:23]
	s_or_b64 s[0:1], vcc, s[0:1]
	s_waitcnt vmcnt(2)
	v_fmac_f64_e32 v[28:29], v[44:45], v[68:69]
	v_fmac_f64_e32 v[8:9], v[46:47], v[68:69]
	v_fmac_f64_e32 v[26:27], v[40:41], v[68:69]
	v_fmac_f64_e32 v[4:5], v[42:43], v[68:69]
	v_fmac_f64_e32 v[6:7], v[36:37], v[68:69]
	v_fmac_f64_e32 v[2:3], v[38:39], v[68:69]
	v_fma_f64 v[28:29], -v[46:47], v[70:71], v[28:29]
	v_fmac_f64_e32 v[8:9], v[44:45], v[70:71]
	v_fma_f64 v[26:27], -v[42:43], v[70:71], v[26:27]
	v_fmac_f64_e32 v[4:5], v[40:41], v[70:71]
	v_fma_f64 v[6:7], -v[38:39], v[70:71], v[6:7]
	v_fmac_f64_e32 v[2:3], v[36:37], v[70:71]
	s_waitcnt vmcnt(1)
	v_fmac_f64_e32 v[28:29], v[32:33], v[72:73]
	v_fmac_f64_e32 v[8:9], v[34:35], v[72:73]
	v_fmac_f64_e32 v[26:27], v[60:61], v[72:73]
	v_fmac_f64_e32 v[4:5], v[62:63], v[72:73]
	v_fmac_f64_e32 v[6:7], v[56:57], v[72:73]
	v_fmac_f64_e32 v[2:3], v[58:59], v[72:73]
	v_fma_f64 v[28:29], -v[34:35], v[74:75], v[28:29]
	v_fmac_f64_e32 v[8:9], v[32:33], v[74:75]
	v_fma_f64 v[26:27], -v[62:63], v[74:75], v[26:27]
	v_fmac_f64_e32 v[4:5], v[60:61], v[74:75]
	v_fma_f64 v[6:7], -v[58:59], v[74:75], v[6:7]
	v_fmac_f64_e32 v[2:3], v[56:57], v[74:75]
	;; [unrolled: 13-line block ×3, first 2 shown]
	s_andn2_b64 exec, exec, s[0:1]
	s_cbranch_execnz .LBB59_26
; %bb.27:
	s_or_b64 exec, exec, s[0:1]
.LBB59_28:
	s_or_b64 exec, exec, s[6:7]
.LBB59_29:
	v_mov_b32_dpp v10, v28 row_shr:1 row_mask:0xf bank_mask:0xf
	v_mov_b32_dpp v11, v29 row_shr:1 row_mask:0xf bank_mask:0xf
	v_add_f64 v[10:11], v[28:29], v[10:11]
	v_mov_b32_dpp v24, v8 row_shr:1 row_mask:0xf bank_mask:0xf
	v_mov_b32_dpp v25, v9 row_shr:1 row_mask:0xf bank_mask:0xf
	;; [unrolled: 1-line block ×10, first 2 shown]
	v_add_f64 v[8:9], v[8:9], v[24:25]
	v_add_f64 v[26:27], v[26:27], v[28:29]
	v_add_f64 v[4:5], v[4:5], v[30:31]
	v_add_f64 v[6:7], v[6:7], v[32:33]
	v_add_f64 v[2:3], v[2:3], v[34:35]
	v_mov_b32_dpp v22, v10 row_shr:2 row_mask:0xf bank_mask:0xf
	v_mov_b32_dpp v23, v11 row_shr:2 row_mask:0xf bank_mask:0xf
	v_mov_b32_dpp v24, v8 row_shr:2 row_mask:0xf bank_mask:0xf
	v_mov_b32_dpp v25, v9 row_shr:2 row_mask:0xf bank_mask:0xf
	v_mov_b32_dpp v28, v26 row_shr:2 row_mask:0xf bank_mask:0xf
	v_mov_b32_dpp v29, v27 row_shr:2 row_mask:0xf bank_mask:0xf
	v_mov_b32_dpp v30, v4 row_shr:2 row_mask:0xf bank_mask:0xf
	v_mov_b32_dpp v31, v5 row_shr:2 row_mask:0xf bank_mask:0xf
	v_mov_b32_dpp v32, v6 row_shr:2 row_mask:0xf bank_mask:0xf
	v_mov_b32_dpp v33, v7 row_shr:2 row_mask:0xf bank_mask:0xf
	v_mov_b32_dpp v34, v2 row_shr:2 row_mask:0xf bank_mask:0xf
	v_mov_b32_dpp v35, v3 row_shr:2 row_mask:0xf bank_mask:0xf
	v_add_f64 v[10:11], v[10:11], v[22:23]
	v_add_f64 v[8:9], v[8:9], v[24:25]
	v_add_f64 v[26:27], v[26:27], v[28:29]
	v_add_f64 v[4:5], v[4:5], v[30:31]
	v_add_f64 v[6:7], v[6:7], v[32:33]
	v_add_f64 v[2:3], v[2:3], v[34:35]
	v_mov_b32_dpp v22, v10 row_shr:4 row_mask:0xf bank_mask:0xe
	v_mov_b32_dpp v23, v11 row_shr:4 row_mask:0xf bank_mask:0xe
	v_mov_b32_dpp v24, v8 row_shr:4 row_mask:0xf bank_mask:0xe
	v_mov_b32_dpp v25, v9 row_shr:4 row_mask:0xf bank_mask:0xe
	v_mov_b32_dpp v28, v26 row_shr:4 row_mask:0xf bank_mask:0xe
	v_mov_b32_dpp v29, v27 row_shr:4 row_mask:0xf bank_mask:0xe
	v_mov_b32_dpp v30, v4 row_shr:4 row_mask:0xf bank_mask:0xe
	v_mov_b32_dpp v31, v5 row_shr:4 row_mask:0xf bank_mask:0xe
	v_mov_b32_dpp v32, v6 row_shr:4 row_mask:0xf bank_mask:0xe
	v_mov_b32_dpp v33, v7 row_shr:4 row_mask:0xf bank_mask:0xe
	v_mov_b32_dpp v34, v2 row_shr:4 row_mask:0xf bank_mask:0xe
	v_mov_b32_dpp v35, v3 row_shr:4 row_mask:0xf bank_mask:0xe
	v_add_f64 v[10:11], v[10:11], v[22:23]
	;; [unrolled: 18-line block ×3, first 2 shown]
	v_add_f64 v[8:9], v[8:9], v[24:25]
	v_add_f64 v[26:27], v[26:27], v[28:29]
	;; [unrolled: 1-line block ×5, first 2 shown]
	v_mov_b32_dpp v22, v10 row_bcast:15 row_mask:0xa bank_mask:0xf
	v_mov_b32_dpp v23, v11 row_bcast:15 row_mask:0xa bank_mask:0xf
	;; [unrolled: 1-line block ×12, first 2 shown]
	v_add_f64 v[10:11], v[10:11], v[22:23]
	v_add_f64 v[8:9], v[8:9], v[24:25]
	;; [unrolled: 1-line block ×6, first 2 shown]
	v_mov_b32_dpp v22, v10 row_bcast:31 row_mask:0xc bank_mask:0xf
	v_mov_b32_dpp v23, v11 row_bcast:31 row_mask:0xc bank_mask:0xf
	v_mov_b32_dpp v24, v8 row_bcast:31 row_mask:0xc bank_mask:0xf
	v_mov_b32_dpp v25, v9 row_bcast:31 row_mask:0xc bank_mask:0xf
	v_mov_b32_dpp v28, v26 row_bcast:31 row_mask:0xc bank_mask:0xf
	v_mov_b32_dpp v29, v27 row_bcast:31 row_mask:0xc bank_mask:0xf
	v_mov_b32_dpp v30, v4 row_bcast:31 row_mask:0xc bank_mask:0xf
	v_mov_b32_dpp v31, v5 row_bcast:31 row_mask:0xc bank_mask:0xf
	v_mov_b32_dpp v32, v6 row_bcast:31 row_mask:0xc bank_mask:0xf
	v_mov_b32_dpp v33, v7 row_bcast:31 row_mask:0xc bank_mask:0xf
	v_mov_b32_dpp v34, v2 row_bcast:31 row_mask:0xc bank_mask:0xf
	v_mov_b32_dpp v35, v3 row_bcast:31 row_mask:0xc bank_mask:0xf
	v_cmp_eq_u32_e32 vcc, 63, v0
	s_and_b64 exec, exec, vcc
	s_cbranch_execz .LBB59_12
; %bb.30:
	s_load_dwordx2 s[2:3], s[2:3], 0x68
	v_add_f64 v[0:1], v[8:9], v[24:25]
	v_add_f64 v[24:25], v[26:27], v[28:29]
	;; [unrolled: 1-line block ×6, first 2 shown]
	v_cmp_eq_f64_e32 vcc, 0, v[12:13]
	v_cmp_eq_f64_e64 s[0:1], 0, v[14:15]
	v_mul_f64 v[8:9], v[0:1], -v[18:19]
	v_mul_f64 v[10:11], v[16:17], v[0:1]
	v_mul_f64 v[4:5], v[26:27], -v[18:19]
	v_mul_f64 v[6:7], v[16:17], v[26:27]
	v_mul_f64 v[0:1], v[2:3], -v[18:19]
	v_mul_f64 v[2:3], v[16:17], v[2:3]
	s_and_b64 s[0:1], vcc, s[0:1]
	v_fmac_f64_e32 v[8:9], v[16:17], v[22:23]
	v_fmac_f64_e32 v[10:11], v[18:19], v[22:23]
	;; [unrolled: 1-line block ×6, first 2 shown]
	s_waitcnt lgkmcnt(0)
	s_and_saveexec_b64 s[4:5], s[0:1]
	s_xor_b64 s[0:1], exec, s[4:5]
	s_cbranch_execz .LBB59_32
; %bb.31:
	v_mad_u64_u32 v[12:13], s[4:5], v20, 48, s[2:3]
	v_mov_b32_e32 v14, v13
	v_mad_u64_u32 v[14:15], s[4:5], v21, 48, v[14:15]
	v_mov_b32_e32 v13, v14
	global_store_dwordx4 v[12:13], v[8:11], off
	global_store_dwordx4 v[12:13], v[4:7], off offset:16
	global_store_dwordx4 v[12:13], v[0:3], off offset:32
                                        ; implicit-def: $vgpr12_vgpr13
                                        ; implicit-def: $vgpr14_vgpr15
                                        ; implicit-def: $vgpr20_vgpr21
                                        ; implicit-def: $vgpr8_vgpr9
                                        ; implicit-def: $vgpr4_vgpr5
                                        ; implicit-def: $vgpr0_vgpr1
.LBB59_32:
	s_andn2_saveexec_b64 s[0:1], s[0:1]
	s_cbranch_execz .LBB59_12
; %bb.33:
	v_mad_u64_u32 v[28:29], s[0:1], v20, 48, s[2:3]
	v_mov_b32_e32 v16, v29
	v_mad_u64_u32 v[16:17], s[0:1], v21, 48, v[16:17]
	v_mov_b32_e32 v29, v16
	global_load_dwordx4 v[16:19], v[28:29], off
	global_load_dwordx4 v[20:23], v[28:29], off offset:16
	global_load_dwordx4 v[24:27], v[28:29], off offset:32
	s_waitcnt vmcnt(2)
	v_fmac_f64_e32 v[8:9], v[12:13], v[16:17]
	v_fmac_f64_e32 v[10:11], v[14:15], v[16:17]
	s_waitcnt vmcnt(1)
	v_fmac_f64_e32 v[4:5], v[12:13], v[20:21]
	v_fmac_f64_e32 v[6:7], v[14:15], v[20:21]
	;; [unrolled: 3-line block ×3, first 2 shown]
	v_fma_f64 v[8:9], -v[14:15], v[18:19], v[8:9]
	v_fmac_f64_e32 v[10:11], v[12:13], v[18:19]
	v_fma_f64 v[4:5], -v[14:15], v[22:23], v[4:5]
	v_fmac_f64_e32 v[6:7], v[12:13], v[22:23]
	;; [unrolled: 2-line block ×3, first 2 shown]
	global_store_dwordx4 v[28:29], v[8:11], off
	global_store_dwordx4 v[28:29], v[4:7], off offset:16
	global_store_dwordx4 v[28:29], v[0:3], off offset:32
	s_endpgm
	.section	.rodata,"a",@progbits
	.p2align	6, 0x0
	.amdhsa_kernel _ZN9rocsparseL18bsrxmvn_3x3_kernelILj256ELj64E21rocsparse_complex_numIdEllS2_S2_S2_EEvT3_20rocsparse_direction_NS_24const_host_device_scalarIT1_EES3_PKS3_PKT2_SC_S9_PKT4_PKT5_S7_PT6_21rocsparse_index_base_b
		.amdhsa_group_segment_fixed_size 4096
		.amdhsa_private_segment_fixed_size 0
		.amdhsa_kernarg_size 120
		.amdhsa_user_sgpr_count 4
		.amdhsa_user_sgpr_dispatch_ptr 1
		.amdhsa_user_sgpr_queue_ptr 0
		.amdhsa_user_sgpr_kernarg_segment_ptr 1
		.amdhsa_user_sgpr_dispatch_id 0
		.amdhsa_user_sgpr_kernarg_preload_length 0
		.amdhsa_user_sgpr_kernarg_preload_offset 0
		.amdhsa_user_sgpr_private_segment_size 0
		.amdhsa_uses_dynamic_stack 0
		.amdhsa_enable_private_segment 0
		.amdhsa_system_sgpr_workgroup_id_x 1
		.amdhsa_system_sgpr_workgroup_id_y 0
		.amdhsa_system_sgpr_workgroup_id_z 0
		.amdhsa_system_sgpr_workgroup_info 0
		.amdhsa_system_vgpr_workitem_id 2
		.amdhsa_next_free_vgpr 86
		.amdhsa_next_free_sgpr 24
		.amdhsa_accum_offset 88
		.amdhsa_reserve_vcc 1
		.amdhsa_float_round_mode_32 0
		.amdhsa_float_round_mode_16_64 0
		.amdhsa_float_denorm_mode_32 3
		.amdhsa_float_denorm_mode_16_64 3
		.amdhsa_dx10_clamp 1
		.amdhsa_ieee_mode 1
		.amdhsa_fp16_overflow 0
		.amdhsa_tg_split 0
		.amdhsa_exception_fp_ieee_invalid_op 0
		.amdhsa_exception_fp_denorm_src 0
		.amdhsa_exception_fp_ieee_div_zero 0
		.amdhsa_exception_fp_ieee_overflow 0
		.amdhsa_exception_fp_ieee_underflow 0
		.amdhsa_exception_fp_ieee_inexact 0
		.amdhsa_exception_int_div_zero 0
	.end_amdhsa_kernel
	.section	.text._ZN9rocsparseL18bsrxmvn_3x3_kernelILj256ELj64E21rocsparse_complex_numIdEllS2_S2_S2_EEvT3_20rocsparse_direction_NS_24const_host_device_scalarIT1_EES3_PKS3_PKT2_SC_S9_PKT4_PKT5_S7_PT6_21rocsparse_index_base_b,"axG",@progbits,_ZN9rocsparseL18bsrxmvn_3x3_kernelILj256ELj64E21rocsparse_complex_numIdEllS2_S2_S2_EEvT3_20rocsparse_direction_NS_24const_host_device_scalarIT1_EES3_PKS3_PKT2_SC_S9_PKT4_PKT5_S7_PT6_21rocsparse_index_base_b,comdat
.Lfunc_end59:
	.size	_ZN9rocsparseL18bsrxmvn_3x3_kernelILj256ELj64E21rocsparse_complex_numIdEllS2_S2_S2_EEvT3_20rocsparse_direction_NS_24const_host_device_scalarIT1_EES3_PKS3_PKT2_SC_S9_PKT4_PKT5_S7_PT6_21rocsparse_index_base_b, .Lfunc_end59-_ZN9rocsparseL18bsrxmvn_3x3_kernelILj256ELj64E21rocsparse_complex_numIdEllS2_S2_S2_EEvT3_20rocsparse_direction_NS_24const_host_device_scalarIT1_EES3_PKS3_PKT2_SC_S9_PKT4_PKT5_S7_PT6_21rocsparse_index_base_b
                                        ; -- End function
	.section	.AMDGPU.csdata,"",@progbits
; Kernel info:
; codeLenInByte = 2824
; NumSgprs: 30
; NumVgprs: 86
; NumAgprs: 0
; TotalNumVgprs: 86
; ScratchSize: 0
; MemoryBound: 1
; FloatMode: 240
; IeeeMode: 1
; LDSByteSize: 4096 bytes/workgroup (compile time only)
; SGPRBlocks: 3
; VGPRBlocks: 10
; NumSGPRsForWavesPerEU: 30
; NumVGPRsForWavesPerEU: 86
; AccumOffset: 88
; Occupancy: 5
; WaveLimiterHint : 1
; COMPUTE_PGM_RSRC2:SCRATCH_EN: 0
; COMPUTE_PGM_RSRC2:USER_SGPR: 4
; COMPUTE_PGM_RSRC2:TRAP_HANDLER: 0
; COMPUTE_PGM_RSRC2:TGID_X_EN: 1
; COMPUTE_PGM_RSRC2:TGID_Y_EN: 0
; COMPUTE_PGM_RSRC2:TGID_Z_EN: 0
; COMPUTE_PGM_RSRC2:TIDIG_COMP_CNT: 2
; COMPUTE_PGM_RSRC3_GFX90A:ACCUM_OFFSET: 21
; COMPUTE_PGM_RSRC3_GFX90A:TG_SPLIT: 0
	.section	.text._ZN9rocsparseL18bsrxmvn_3x3_kernelILj256ELj4EiiiaaiEEvT3_20rocsparse_direction_NS_24const_host_device_scalarIT1_EES1_PKS1_PKT2_SA_S7_PKT4_PKT5_S5_PT6_21rocsparse_index_base_b,"axG",@progbits,_ZN9rocsparseL18bsrxmvn_3x3_kernelILj256ELj4EiiiaaiEEvT3_20rocsparse_direction_NS_24const_host_device_scalarIT1_EES1_PKS1_PKT2_SA_S7_PKT4_PKT5_S5_PT6_21rocsparse_index_base_b,comdat
	.globl	_ZN9rocsparseL18bsrxmvn_3x3_kernelILj256ELj4EiiiaaiEEvT3_20rocsparse_direction_NS_24const_host_device_scalarIT1_EES1_PKS1_PKT2_SA_S7_PKT4_PKT5_S5_PT6_21rocsparse_index_base_b ; -- Begin function _ZN9rocsparseL18bsrxmvn_3x3_kernelILj256ELj4EiiiaaiEEvT3_20rocsparse_direction_NS_24const_host_device_scalarIT1_EES1_PKS1_PKT2_SA_S7_PKT4_PKT5_S5_PT6_21rocsparse_index_base_b
	.p2align	8
	.type	_ZN9rocsparseL18bsrxmvn_3x3_kernelILj256ELj4EiiiaaiEEvT3_20rocsparse_direction_NS_24const_host_device_scalarIT1_EES1_PKS1_PKT2_SA_S7_PKT4_PKT5_S5_PT6_21rocsparse_index_base_b,@function
_ZN9rocsparseL18bsrxmvn_3x3_kernelILj256ELj4EiiiaaiEEvT3_20rocsparse_direction_NS_24const_host_device_scalarIT1_EES1_PKS1_PKT2_SA_S7_PKT4_PKT5_S5_PT6_21rocsparse_index_base_b: ; @_ZN9rocsparseL18bsrxmvn_3x3_kernelILj256ELj4EiiiaaiEEvT3_20rocsparse_direction_NS_24const_host_device_scalarIT1_EES1_PKS1_PKT2_SA_S7_PKT4_PKT5_S5_PT6_21rocsparse_index_base_b
; %bb.0:
	s_load_dwordx2 s[12:13], s[0:1], 0x58
	s_load_dwordx2 s[8:9], s[0:1], 0x8
	s_mov_b64 s[10:11], -1
	s_waitcnt lgkmcnt(0)
	s_bitcmp1_b32 s13, 0
	s_cselect_b64 s[4:5], -1, 0
	s_xor_b64 s[6:7], s[4:5], -1
	s_and_b64 vcc, exec, s[6:7]
                                        ; implicit-def: $sgpr13
	s_cbranch_vccnz .LBB60_4
; %bb.1:
	s_load_dwordx2 s[4:5], s[0:1], 0x48
	s_andn2_b64 vcc, exec, s[10:11]
	s_cbranch_vccz .LBB60_5
.LBB60_2:
	s_and_b64 vcc, exec, s[6:7]
	s_cbranch_vccz .LBB60_6
.LBB60_3:
	s_waitcnt lgkmcnt(0)
	s_load_dword s16, s[4:5], 0x0
	s_cbranch_execz .LBB60_7
	s_branch .LBB60_8
.LBB60_4:
	s_load_dword s13, s[8:9], 0x0
	s_load_dwordx2 s[4:5], s[0:1], 0x48
	s_cbranch_execnz .LBB60_2
.LBB60_5:
	s_waitcnt lgkmcnt(0)
	s_mov_b32 s13, s8
	s_and_b64 vcc, exec, s[6:7]
	s_cbranch_vccnz .LBB60_3
.LBB60_6:
                                        ; implicit-def: $sgpr16
.LBB60_7:
	s_waitcnt lgkmcnt(0)
	s_mov_b32 s16, s4
.LBB60_8:
	s_waitcnt lgkmcnt(0)
	s_cmp_lg_u32 s13, 0
	s_cselect_b64 s[4:5], -1, 0
	s_cmp_lg_u32 s16, 1
	s_cselect_b64 s[6:7], -1, 0
	s_or_b64 s[4:5], s[4:5], s[6:7]
	s_andn2_b64 vcc, exec, s[4:5]
	s_cbranch_vccnz .LBB60_14
; %bb.9:
	s_load_dwordx2 s[4:5], s[0:1], 0x18
	s_load_dwordx2 s[14:15], s[0:1], 0x0
	v_lshrrev_b32_e32 v1, 2, v0
	v_lshl_or_b32 v2, s2, 6, v1
	s_mov_b64 s[2:3], 0
	s_waitcnt lgkmcnt(0)
	s_cmp_lg_u64 s[4:5], 0
	s_cbranch_scc0 .LBB60_15
; %bb.10:
	s_load_dword s6, s[0:1], 0x10
                                        ; implicit-def: $vgpr1
	s_waitcnt lgkmcnt(0)
	v_cmp_gt_i32_e32 vcc, s6, v2
	s_and_saveexec_b64 s[6:7], vcc
	s_xor_b64 s[6:7], exec, s[6:7]
	s_cbranch_execz .LBB60_12
; %bb.11:
	v_ashrrev_i32_e32 v3, 31, v2
	v_lshl_add_u64 v[4:5], v[2:3], 2, s[4:5]
	global_load_dword v1, v[4:5], off
	s_mov_b64 s[2:3], exec
	s_waitcnt vmcnt(0)
	v_subrev_u32_e32 v1, s12, v1
.LBB60_12:
	s_or_b64 exec, exec, s[6:7]
	s_branch .LBB60_16
.LBB60_13:
	v_cmp_gt_i32_e32 vcc, s14, v2
	s_andn2_b64 s[2:3], s[2:3], exec
	s_and_b64 s[4:5], vcc, exec
	s_or_b64 s[2:3], s[2:3], s[4:5]
	s_and_saveexec_b64 s[4:5], s[2:3]
	s_cbranch_execnz .LBB60_17
.LBB60_14:
	s_endpgm
.LBB60_15:
                                        ; implicit-def: $vgpr1
	s_cbranch_execnz .LBB60_13
.LBB60_16:
	v_mov_b32_e32 v2, v1
	s_and_saveexec_b64 s[4:5], s[2:3]
	s_cbranch_execz .LBB60_14
.LBB60_17:
	s_load_dwordx8 s[4:11], s[0:1], 0x20
	v_ashrrev_i32_e32 v3, 31, v2
	v_lshlrev_b64 v[4:5], 2, v[2:3]
	v_and_b32_e32 v3, 3, v0
	s_waitcnt lgkmcnt(0)
	v_lshl_add_u64 v[6:7], s[4:5], 0, v[4:5]
	s_cmp_eq_u64 s[6:7], 0
	global_load_dword v1, v[6:7], off
	v_lshl_add_u64 v[6:7], v[6:7], 0, 4
	v_lshl_add_u64 v[4:5], s[6:7], 0, v[4:5]
	s_cselect_b64 vcc, -1, 0
	v_cndmask_b32_e32 v5, v5, v7, vcc
	v_cndmask_b32_e32 v4, v4, v6, vcc
	global_load_dword v4, v[4:5], off
	s_load_dwordx2 s[4:5], s[0:1], 0x40
	s_cmp_eq_u32 s15, 1
	s_waitcnt vmcnt(1)
	v_subrev_u32_e32 v0, s12, v1
	v_add_u32_e32 v0, v0, v3
	s_waitcnt vmcnt(0)
	v_subrev_u32_e32 v11, s12, v4
	v_mad_i64_i32 v[4:5], s[2:3], v0, 9, s[10:11]
	v_cmp_lt_i32_e64 s[2:3], v0, v11
	s_cbranch_scc1 .LBB60_23
; %bb.18:
	v_mov_b32_e32 v10, 0
	v_mov_b32_e32 v12, 0
	v_mov_b32_e32 v13, 0
	s_and_saveexec_b64 s[6:7], s[2:3]
	s_cbranch_execz .LBB60_22
; %bb.19:
	s_mov_b64 s[10:11], 0
	v_mov_b32_e32 v10, 0
	s_mov_b32 s14, 0xc0c0401
	s_mov_b32 s15, 0xc0c0201
	;; [unrolled: 1-line block ×6, first 2 shown]
	v_mov_b64_e32 v[6:7], v[4:5]
	v_mov_b32_e32 v8, v0
	v_mov_b32_e32 v12, 0
	v_mov_b32_e32 v13, 0
.LBB60_20:                              ; =>This Inner Loop Header: Depth=1
	v_ashrrev_i32_e32 v9, 31, v8
	v_lshl_add_u64 v[14:15], v[8:9], 2, s[8:9]
	global_load_dword v1, v[14:15], off
	global_load_dwordx2 v[16:17], v[6:7], off
	global_load_sbyte v9, v[6:7], off offset:8
	v_add_u32_e32 v8, 4, v8
	v_cmp_ge_i32_e32 vcc, v8, v11
	v_lshl_add_u64 v[6:7], v[6:7], 0, 36
	s_or_b64 s[10:11], vcc, s[10:11]
	s_waitcnt vmcnt(2)
	v_subrev_u32_e32 v1, s12, v1
	v_lshl_add_u32 v14, v1, 1, v1
	v_ashrrev_i32_e32 v15, 31, v14
	s_waitcnt lgkmcnt(0)
	v_lshl_add_u64 v[14:15], s[4:5], 0, v[14:15]
	global_load_ushort v1, v[14:15], off
	global_load_sbyte v18, v[14:15], off offset:2
	s_waitcnt vmcnt(3)
	v_bfe_i32 v14, v16, 0, 8
	v_perm_b32 v15, v16, v16, s15
	v_perm_b32 v19, v17, v16, s17
	s_waitcnt vmcnt(2)
	v_perm_b32 v9, v9, v16, s19
	v_perm_b32 v16, v17, v17, s20
	v_or_b32_e32 v9, v9, v16
	s_waitcnt vmcnt(1)
	v_bfe_i32 v16, v1, 0, 8
	s_waitcnt vmcnt(0)
	v_perm_b32 v17, v18, v1, s14
	v_perm_b32 v1, v18, v1, s18
	v_mad_i32_i24 v13, v16, v14, v13
	v_dot4c_i32_i8_e32 v12, v19, v1
	v_dot4c_i32_i8_e32 v10, v9, v1
	;; [unrolled: 1-line block ×3, first 2 shown]
	s_andn2_b64 exec, exec, s[10:11]
	s_cbranch_execnz .LBB60_20
; %bb.21:
	s_or_b64 exec, exec, s[10:11]
.LBB60_22:
	s_or_b64 exec, exec, s[6:7]
	s_cbranch_execz .LBB60_24
	s_branch .LBB60_29
.LBB60_23:
                                        ; implicit-def: $vgpr10
                                        ; implicit-def: $vgpr12
                                        ; implicit-def: $vgpr13
.LBB60_24:
	v_mov_b32_e32 v10, 0
	v_mov_b32_e32 v12, 0
	;; [unrolled: 1-line block ×3, first 2 shown]
	s_and_saveexec_b64 s[6:7], s[2:3]
	s_cbranch_execz .LBB60_28
; %bb.25:
	s_mov_b64 s[2:3], 0
	v_mov_b32_e32 v10, 0
	s_mov_b32 s10, 0xc0c0401
	s_mov_b32 s11, 0xc0c0603
	;; [unrolled: 1-line block ×5, first 2 shown]
	v_mov_b32_e32 v12, 0
	v_mov_b32_e32 v13, 0
.LBB60_26:                              ; =>This Inner Loop Header: Depth=1
	v_ashrrev_i32_e32 v1, 31, v0
	v_lshl_add_u64 v[6:7], v[0:1], 2, s[8:9]
	global_load_dword v1, v[6:7], off
	global_load_sbyte v14, v[4:5], off offset:8
	global_load_dwordx2 v[8:9], v[4:5], off
	v_add_u32_e32 v0, 4, v0
	v_cmp_ge_i32_e32 vcc, v0, v11
	v_lshl_add_u64 v[4:5], v[4:5], 0, 36
	s_or_b64 s[2:3], vcc, s[2:3]
	s_waitcnt vmcnt(2)
	v_subrev_u32_e32 v1, s12, v1
	v_lshl_add_u32 v6, v1, 1, v1
	v_ashrrev_i32_e32 v7, 31, v6
	s_waitcnt lgkmcnt(0)
	v_lshl_add_u64 v[6:7], s[4:5], 0, v[6:7]
	global_load_ushort v1, v[6:7], off
	global_load_sbyte v15, v[6:7], off offset:2
	s_waitcnt vmcnt(2)
	v_bfe_i32 v6, v8, 0, 8
	v_perm_b32 v7, v9, v8, s11
	v_perm_b32 v9, v9, v8, s14
	;; [unrolled: 1-line block ×3, first 2 shown]
	s_waitcnt vmcnt(1)
	v_bfe_i32 v14, v1, 0, 8
	s_waitcnt vmcnt(0)
	v_perm_b32 v16, v15, v1, s10
	v_perm_b32 v1, v15, v1, s15
	v_mad_i32_i24 v13, v14, v6, v13
	v_dot4c_i32_i8_e32 v12, v9, v1
	v_dot4c_i32_i8_e32 v10, v8, v1
	;; [unrolled: 1-line block ×3, first 2 shown]
	s_andn2_b64 exec, exec, s[2:3]
	s_cbranch_execnz .LBB60_26
; %bb.27:
	s_or_b64 exec, exec, s[2:3]
.LBB60_28:
	s_or_b64 exec, exec, s[6:7]
.LBB60_29:
	v_mov_b32_dpp v0, v13 row_shr:1 row_mask:0xf bank_mask:0xf
	v_mov_b32_dpp v4, v12 row_shr:1 row_mask:0xf bank_mask:0xf
	;; [unrolled: 1-line block ×3, first 2 shown]
	v_add_u32_e32 v0, v0, v13
	v_add_u32_e32 v4, v4, v12
	;; [unrolled: 1-line block ×3, first 2 shown]
	v_mov_b32_dpp v1, v0 row_shr:2 row_mask:0xf bank_mask:0xf
	v_mov_b32_dpp v5, v4 row_shr:2 row_mask:0xf bank_mask:0xf
	;; [unrolled: 1-line block ×3, first 2 shown]
	v_cmp_eq_u32_e32 vcc, 3, v3
	s_and_b64 exec, exec, vcc
	s_cbranch_execz .LBB60_14
; %bb.30:
	s_load_dwordx2 s[0:1], s[0:1], 0x50
	v_add_u32_e32 v0, v0, v1
	v_add_u32_e32 v1, v4, v5
	;; [unrolled: 1-line block ×3, first 2 shown]
	v_lshl_add_u32 v2, v2, 1, v2
	s_cmp_eq_u32 s16, 0
	v_mul_lo_u32 v0, v0, s13
	v_mul_lo_u32 v6, v1, s13
	v_mul_lo_u32 v4, v3, s13
	v_ashrrev_i32_e32 v3, 31, v2
	s_cbranch_scc1 .LBB60_32
; %bb.31:
	s_waitcnt lgkmcnt(0)
	v_lshl_add_u64 v[16:17], v[2:3], 2, s[0:1]
	global_load_dwordx3 v[8:10], v[16:17], off
	s_waitcnt vmcnt(0)
	v_mad_u64_u32 v[12:13], s[2:3], v8, s16, v[0:1]
	v_mad_u64_u32 v[8:9], s[2:3], v9, s16, v[6:7]
	;; [unrolled: 1-line block ×3, first 2 shown]
	v_mov_b32_e32 v13, v8
	v_mov_b32_e32 v14, v10
	global_store_dwordx3 v[16:17], v[12:14], off
	s_cbranch_execnz .LBB60_14
	s_branch .LBB60_33
.LBB60_32:
.LBB60_33:
	s_waitcnt lgkmcnt(0)
	v_lshl_add_u64 v[8:9], v[2:3], 2, s[0:1]
	v_mov_b32_e32 v1, v6
	v_mov_b32_e32 v2, v4
	global_store_dwordx3 v[8:9], v[0:2], off
	s_endpgm
	.section	.rodata,"a",@progbits
	.p2align	6, 0x0
	.amdhsa_kernel _ZN9rocsparseL18bsrxmvn_3x3_kernelILj256ELj4EiiiaaiEEvT3_20rocsparse_direction_NS_24const_host_device_scalarIT1_EES1_PKS1_PKT2_SA_S7_PKT4_PKT5_S5_PT6_21rocsparse_index_base_b
		.amdhsa_group_segment_fixed_size 0
		.amdhsa_private_segment_fixed_size 0
		.amdhsa_kernarg_size 96
		.amdhsa_user_sgpr_count 2
		.amdhsa_user_sgpr_dispatch_ptr 0
		.amdhsa_user_sgpr_queue_ptr 0
		.amdhsa_user_sgpr_kernarg_segment_ptr 1
		.amdhsa_user_sgpr_dispatch_id 0
		.amdhsa_user_sgpr_kernarg_preload_length 0
		.amdhsa_user_sgpr_kernarg_preload_offset 0
		.amdhsa_user_sgpr_private_segment_size 0
		.amdhsa_uses_dynamic_stack 0
		.amdhsa_enable_private_segment 0
		.amdhsa_system_sgpr_workgroup_id_x 1
		.amdhsa_system_sgpr_workgroup_id_y 0
		.amdhsa_system_sgpr_workgroup_id_z 0
		.amdhsa_system_sgpr_workgroup_info 0
		.amdhsa_system_vgpr_workitem_id 0
		.amdhsa_next_free_vgpr 20
		.amdhsa_next_free_sgpr 21
		.amdhsa_accum_offset 20
		.amdhsa_reserve_vcc 1
		.amdhsa_float_round_mode_32 0
		.amdhsa_float_round_mode_16_64 0
		.amdhsa_float_denorm_mode_32 3
		.amdhsa_float_denorm_mode_16_64 3
		.amdhsa_dx10_clamp 1
		.amdhsa_ieee_mode 1
		.amdhsa_fp16_overflow 0
		.amdhsa_tg_split 0
		.amdhsa_exception_fp_ieee_invalid_op 0
		.amdhsa_exception_fp_denorm_src 0
		.amdhsa_exception_fp_ieee_div_zero 0
		.amdhsa_exception_fp_ieee_overflow 0
		.amdhsa_exception_fp_ieee_underflow 0
		.amdhsa_exception_fp_ieee_inexact 0
		.amdhsa_exception_int_div_zero 0
	.end_amdhsa_kernel
	.section	.text._ZN9rocsparseL18bsrxmvn_3x3_kernelILj256ELj4EiiiaaiEEvT3_20rocsparse_direction_NS_24const_host_device_scalarIT1_EES1_PKS1_PKT2_SA_S7_PKT4_PKT5_S5_PT6_21rocsparse_index_base_b,"axG",@progbits,_ZN9rocsparseL18bsrxmvn_3x3_kernelILj256ELj4EiiiaaiEEvT3_20rocsparse_direction_NS_24const_host_device_scalarIT1_EES1_PKS1_PKT2_SA_S7_PKT4_PKT5_S5_PT6_21rocsparse_index_base_b,comdat
.Lfunc_end60:
	.size	_ZN9rocsparseL18bsrxmvn_3x3_kernelILj256ELj4EiiiaaiEEvT3_20rocsparse_direction_NS_24const_host_device_scalarIT1_EES1_PKS1_PKT2_SA_S7_PKT4_PKT5_S5_PT6_21rocsparse_index_base_b, .Lfunc_end60-_ZN9rocsparseL18bsrxmvn_3x3_kernelILj256ELj4EiiiaaiEEvT3_20rocsparse_direction_NS_24const_host_device_scalarIT1_EES1_PKS1_PKT2_SA_S7_PKT4_PKT5_S5_PT6_21rocsparse_index_base_b
                                        ; -- End function
	.section	.AMDGPU.csdata,"",@progbits
; Kernel info:
; codeLenInByte = 1304
; NumSgprs: 27
; NumVgprs: 20
; NumAgprs: 0
; TotalNumVgprs: 20
; ScratchSize: 0
; MemoryBound: 0
; FloatMode: 240
; IeeeMode: 1
; LDSByteSize: 0 bytes/workgroup (compile time only)
; SGPRBlocks: 3
; VGPRBlocks: 2
; NumSGPRsForWavesPerEU: 27
; NumVGPRsForWavesPerEU: 20
; AccumOffset: 20
; Occupancy: 8
; WaveLimiterHint : 1
; COMPUTE_PGM_RSRC2:SCRATCH_EN: 0
; COMPUTE_PGM_RSRC2:USER_SGPR: 2
; COMPUTE_PGM_RSRC2:TRAP_HANDLER: 0
; COMPUTE_PGM_RSRC2:TGID_X_EN: 1
; COMPUTE_PGM_RSRC2:TGID_Y_EN: 0
; COMPUTE_PGM_RSRC2:TGID_Z_EN: 0
; COMPUTE_PGM_RSRC2:TIDIG_COMP_CNT: 0
; COMPUTE_PGM_RSRC3_GFX90A:ACCUM_OFFSET: 4
; COMPUTE_PGM_RSRC3_GFX90A:TG_SPLIT: 0
	.section	.text._ZN9rocsparseL18bsrxmvn_3x3_kernelILj256ELj8EiiiaaiEEvT3_20rocsparse_direction_NS_24const_host_device_scalarIT1_EES1_PKS1_PKT2_SA_S7_PKT4_PKT5_S5_PT6_21rocsparse_index_base_b,"axG",@progbits,_ZN9rocsparseL18bsrxmvn_3x3_kernelILj256ELj8EiiiaaiEEvT3_20rocsparse_direction_NS_24const_host_device_scalarIT1_EES1_PKS1_PKT2_SA_S7_PKT4_PKT5_S5_PT6_21rocsparse_index_base_b,comdat
	.globl	_ZN9rocsparseL18bsrxmvn_3x3_kernelILj256ELj8EiiiaaiEEvT3_20rocsparse_direction_NS_24const_host_device_scalarIT1_EES1_PKS1_PKT2_SA_S7_PKT4_PKT5_S5_PT6_21rocsparse_index_base_b ; -- Begin function _ZN9rocsparseL18bsrxmvn_3x3_kernelILj256ELj8EiiiaaiEEvT3_20rocsparse_direction_NS_24const_host_device_scalarIT1_EES1_PKS1_PKT2_SA_S7_PKT4_PKT5_S5_PT6_21rocsparse_index_base_b
	.p2align	8
	.type	_ZN9rocsparseL18bsrxmvn_3x3_kernelILj256ELj8EiiiaaiEEvT3_20rocsparse_direction_NS_24const_host_device_scalarIT1_EES1_PKS1_PKT2_SA_S7_PKT4_PKT5_S5_PT6_21rocsparse_index_base_b,@function
_ZN9rocsparseL18bsrxmvn_3x3_kernelILj256ELj8EiiiaaiEEvT3_20rocsparse_direction_NS_24const_host_device_scalarIT1_EES1_PKS1_PKT2_SA_S7_PKT4_PKT5_S5_PT6_21rocsparse_index_base_b: ; @_ZN9rocsparseL18bsrxmvn_3x3_kernelILj256ELj8EiiiaaiEEvT3_20rocsparse_direction_NS_24const_host_device_scalarIT1_EES1_PKS1_PKT2_SA_S7_PKT4_PKT5_S5_PT6_21rocsparse_index_base_b
; %bb.0:
	s_load_dwordx2 s[12:13], s[0:1], 0x58
	s_load_dwordx2 s[8:9], s[0:1], 0x8
	s_mov_b64 s[10:11], -1
	s_waitcnt lgkmcnt(0)
	s_bitcmp1_b32 s13, 0
	s_cselect_b64 s[4:5], -1, 0
	s_xor_b64 s[6:7], s[4:5], -1
	s_and_b64 vcc, exec, s[6:7]
                                        ; implicit-def: $sgpr13
	s_cbranch_vccnz .LBB61_4
; %bb.1:
	s_load_dwordx2 s[4:5], s[0:1], 0x48
	s_andn2_b64 vcc, exec, s[10:11]
	s_cbranch_vccz .LBB61_5
.LBB61_2:
	s_and_b64 vcc, exec, s[6:7]
	s_cbranch_vccz .LBB61_6
.LBB61_3:
	s_waitcnt lgkmcnt(0)
	s_load_dword s16, s[4:5], 0x0
	s_cbranch_execz .LBB61_7
	s_branch .LBB61_8
.LBB61_4:
	s_load_dword s13, s[8:9], 0x0
	s_load_dwordx2 s[4:5], s[0:1], 0x48
	s_cbranch_execnz .LBB61_2
.LBB61_5:
	s_waitcnt lgkmcnt(0)
	s_mov_b32 s13, s8
	s_and_b64 vcc, exec, s[6:7]
	s_cbranch_vccnz .LBB61_3
.LBB61_6:
                                        ; implicit-def: $sgpr16
.LBB61_7:
	s_waitcnt lgkmcnt(0)
	s_mov_b32 s16, s4
.LBB61_8:
	s_waitcnt lgkmcnt(0)
	s_cmp_lg_u32 s13, 0
	s_cselect_b64 s[4:5], -1, 0
	s_cmp_lg_u32 s16, 1
	s_cselect_b64 s[6:7], -1, 0
	s_or_b64 s[4:5], s[4:5], s[6:7]
	s_andn2_b64 vcc, exec, s[4:5]
	s_cbranch_vccnz .LBB61_14
; %bb.9:
	s_load_dwordx2 s[4:5], s[0:1], 0x18
	s_load_dwordx2 s[14:15], s[0:1], 0x0
	v_lshrrev_b32_e32 v1, 3, v0
	v_lshl_or_b32 v2, s2, 5, v1
	s_mov_b64 s[2:3], 0
	s_waitcnt lgkmcnt(0)
	s_cmp_lg_u64 s[4:5], 0
	s_cbranch_scc0 .LBB61_15
; %bb.10:
	s_load_dword s6, s[0:1], 0x10
                                        ; implicit-def: $vgpr1
	s_waitcnt lgkmcnt(0)
	v_cmp_gt_i32_e32 vcc, s6, v2
	s_and_saveexec_b64 s[6:7], vcc
	s_xor_b64 s[6:7], exec, s[6:7]
	s_cbranch_execz .LBB61_12
; %bb.11:
	v_ashrrev_i32_e32 v3, 31, v2
	v_lshl_add_u64 v[4:5], v[2:3], 2, s[4:5]
	global_load_dword v1, v[4:5], off
	s_mov_b64 s[2:3], exec
	s_waitcnt vmcnt(0)
	v_subrev_u32_e32 v1, s12, v1
.LBB61_12:
	s_or_b64 exec, exec, s[6:7]
	s_branch .LBB61_16
.LBB61_13:
	v_cmp_gt_i32_e32 vcc, s14, v2
	s_andn2_b64 s[2:3], s[2:3], exec
	s_and_b64 s[4:5], vcc, exec
	s_or_b64 s[2:3], s[2:3], s[4:5]
	s_and_saveexec_b64 s[4:5], s[2:3]
	s_cbranch_execnz .LBB61_17
.LBB61_14:
	s_endpgm
.LBB61_15:
                                        ; implicit-def: $vgpr1
	s_cbranch_execnz .LBB61_13
.LBB61_16:
	v_mov_b32_e32 v2, v1
	s_and_saveexec_b64 s[4:5], s[2:3]
	s_cbranch_execz .LBB61_14
.LBB61_17:
	s_load_dwordx8 s[4:11], s[0:1], 0x20
	v_ashrrev_i32_e32 v3, 31, v2
	v_lshlrev_b64 v[4:5], 2, v[2:3]
	v_and_b32_e32 v3, 7, v0
	s_waitcnt lgkmcnt(0)
	v_lshl_add_u64 v[6:7], s[4:5], 0, v[4:5]
	s_cmp_eq_u64 s[6:7], 0
	global_load_dword v1, v[6:7], off
	v_lshl_add_u64 v[6:7], v[6:7], 0, 4
	v_lshl_add_u64 v[4:5], s[6:7], 0, v[4:5]
	s_cselect_b64 vcc, -1, 0
	v_cndmask_b32_e32 v5, v5, v7, vcc
	v_cndmask_b32_e32 v4, v4, v6, vcc
	global_load_dword v4, v[4:5], off
	s_load_dwordx2 s[4:5], s[0:1], 0x40
	s_cmp_eq_u32 s15, 1
	s_waitcnt vmcnt(1)
	v_subrev_u32_e32 v0, s12, v1
	v_add_u32_e32 v0, v0, v3
	s_waitcnt vmcnt(0)
	v_subrev_u32_e32 v11, s12, v4
	v_mad_i64_i32 v[4:5], s[2:3], v0, 9, s[10:11]
	v_cmp_lt_i32_e64 s[2:3], v0, v11
	s_cbranch_scc1 .LBB61_23
; %bb.18:
	v_mov_b32_e32 v10, 0
	v_mov_b32_e32 v12, 0
	;; [unrolled: 1-line block ×3, first 2 shown]
	s_and_saveexec_b64 s[6:7], s[2:3]
	s_cbranch_execz .LBB61_22
; %bb.19:
	s_mov_b64 s[10:11], 0
	v_mov_b32_e32 v10, 0
	s_mov_b32 s17, 0xc0c0401
	s_mov_b32 s18, 0xc0c0201
	;; [unrolled: 1-line block ×6, first 2 shown]
	s_mov_b64 s[14:15], 0x48
	v_mov_b64_e32 v[6:7], v[4:5]
	v_mov_b32_e32 v8, v0
	v_mov_b32_e32 v12, 0
	v_mov_b32_e32 v13, 0
.LBB61_20:                              ; =>This Inner Loop Header: Depth=1
	v_ashrrev_i32_e32 v9, 31, v8
	v_lshl_add_u64 v[14:15], v[8:9], 2, s[8:9]
	global_load_dword v1, v[14:15], off
	global_load_dwordx2 v[16:17], v[6:7], off
	global_load_sbyte v9, v[6:7], off offset:8
	v_add_u32_e32 v8, 8, v8
	v_cmp_ge_i32_e32 vcc, v8, v11
	v_lshl_add_u64 v[6:7], v[6:7], 0, s[14:15]
	s_or_b64 s[10:11], vcc, s[10:11]
	s_waitcnt vmcnt(2)
	v_subrev_u32_e32 v1, s12, v1
	v_lshl_add_u32 v14, v1, 1, v1
	v_ashrrev_i32_e32 v15, 31, v14
	s_waitcnt lgkmcnt(0)
	v_lshl_add_u64 v[14:15], s[4:5], 0, v[14:15]
	global_load_ushort v1, v[14:15], off
	global_load_sbyte v18, v[14:15], off offset:2
	s_waitcnt vmcnt(3)
	v_bfe_i32 v14, v16, 0, 8
	v_perm_b32 v15, v16, v16, s18
	v_perm_b32 v19, v17, v16, s19
	s_waitcnt vmcnt(2)
	v_perm_b32 v9, v9, v16, s21
	v_perm_b32 v16, v17, v17, s22
	v_or_b32_e32 v9, v9, v16
	s_waitcnt vmcnt(1)
	v_bfe_i32 v16, v1, 0, 8
	s_waitcnt vmcnt(0)
	v_perm_b32 v17, v18, v1, s17
	v_perm_b32 v1, v18, v1, s20
	v_mad_i32_i24 v13, v16, v14, v13
	v_dot4c_i32_i8_e32 v12, v19, v1
	v_dot4c_i32_i8_e32 v10, v9, v1
	;; [unrolled: 1-line block ×3, first 2 shown]
	s_andn2_b64 exec, exec, s[10:11]
	s_cbranch_execnz .LBB61_20
; %bb.21:
	s_or_b64 exec, exec, s[10:11]
.LBB61_22:
	s_or_b64 exec, exec, s[6:7]
	s_cbranch_execz .LBB61_24
	s_branch .LBB61_29
.LBB61_23:
                                        ; implicit-def: $vgpr10
                                        ; implicit-def: $vgpr12
                                        ; implicit-def: $vgpr13
.LBB61_24:
	v_mov_b32_e32 v10, 0
	v_mov_b32_e32 v12, 0
	;; [unrolled: 1-line block ×3, first 2 shown]
	s_and_saveexec_b64 s[6:7], s[2:3]
	s_cbranch_execz .LBB61_28
; %bb.25:
	s_mov_b64 s[2:3], 0
	v_mov_b32_e32 v10, 0
	s_mov_b32 s14, 0xc0c0401
	s_mov_b32 s15, 0xc0c0603
	;; [unrolled: 1-line block ×5, first 2 shown]
	s_mov_b64 s[10:11], 0x48
	v_mov_b32_e32 v12, 0
	v_mov_b32_e32 v13, 0
.LBB61_26:                              ; =>This Inner Loop Header: Depth=1
	v_ashrrev_i32_e32 v1, 31, v0
	v_lshl_add_u64 v[6:7], v[0:1], 2, s[8:9]
	global_load_dword v1, v[6:7], off
	global_load_sbyte v14, v[4:5], off offset:8
	global_load_dwordx2 v[8:9], v[4:5], off
	v_add_u32_e32 v0, 8, v0
	v_cmp_ge_i32_e32 vcc, v0, v11
	v_lshl_add_u64 v[4:5], v[4:5], 0, s[10:11]
	s_or_b64 s[2:3], vcc, s[2:3]
	s_waitcnt vmcnt(2)
	v_subrev_u32_e32 v1, s12, v1
	v_lshl_add_u32 v6, v1, 1, v1
	v_ashrrev_i32_e32 v7, 31, v6
	s_waitcnt lgkmcnt(0)
	v_lshl_add_u64 v[6:7], s[4:5], 0, v[6:7]
	global_load_ushort v1, v[6:7], off
	global_load_sbyte v15, v[6:7], off offset:2
	s_waitcnt vmcnt(2)
	v_bfe_i32 v6, v8, 0, 8
	v_perm_b32 v7, v9, v8, s15
	v_perm_b32 v9, v9, v8, s17
	;; [unrolled: 1-line block ×3, first 2 shown]
	s_waitcnt vmcnt(1)
	v_bfe_i32 v14, v1, 0, 8
	s_waitcnt vmcnt(0)
	v_perm_b32 v16, v15, v1, s14
	v_perm_b32 v1, v15, v1, s18
	v_mad_i32_i24 v13, v14, v6, v13
	v_dot4c_i32_i8_e32 v12, v9, v1
	v_dot4c_i32_i8_e32 v10, v8, v1
	;; [unrolled: 1-line block ×3, first 2 shown]
	s_andn2_b64 exec, exec, s[2:3]
	s_cbranch_execnz .LBB61_26
; %bb.27:
	s_or_b64 exec, exec, s[2:3]
.LBB61_28:
	s_or_b64 exec, exec, s[6:7]
.LBB61_29:
	v_mov_b32_dpp v0, v13 row_shr:1 row_mask:0xf bank_mask:0xf
	v_mov_b32_dpp v4, v12 row_shr:1 row_mask:0xf bank_mask:0xf
	;; [unrolled: 1-line block ×3, first 2 shown]
	v_add_u32_e32 v0, v0, v13
	v_add_u32_e32 v4, v4, v12
	;; [unrolled: 1-line block ×3, first 2 shown]
	v_mov_b32_dpp v1, v0 row_shr:2 row_mask:0xf bank_mask:0xf
	v_mov_b32_dpp v5, v4 row_shr:2 row_mask:0xf bank_mask:0xf
	;; [unrolled: 1-line block ×3, first 2 shown]
	v_add_u32_e32 v0, v0, v1
	v_add_u32_e32 v4, v4, v5
	;; [unrolled: 1-line block ×3, first 2 shown]
	v_mov_b32_dpp v1, v0 row_shr:4 row_mask:0xf bank_mask:0xe
	v_mov_b32_dpp v5, v4 row_shr:4 row_mask:0xf bank_mask:0xe
	;; [unrolled: 1-line block ×3, first 2 shown]
	v_cmp_eq_u32_e32 vcc, 7, v3
	s_and_b64 exec, exec, vcc
	s_cbranch_execz .LBB61_14
; %bb.30:
	s_load_dwordx2 s[0:1], s[0:1], 0x50
	v_add_u32_e32 v0, v0, v1
	v_add_u32_e32 v1, v4, v5
	;; [unrolled: 1-line block ×3, first 2 shown]
	v_lshl_add_u32 v2, v2, 1, v2
	s_cmp_eq_u32 s16, 0
	v_mul_lo_u32 v0, v0, s13
	v_mul_lo_u32 v6, v1, s13
	;; [unrolled: 1-line block ×3, first 2 shown]
	v_ashrrev_i32_e32 v3, 31, v2
	s_cbranch_scc1 .LBB61_32
; %bb.31:
	s_waitcnt lgkmcnt(0)
	v_lshl_add_u64 v[16:17], v[2:3], 2, s[0:1]
	global_load_dwordx3 v[8:10], v[16:17], off
	s_waitcnt vmcnt(0)
	v_mad_u64_u32 v[12:13], s[2:3], v8, s16, v[0:1]
	v_mad_u64_u32 v[8:9], s[2:3], v9, s16, v[6:7]
	;; [unrolled: 1-line block ×3, first 2 shown]
	v_mov_b32_e32 v13, v8
	v_mov_b32_e32 v14, v10
	global_store_dwordx3 v[16:17], v[12:14], off
	s_cbranch_execnz .LBB61_14
	s_branch .LBB61_33
.LBB61_32:
.LBB61_33:
	s_waitcnt lgkmcnt(0)
	v_lshl_add_u64 v[8:9], v[2:3], 2, s[0:1]
	v_mov_b32_e32 v1, v6
	v_mov_b32_e32 v2, v4
	global_store_dwordx3 v[8:9], v[0:2], off
	s_endpgm
	.section	.rodata,"a",@progbits
	.p2align	6, 0x0
	.amdhsa_kernel _ZN9rocsparseL18bsrxmvn_3x3_kernelILj256ELj8EiiiaaiEEvT3_20rocsparse_direction_NS_24const_host_device_scalarIT1_EES1_PKS1_PKT2_SA_S7_PKT4_PKT5_S5_PT6_21rocsparse_index_base_b
		.amdhsa_group_segment_fixed_size 0
		.amdhsa_private_segment_fixed_size 0
		.amdhsa_kernarg_size 96
		.amdhsa_user_sgpr_count 2
		.amdhsa_user_sgpr_dispatch_ptr 0
		.amdhsa_user_sgpr_queue_ptr 0
		.amdhsa_user_sgpr_kernarg_segment_ptr 1
		.amdhsa_user_sgpr_dispatch_id 0
		.amdhsa_user_sgpr_kernarg_preload_length 0
		.amdhsa_user_sgpr_kernarg_preload_offset 0
		.amdhsa_user_sgpr_private_segment_size 0
		.amdhsa_uses_dynamic_stack 0
		.amdhsa_enable_private_segment 0
		.amdhsa_system_sgpr_workgroup_id_x 1
		.amdhsa_system_sgpr_workgroup_id_y 0
		.amdhsa_system_sgpr_workgroup_id_z 0
		.amdhsa_system_sgpr_workgroup_info 0
		.amdhsa_system_vgpr_workitem_id 0
		.amdhsa_next_free_vgpr 20
		.amdhsa_next_free_sgpr 23
		.amdhsa_accum_offset 20
		.amdhsa_reserve_vcc 1
		.amdhsa_float_round_mode_32 0
		.amdhsa_float_round_mode_16_64 0
		.amdhsa_float_denorm_mode_32 3
		.amdhsa_float_denorm_mode_16_64 3
		.amdhsa_dx10_clamp 1
		.amdhsa_ieee_mode 1
		.amdhsa_fp16_overflow 0
		.amdhsa_tg_split 0
		.amdhsa_exception_fp_ieee_invalid_op 0
		.amdhsa_exception_fp_denorm_src 0
		.amdhsa_exception_fp_ieee_div_zero 0
		.amdhsa_exception_fp_ieee_overflow 0
		.amdhsa_exception_fp_ieee_underflow 0
		.amdhsa_exception_fp_ieee_inexact 0
		.amdhsa_exception_int_div_zero 0
	.end_amdhsa_kernel
	.section	.text._ZN9rocsparseL18bsrxmvn_3x3_kernelILj256ELj8EiiiaaiEEvT3_20rocsparse_direction_NS_24const_host_device_scalarIT1_EES1_PKS1_PKT2_SA_S7_PKT4_PKT5_S5_PT6_21rocsparse_index_base_b,"axG",@progbits,_ZN9rocsparseL18bsrxmvn_3x3_kernelILj256ELj8EiiiaaiEEvT3_20rocsparse_direction_NS_24const_host_device_scalarIT1_EES1_PKS1_PKT2_SA_S7_PKT4_PKT5_S5_PT6_21rocsparse_index_base_b,comdat
.Lfunc_end61:
	.size	_ZN9rocsparseL18bsrxmvn_3x3_kernelILj256ELj8EiiiaaiEEvT3_20rocsparse_direction_NS_24const_host_device_scalarIT1_EES1_PKS1_PKT2_SA_S7_PKT4_PKT5_S5_PT6_21rocsparse_index_base_b, .Lfunc_end61-_ZN9rocsparseL18bsrxmvn_3x3_kernelILj256ELj8EiiiaaiEEvT3_20rocsparse_direction_NS_24const_host_device_scalarIT1_EES1_PKS1_PKT2_SA_S7_PKT4_PKT5_S5_PT6_21rocsparse_index_base_b
                                        ; -- End function
	.section	.AMDGPU.csdata,"",@progbits
; Kernel info:
; codeLenInByte = 1356
; NumSgprs: 29
; NumVgprs: 20
; NumAgprs: 0
; TotalNumVgprs: 20
; ScratchSize: 0
; MemoryBound: 0
; FloatMode: 240
; IeeeMode: 1
; LDSByteSize: 0 bytes/workgroup (compile time only)
; SGPRBlocks: 3
; VGPRBlocks: 2
; NumSGPRsForWavesPerEU: 29
; NumVGPRsForWavesPerEU: 20
; AccumOffset: 20
; Occupancy: 8
; WaveLimiterHint : 1
; COMPUTE_PGM_RSRC2:SCRATCH_EN: 0
; COMPUTE_PGM_RSRC2:USER_SGPR: 2
; COMPUTE_PGM_RSRC2:TRAP_HANDLER: 0
; COMPUTE_PGM_RSRC2:TGID_X_EN: 1
; COMPUTE_PGM_RSRC2:TGID_Y_EN: 0
; COMPUTE_PGM_RSRC2:TGID_Z_EN: 0
; COMPUTE_PGM_RSRC2:TIDIG_COMP_CNT: 0
; COMPUTE_PGM_RSRC3_GFX90A:ACCUM_OFFSET: 4
; COMPUTE_PGM_RSRC3_GFX90A:TG_SPLIT: 0
	.section	.text._ZN9rocsparseL18bsrxmvn_3x3_kernelILj256ELj16EiiiaaiEEvT3_20rocsparse_direction_NS_24const_host_device_scalarIT1_EES1_PKS1_PKT2_SA_S7_PKT4_PKT5_S5_PT6_21rocsparse_index_base_b,"axG",@progbits,_ZN9rocsparseL18bsrxmvn_3x3_kernelILj256ELj16EiiiaaiEEvT3_20rocsparse_direction_NS_24const_host_device_scalarIT1_EES1_PKS1_PKT2_SA_S7_PKT4_PKT5_S5_PT6_21rocsparse_index_base_b,comdat
	.globl	_ZN9rocsparseL18bsrxmvn_3x3_kernelILj256ELj16EiiiaaiEEvT3_20rocsparse_direction_NS_24const_host_device_scalarIT1_EES1_PKS1_PKT2_SA_S7_PKT4_PKT5_S5_PT6_21rocsparse_index_base_b ; -- Begin function _ZN9rocsparseL18bsrxmvn_3x3_kernelILj256ELj16EiiiaaiEEvT3_20rocsparse_direction_NS_24const_host_device_scalarIT1_EES1_PKS1_PKT2_SA_S7_PKT4_PKT5_S5_PT6_21rocsparse_index_base_b
	.p2align	8
	.type	_ZN9rocsparseL18bsrxmvn_3x3_kernelILj256ELj16EiiiaaiEEvT3_20rocsparse_direction_NS_24const_host_device_scalarIT1_EES1_PKS1_PKT2_SA_S7_PKT4_PKT5_S5_PT6_21rocsparse_index_base_b,@function
_ZN9rocsparseL18bsrxmvn_3x3_kernelILj256ELj16EiiiaaiEEvT3_20rocsparse_direction_NS_24const_host_device_scalarIT1_EES1_PKS1_PKT2_SA_S7_PKT4_PKT5_S5_PT6_21rocsparse_index_base_b: ; @_ZN9rocsparseL18bsrxmvn_3x3_kernelILj256ELj16EiiiaaiEEvT3_20rocsparse_direction_NS_24const_host_device_scalarIT1_EES1_PKS1_PKT2_SA_S7_PKT4_PKT5_S5_PT6_21rocsparse_index_base_b
; %bb.0:
	s_load_dwordx2 s[12:13], s[0:1], 0x58
	s_load_dwordx2 s[8:9], s[0:1], 0x8
	s_mov_b64 s[10:11], -1
	s_waitcnt lgkmcnt(0)
	s_bitcmp1_b32 s13, 0
	s_cselect_b64 s[4:5], -1, 0
	s_xor_b64 s[6:7], s[4:5], -1
	s_and_b64 vcc, exec, s[6:7]
                                        ; implicit-def: $sgpr13
	s_cbranch_vccnz .LBB62_4
; %bb.1:
	s_load_dwordx2 s[4:5], s[0:1], 0x48
	s_andn2_b64 vcc, exec, s[10:11]
	s_cbranch_vccz .LBB62_5
.LBB62_2:
	s_and_b64 vcc, exec, s[6:7]
	s_cbranch_vccz .LBB62_6
.LBB62_3:
	s_waitcnt lgkmcnt(0)
	s_load_dword s16, s[4:5], 0x0
	s_cbranch_execz .LBB62_7
	s_branch .LBB62_8
.LBB62_4:
	s_load_dword s13, s[8:9], 0x0
	s_load_dwordx2 s[4:5], s[0:1], 0x48
	s_cbranch_execnz .LBB62_2
.LBB62_5:
	s_waitcnt lgkmcnt(0)
	s_mov_b32 s13, s8
	s_and_b64 vcc, exec, s[6:7]
	s_cbranch_vccnz .LBB62_3
.LBB62_6:
                                        ; implicit-def: $sgpr16
.LBB62_7:
	s_waitcnt lgkmcnt(0)
	s_mov_b32 s16, s4
.LBB62_8:
	s_waitcnt lgkmcnt(0)
	s_cmp_lg_u32 s13, 0
	s_cselect_b64 s[4:5], -1, 0
	s_cmp_lg_u32 s16, 1
	s_cselect_b64 s[6:7], -1, 0
	s_or_b64 s[4:5], s[4:5], s[6:7]
	s_andn2_b64 vcc, exec, s[4:5]
	s_cbranch_vccnz .LBB62_14
; %bb.9:
	s_load_dwordx2 s[4:5], s[0:1], 0x18
	s_load_dwordx2 s[14:15], s[0:1], 0x0
	v_lshrrev_b32_e32 v1, 4, v0
	v_lshl_or_b32 v2, s2, 4, v1
	s_mov_b64 s[2:3], 0
	s_waitcnt lgkmcnt(0)
	s_cmp_lg_u64 s[4:5], 0
	s_cbranch_scc0 .LBB62_15
; %bb.10:
	s_load_dword s6, s[0:1], 0x10
                                        ; implicit-def: $vgpr1
	s_waitcnt lgkmcnt(0)
	v_cmp_gt_i32_e32 vcc, s6, v2
	s_and_saveexec_b64 s[6:7], vcc
	s_xor_b64 s[6:7], exec, s[6:7]
	s_cbranch_execz .LBB62_12
; %bb.11:
	v_ashrrev_i32_e32 v3, 31, v2
	v_lshl_add_u64 v[4:5], v[2:3], 2, s[4:5]
	global_load_dword v1, v[4:5], off
	s_mov_b64 s[2:3], exec
	s_waitcnt vmcnt(0)
	v_subrev_u32_e32 v1, s12, v1
.LBB62_12:
	s_or_b64 exec, exec, s[6:7]
	s_branch .LBB62_16
.LBB62_13:
	v_cmp_gt_i32_e32 vcc, s14, v2
	s_andn2_b64 s[2:3], s[2:3], exec
	s_and_b64 s[4:5], vcc, exec
	s_or_b64 s[2:3], s[2:3], s[4:5]
	s_and_saveexec_b64 s[4:5], s[2:3]
	s_cbranch_execnz .LBB62_17
.LBB62_14:
	s_endpgm
.LBB62_15:
                                        ; implicit-def: $vgpr1
	s_cbranch_execnz .LBB62_13
.LBB62_16:
	v_mov_b32_e32 v2, v1
	s_and_saveexec_b64 s[4:5], s[2:3]
	s_cbranch_execz .LBB62_14
.LBB62_17:
	s_load_dwordx8 s[4:11], s[0:1], 0x20
	v_ashrrev_i32_e32 v3, 31, v2
	v_lshlrev_b64 v[4:5], 2, v[2:3]
	v_and_b32_e32 v3, 15, v0
	s_waitcnt lgkmcnt(0)
	v_lshl_add_u64 v[6:7], s[4:5], 0, v[4:5]
	s_cmp_eq_u64 s[6:7], 0
	global_load_dword v1, v[6:7], off
	v_lshl_add_u64 v[6:7], v[6:7], 0, 4
	v_lshl_add_u64 v[4:5], s[6:7], 0, v[4:5]
	s_cselect_b64 vcc, -1, 0
	v_cndmask_b32_e32 v5, v5, v7, vcc
	v_cndmask_b32_e32 v4, v4, v6, vcc
	global_load_dword v4, v[4:5], off
	s_load_dwordx2 s[4:5], s[0:1], 0x40
	s_cmp_eq_u32 s15, 1
	s_waitcnt vmcnt(1)
	v_subrev_u32_e32 v0, s12, v1
	v_add_u32_e32 v0, v0, v3
	s_waitcnt vmcnt(0)
	v_subrev_u32_e32 v11, s12, v4
	v_mad_i64_i32 v[4:5], s[2:3], v0, 9, s[10:11]
	v_cmp_lt_i32_e64 s[2:3], v0, v11
	s_cbranch_scc1 .LBB62_23
; %bb.18:
	v_mov_b32_e32 v10, 0
	v_mov_b32_e32 v12, 0
	;; [unrolled: 1-line block ×3, first 2 shown]
	s_and_saveexec_b64 s[6:7], s[2:3]
	s_cbranch_execz .LBB62_22
; %bb.19:
	s_mov_b64 s[10:11], 0
	v_mov_b32_e32 v10, 0
	s_mov_b32 s17, 0xc0c0401
	s_mov_b32 s18, 0xc0c0201
	;; [unrolled: 1-line block ×6, first 2 shown]
	s_mov_b64 s[14:15], 0x90
	v_mov_b64_e32 v[6:7], v[4:5]
	v_mov_b32_e32 v8, v0
	v_mov_b32_e32 v12, 0
	;; [unrolled: 1-line block ×3, first 2 shown]
.LBB62_20:                              ; =>This Inner Loop Header: Depth=1
	v_ashrrev_i32_e32 v9, 31, v8
	v_lshl_add_u64 v[14:15], v[8:9], 2, s[8:9]
	global_load_dword v1, v[14:15], off
	global_load_dwordx2 v[16:17], v[6:7], off
	global_load_sbyte v9, v[6:7], off offset:8
	v_add_u32_e32 v8, 16, v8
	v_cmp_ge_i32_e32 vcc, v8, v11
	v_lshl_add_u64 v[6:7], v[6:7], 0, s[14:15]
	s_or_b64 s[10:11], vcc, s[10:11]
	s_waitcnt vmcnt(2)
	v_subrev_u32_e32 v1, s12, v1
	v_lshl_add_u32 v14, v1, 1, v1
	v_ashrrev_i32_e32 v15, 31, v14
	s_waitcnt lgkmcnt(0)
	v_lshl_add_u64 v[14:15], s[4:5], 0, v[14:15]
	global_load_ushort v1, v[14:15], off
	global_load_sbyte v18, v[14:15], off offset:2
	s_waitcnt vmcnt(3)
	v_bfe_i32 v14, v16, 0, 8
	v_perm_b32 v15, v16, v16, s18
	v_perm_b32 v19, v17, v16, s19
	s_waitcnt vmcnt(2)
	v_perm_b32 v9, v9, v16, s21
	v_perm_b32 v16, v17, v17, s22
	v_or_b32_e32 v9, v9, v16
	s_waitcnt vmcnt(1)
	v_bfe_i32 v16, v1, 0, 8
	s_waitcnt vmcnt(0)
	v_perm_b32 v17, v18, v1, s17
	v_perm_b32 v1, v18, v1, s20
	v_mad_i32_i24 v13, v16, v14, v13
	v_dot4c_i32_i8_e32 v12, v19, v1
	v_dot4c_i32_i8_e32 v10, v9, v1
	;; [unrolled: 1-line block ×3, first 2 shown]
	s_andn2_b64 exec, exec, s[10:11]
	s_cbranch_execnz .LBB62_20
; %bb.21:
	s_or_b64 exec, exec, s[10:11]
.LBB62_22:
	s_or_b64 exec, exec, s[6:7]
	s_cbranch_execz .LBB62_24
	s_branch .LBB62_29
.LBB62_23:
                                        ; implicit-def: $vgpr10
                                        ; implicit-def: $vgpr12
                                        ; implicit-def: $vgpr13
.LBB62_24:
	v_mov_b32_e32 v10, 0
	v_mov_b32_e32 v12, 0
	;; [unrolled: 1-line block ×3, first 2 shown]
	s_and_saveexec_b64 s[6:7], s[2:3]
	s_cbranch_execz .LBB62_28
; %bb.25:
	s_mov_b64 s[2:3], 0
	v_mov_b32_e32 v10, 0
	s_mov_b32 s14, 0xc0c0401
	s_mov_b32 s15, 0xc0c0603
	;; [unrolled: 1-line block ×5, first 2 shown]
	s_mov_b64 s[10:11], 0x90
	v_mov_b32_e32 v12, 0
	v_mov_b32_e32 v13, 0
.LBB62_26:                              ; =>This Inner Loop Header: Depth=1
	v_ashrrev_i32_e32 v1, 31, v0
	v_lshl_add_u64 v[6:7], v[0:1], 2, s[8:9]
	global_load_dword v1, v[6:7], off
	global_load_sbyte v14, v[4:5], off offset:8
	global_load_dwordx2 v[8:9], v[4:5], off
	v_add_u32_e32 v0, 16, v0
	v_cmp_ge_i32_e32 vcc, v0, v11
	v_lshl_add_u64 v[4:5], v[4:5], 0, s[10:11]
	s_or_b64 s[2:3], vcc, s[2:3]
	s_waitcnt vmcnt(2)
	v_subrev_u32_e32 v1, s12, v1
	v_lshl_add_u32 v6, v1, 1, v1
	v_ashrrev_i32_e32 v7, 31, v6
	s_waitcnt lgkmcnt(0)
	v_lshl_add_u64 v[6:7], s[4:5], 0, v[6:7]
	global_load_ushort v1, v[6:7], off
	global_load_sbyte v15, v[6:7], off offset:2
	s_waitcnt vmcnt(2)
	v_bfe_i32 v6, v8, 0, 8
	v_perm_b32 v7, v9, v8, s15
	v_perm_b32 v9, v9, v8, s17
	v_perm_b32 v8, v14, v8, s19
	s_waitcnt vmcnt(1)
	v_bfe_i32 v14, v1, 0, 8
	s_waitcnt vmcnt(0)
	v_perm_b32 v16, v15, v1, s14
	v_perm_b32 v1, v15, v1, s18
	v_mad_i32_i24 v13, v14, v6, v13
	v_dot4c_i32_i8_e32 v12, v9, v1
	v_dot4c_i32_i8_e32 v10, v8, v1
	;; [unrolled: 1-line block ×3, first 2 shown]
	s_andn2_b64 exec, exec, s[2:3]
	s_cbranch_execnz .LBB62_26
; %bb.27:
	s_or_b64 exec, exec, s[2:3]
.LBB62_28:
	s_or_b64 exec, exec, s[6:7]
.LBB62_29:
	v_mov_b32_dpp v0, v13 row_shr:1 row_mask:0xf bank_mask:0xf
	v_mov_b32_dpp v4, v12 row_shr:1 row_mask:0xf bank_mask:0xf
	v_mov_b32_dpp v6, v10 row_shr:1 row_mask:0xf bank_mask:0xf
	v_add_u32_e32 v0, v0, v13
	v_add_u32_e32 v4, v4, v12
	v_add_u32_e32 v6, v6, v10
	v_mov_b32_dpp v1, v0 row_shr:2 row_mask:0xf bank_mask:0xf
	v_mov_b32_dpp v5, v4 row_shr:2 row_mask:0xf bank_mask:0xf
	v_mov_b32_dpp v7, v6 row_shr:2 row_mask:0xf bank_mask:0xf
	v_add_u32_e32 v0, v0, v1
	v_add_u32_e32 v4, v4, v5
	v_add_u32_e32 v6, v6, v7
	;; [unrolled: 6-line block ×3, first 2 shown]
	v_mov_b32_dpp v1, v0 row_shr:8 row_mask:0xf bank_mask:0xc
	v_mov_b32_dpp v5, v4 row_shr:8 row_mask:0xf bank_mask:0xc
	;; [unrolled: 1-line block ×3, first 2 shown]
	v_cmp_eq_u32_e32 vcc, 15, v3
	s_and_b64 exec, exec, vcc
	s_cbranch_execz .LBB62_14
; %bb.30:
	s_load_dwordx2 s[0:1], s[0:1], 0x50
	v_add_u32_e32 v0, v0, v1
	v_add_u32_e32 v1, v4, v5
	;; [unrolled: 1-line block ×3, first 2 shown]
	v_lshl_add_u32 v2, v2, 1, v2
	s_cmp_eq_u32 s16, 0
	v_mul_lo_u32 v0, v0, s13
	v_mul_lo_u32 v6, v1, s13
	;; [unrolled: 1-line block ×3, first 2 shown]
	v_ashrrev_i32_e32 v3, 31, v2
	s_cbranch_scc1 .LBB62_32
; %bb.31:
	s_waitcnt lgkmcnt(0)
	v_lshl_add_u64 v[16:17], v[2:3], 2, s[0:1]
	global_load_dwordx3 v[8:10], v[16:17], off
	s_waitcnt vmcnt(0)
	v_mad_u64_u32 v[12:13], s[2:3], v8, s16, v[0:1]
	v_mad_u64_u32 v[8:9], s[2:3], v9, s16, v[6:7]
	;; [unrolled: 1-line block ×3, first 2 shown]
	v_mov_b32_e32 v13, v8
	v_mov_b32_e32 v14, v10
	global_store_dwordx3 v[16:17], v[12:14], off
	s_cbranch_execnz .LBB62_14
	s_branch .LBB62_33
.LBB62_32:
.LBB62_33:
	s_waitcnt lgkmcnt(0)
	v_lshl_add_u64 v[8:9], v[2:3], 2, s[0:1]
	v_mov_b32_e32 v1, v6
	v_mov_b32_e32 v2, v4
	global_store_dwordx3 v[8:9], v[0:2], off
	s_endpgm
	.section	.rodata,"a",@progbits
	.p2align	6, 0x0
	.amdhsa_kernel _ZN9rocsparseL18bsrxmvn_3x3_kernelILj256ELj16EiiiaaiEEvT3_20rocsparse_direction_NS_24const_host_device_scalarIT1_EES1_PKS1_PKT2_SA_S7_PKT4_PKT5_S5_PT6_21rocsparse_index_base_b
		.amdhsa_group_segment_fixed_size 0
		.amdhsa_private_segment_fixed_size 0
		.amdhsa_kernarg_size 96
		.amdhsa_user_sgpr_count 2
		.amdhsa_user_sgpr_dispatch_ptr 0
		.amdhsa_user_sgpr_queue_ptr 0
		.amdhsa_user_sgpr_kernarg_segment_ptr 1
		.amdhsa_user_sgpr_dispatch_id 0
		.amdhsa_user_sgpr_kernarg_preload_length 0
		.amdhsa_user_sgpr_kernarg_preload_offset 0
		.amdhsa_user_sgpr_private_segment_size 0
		.amdhsa_uses_dynamic_stack 0
		.amdhsa_enable_private_segment 0
		.amdhsa_system_sgpr_workgroup_id_x 1
		.amdhsa_system_sgpr_workgroup_id_y 0
		.amdhsa_system_sgpr_workgroup_id_z 0
		.amdhsa_system_sgpr_workgroup_info 0
		.amdhsa_system_vgpr_workitem_id 0
		.amdhsa_next_free_vgpr 20
		.amdhsa_next_free_sgpr 23
		.amdhsa_accum_offset 20
		.amdhsa_reserve_vcc 1
		.amdhsa_float_round_mode_32 0
		.amdhsa_float_round_mode_16_64 0
		.amdhsa_float_denorm_mode_32 3
		.amdhsa_float_denorm_mode_16_64 3
		.amdhsa_dx10_clamp 1
		.amdhsa_ieee_mode 1
		.amdhsa_fp16_overflow 0
		.amdhsa_tg_split 0
		.amdhsa_exception_fp_ieee_invalid_op 0
		.amdhsa_exception_fp_denorm_src 0
		.amdhsa_exception_fp_ieee_div_zero 0
		.amdhsa_exception_fp_ieee_overflow 0
		.amdhsa_exception_fp_ieee_underflow 0
		.amdhsa_exception_fp_ieee_inexact 0
		.amdhsa_exception_int_div_zero 0
	.end_amdhsa_kernel
	.section	.text._ZN9rocsparseL18bsrxmvn_3x3_kernelILj256ELj16EiiiaaiEEvT3_20rocsparse_direction_NS_24const_host_device_scalarIT1_EES1_PKS1_PKT2_SA_S7_PKT4_PKT5_S5_PT6_21rocsparse_index_base_b,"axG",@progbits,_ZN9rocsparseL18bsrxmvn_3x3_kernelILj256ELj16EiiiaaiEEvT3_20rocsparse_direction_NS_24const_host_device_scalarIT1_EES1_PKS1_PKT2_SA_S7_PKT4_PKT5_S5_PT6_21rocsparse_index_base_b,comdat
.Lfunc_end62:
	.size	_ZN9rocsparseL18bsrxmvn_3x3_kernelILj256ELj16EiiiaaiEEvT3_20rocsparse_direction_NS_24const_host_device_scalarIT1_EES1_PKS1_PKT2_SA_S7_PKT4_PKT5_S5_PT6_21rocsparse_index_base_b, .Lfunc_end62-_ZN9rocsparseL18bsrxmvn_3x3_kernelILj256ELj16EiiiaaiEEvT3_20rocsparse_direction_NS_24const_host_device_scalarIT1_EES1_PKS1_PKT2_SA_S7_PKT4_PKT5_S5_PT6_21rocsparse_index_base_b
                                        ; -- End function
	.section	.AMDGPU.csdata,"",@progbits
; Kernel info:
; codeLenInByte = 1392
; NumSgprs: 29
; NumVgprs: 20
; NumAgprs: 0
; TotalNumVgprs: 20
; ScratchSize: 0
; MemoryBound: 0
; FloatMode: 240
; IeeeMode: 1
; LDSByteSize: 0 bytes/workgroup (compile time only)
; SGPRBlocks: 3
; VGPRBlocks: 2
; NumSGPRsForWavesPerEU: 29
; NumVGPRsForWavesPerEU: 20
; AccumOffset: 20
; Occupancy: 8
; WaveLimiterHint : 1
; COMPUTE_PGM_RSRC2:SCRATCH_EN: 0
; COMPUTE_PGM_RSRC2:USER_SGPR: 2
; COMPUTE_PGM_RSRC2:TRAP_HANDLER: 0
; COMPUTE_PGM_RSRC2:TGID_X_EN: 1
; COMPUTE_PGM_RSRC2:TGID_Y_EN: 0
; COMPUTE_PGM_RSRC2:TGID_Z_EN: 0
; COMPUTE_PGM_RSRC2:TIDIG_COMP_CNT: 0
; COMPUTE_PGM_RSRC3_GFX90A:ACCUM_OFFSET: 4
; COMPUTE_PGM_RSRC3_GFX90A:TG_SPLIT: 0
	.section	.text._ZN9rocsparseL18bsrxmvn_3x3_kernelILj256ELj32EiiiaaiEEvT3_20rocsparse_direction_NS_24const_host_device_scalarIT1_EES1_PKS1_PKT2_SA_S7_PKT4_PKT5_S5_PT6_21rocsparse_index_base_b,"axG",@progbits,_ZN9rocsparseL18bsrxmvn_3x3_kernelILj256ELj32EiiiaaiEEvT3_20rocsparse_direction_NS_24const_host_device_scalarIT1_EES1_PKS1_PKT2_SA_S7_PKT4_PKT5_S5_PT6_21rocsparse_index_base_b,comdat
	.globl	_ZN9rocsparseL18bsrxmvn_3x3_kernelILj256ELj32EiiiaaiEEvT3_20rocsparse_direction_NS_24const_host_device_scalarIT1_EES1_PKS1_PKT2_SA_S7_PKT4_PKT5_S5_PT6_21rocsparse_index_base_b ; -- Begin function _ZN9rocsparseL18bsrxmvn_3x3_kernelILj256ELj32EiiiaaiEEvT3_20rocsparse_direction_NS_24const_host_device_scalarIT1_EES1_PKS1_PKT2_SA_S7_PKT4_PKT5_S5_PT6_21rocsparse_index_base_b
	.p2align	8
	.type	_ZN9rocsparseL18bsrxmvn_3x3_kernelILj256ELj32EiiiaaiEEvT3_20rocsparse_direction_NS_24const_host_device_scalarIT1_EES1_PKS1_PKT2_SA_S7_PKT4_PKT5_S5_PT6_21rocsparse_index_base_b,@function
_ZN9rocsparseL18bsrxmvn_3x3_kernelILj256ELj32EiiiaaiEEvT3_20rocsparse_direction_NS_24const_host_device_scalarIT1_EES1_PKS1_PKT2_SA_S7_PKT4_PKT5_S5_PT6_21rocsparse_index_base_b: ; @_ZN9rocsparseL18bsrxmvn_3x3_kernelILj256ELj32EiiiaaiEEvT3_20rocsparse_direction_NS_24const_host_device_scalarIT1_EES1_PKS1_PKT2_SA_S7_PKT4_PKT5_S5_PT6_21rocsparse_index_base_b
; %bb.0:
	s_load_dwordx2 s[12:13], s[0:1], 0x58
	s_load_dwordx2 s[8:9], s[0:1], 0x8
	s_mov_b64 s[10:11], -1
	s_waitcnt lgkmcnt(0)
	s_bitcmp1_b32 s13, 0
	s_cselect_b64 s[4:5], -1, 0
	s_xor_b64 s[6:7], s[4:5], -1
	s_and_b64 vcc, exec, s[6:7]
                                        ; implicit-def: $sgpr13
	s_cbranch_vccnz .LBB63_4
; %bb.1:
	s_load_dwordx2 s[4:5], s[0:1], 0x48
	s_andn2_b64 vcc, exec, s[10:11]
	s_cbranch_vccz .LBB63_5
.LBB63_2:
	s_and_b64 vcc, exec, s[6:7]
	s_cbranch_vccz .LBB63_6
.LBB63_3:
	s_waitcnt lgkmcnt(0)
	s_load_dword s16, s[4:5], 0x0
	s_cbranch_execz .LBB63_7
	s_branch .LBB63_8
.LBB63_4:
	s_load_dword s13, s[8:9], 0x0
	s_load_dwordx2 s[4:5], s[0:1], 0x48
	s_cbranch_execnz .LBB63_2
.LBB63_5:
	s_waitcnt lgkmcnt(0)
	s_mov_b32 s13, s8
	s_and_b64 vcc, exec, s[6:7]
	s_cbranch_vccnz .LBB63_3
.LBB63_6:
                                        ; implicit-def: $sgpr16
.LBB63_7:
	s_waitcnt lgkmcnt(0)
	s_mov_b32 s16, s4
.LBB63_8:
	s_waitcnt lgkmcnt(0)
	s_cmp_lg_u32 s13, 0
	s_cselect_b64 s[4:5], -1, 0
	s_cmp_lg_u32 s16, 1
	s_cselect_b64 s[6:7], -1, 0
	s_or_b64 s[4:5], s[4:5], s[6:7]
	s_andn2_b64 vcc, exec, s[4:5]
	s_cbranch_vccnz .LBB63_14
; %bb.9:
	s_load_dwordx2 s[4:5], s[0:1], 0x18
	s_load_dwordx2 s[14:15], s[0:1], 0x0
	v_lshrrev_b32_e32 v1, 5, v0
	v_lshl_or_b32 v2, s2, 3, v1
	s_mov_b64 s[2:3], 0
	s_waitcnt lgkmcnt(0)
	s_cmp_lg_u64 s[4:5], 0
	s_cbranch_scc0 .LBB63_15
; %bb.10:
	s_load_dword s6, s[0:1], 0x10
                                        ; implicit-def: $vgpr1
	s_waitcnt lgkmcnt(0)
	v_cmp_gt_i32_e32 vcc, s6, v2
	s_and_saveexec_b64 s[6:7], vcc
	s_xor_b64 s[6:7], exec, s[6:7]
	s_cbranch_execz .LBB63_12
; %bb.11:
	v_ashrrev_i32_e32 v3, 31, v2
	v_lshl_add_u64 v[4:5], v[2:3], 2, s[4:5]
	global_load_dword v1, v[4:5], off
	s_mov_b64 s[2:3], exec
	s_waitcnt vmcnt(0)
	v_subrev_u32_e32 v1, s12, v1
.LBB63_12:
	s_or_b64 exec, exec, s[6:7]
	s_branch .LBB63_16
.LBB63_13:
	v_cmp_gt_i32_e32 vcc, s14, v2
	s_andn2_b64 s[2:3], s[2:3], exec
	s_and_b64 s[4:5], vcc, exec
	s_or_b64 s[2:3], s[2:3], s[4:5]
	s_and_saveexec_b64 s[4:5], s[2:3]
	s_cbranch_execnz .LBB63_17
.LBB63_14:
	s_endpgm
.LBB63_15:
                                        ; implicit-def: $vgpr1
	s_cbranch_execnz .LBB63_13
.LBB63_16:
	v_mov_b32_e32 v2, v1
	s_and_saveexec_b64 s[4:5], s[2:3]
	s_cbranch_execz .LBB63_14
.LBB63_17:
	s_load_dwordx8 s[4:11], s[0:1], 0x20
	v_ashrrev_i32_e32 v3, 31, v2
	v_lshlrev_b64 v[4:5], 2, v[2:3]
	v_and_b32_e32 v3, 31, v0
	s_waitcnt lgkmcnt(0)
	v_lshl_add_u64 v[6:7], s[4:5], 0, v[4:5]
	s_cmp_eq_u64 s[6:7], 0
	global_load_dword v1, v[6:7], off
	v_lshl_add_u64 v[6:7], v[6:7], 0, 4
	v_lshl_add_u64 v[4:5], s[6:7], 0, v[4:5]
	s_cselect_b64 vcc, -1, 0
	v_cndmask_b32_e32 v5, v5, v7, vcc
	v_cndmask_b32_e32 v4, v4, v6, vcc
	global_load_dword v4, v[4:5], off
	s_load_dwordx2 s[4:5], s[0:1], 0x40
	s_cmp_eq_u32 s15, 1
	s_waitcnt vmcnt(1)
	v_subrev_u32_e32 v0, s12, v1
	v_add_u32_e32 v0, v0, v3
	s_waitcnt vmcnt(0)
	v_subrev_u32_e32 v11, s12, v4
	v_mad_i64_i32 v[4:5], s[2:3], v0, 9, s[10:11]
	v_cmp_lt_i32_e64 s[2:3], v0, v11
	s_cbranch_scc1 .LBB63_23
; %bb.18:
	v_mov_b32_e32 v10, 0
	v_mov_b32_e32 v12, 0
	;; [unrolled: 1-line block ×3, first 2 shown]
	s_and_saveexec_b64 s[6:7], s[2:3]
	s_cbranch_execz .LBB63_22
; %bb.19:
	s_mov_b64 s[10:11], 0
	v_mov_b32_e32 v10, 0
	s_mov_b32 s17, 0xc0c0401
	s_mov_b32 s18, 0xc0c0201
	;; [unrolled: 1-line block ×6, first 2 shown]
	s_mov_b64 s[14:15], 0x120
	v_mov_b64_e32 v[6:7], v[4:5]
	v_mov_b32_e32 v8, v0
	v_mov_b32_e32 v12, 0
	;; [unrolled: 1-line block ×3, first 2 shown]
.LBB63_20:                              ; =>This Inner Loop Header: Depth=1
	v_ashrrev_i32_e32 v9, 31, v8
	v_lshl_add_u64 v[14:15], v[8:9], 2, s[8:9]
	global_load_dword v1, v[14:15], off
	global_load_dwordx2 v[16:17], v[6:7], off
	global_load_sbyte v9, v[6:7], off offset:8
	v_add_u32_e32 v8, 32, v8
	v_cmp_ge_i32_e32 vcc, v8, v11
	v_lshl_add_u64 v[6:7], v[6:7], 0, s[14:15]
	s_or_b64 s[10:11], vcc, s[10:11]
	s_waitcnt vmcnt(2)
	v_subrev_u32_e32 v1, s12, v1
	v_lshl_add_u32 v14, v1, 1, v1
	v_ashrrev_i32_e32 v15, 31, v14
	s_waitcnt lgkmcnt(0)
	v_lshl_add_u64 v[14:15], s[4:5], 0, v[14:15]
	global_load_ushort v1, v[14:15], off
	global_load_sbyte v18, v[14:15], off offset:2
	s_waitcnt vmcnt(3)
	v_bfe_i32 v14, v16, 0, 8
	v_perm_b32 v15, v16, v16, s18
	v_perm_b32 v19, v17, v16, s19
	s_waitcnt vmcnt(2)
	v_perm_b32 v9, v9, v16, s21
	v_perm_b32 v16, v17, v17, s22
	v_or_b32_e32 v9, v9, v16
	s_waitcnt vmcnt(1)
	v_bfe_i32 v16, v1, 0, 8
	s_waitcnt vmcnt(0)
	v_perm_b32 v17, v18, v1, s17
	v_perm_b32 v1, v18, v1, s20
	v_mad_i32_i24 v13, v16, v14, v13
	v_dot4c_i32_i8_e32 v12, v19, v1
	v_dot4c_i32_i8_e32 v10, v9, v1
	;; [unrolled: 1-line block ×3, first 2 shown]
	s_andn2_b64 exec, exec, s[10:11]
	s_cbranch_execnz .LBB63_20
; %bb.21:
	s_or_b64 exec, exec, s[10:11]
.LBB63_22:
	s_or_b64 exec, exec, s[6:7]
	s_cbranch_execz .LBB63_24
	s_branch .LBB63_29
.LBB63_23:
                                        ; implicit-def: $vgpr10
                                        ; implicit-def: $vgpr12
                                        ; implicit-def: $vgpr13
.LBB63_24:
	v_mov_b32_e32 v10, 0
	v_mov_b32_e32 v12, 0
	;; [unrolled: 1-line block ×3, first 2 shown]
	s_and_saveexec_b64 s[6:7], s[2:3]
	s_cbranch_execz .LBB63_28
; %bb.25:
	s_mov_b64 s[2:3], 0
	v_mov_b32_e32 v10, 0
	s_mov_b32 s14, 0xc0c0401
	s_mov_b32 s15, 0xc0c0603
	;; [unrolled: 1-line block ×5, first 2 shown]
	s_mov_b64 s[10:11], 0x120
	v_mov_b32_e32 v12, 0
	v_mov_b32_e32 v13, 0
.LBB63_26:                              ; =>This Inner Loop Header: Depth=1
	v_ashrrev_i32_e32 v1, 31, v0
	v_lshl_add_u64 v[6:7], v[0:1], 2, s[8:9]
	global_load_dword v1, v[6:7], off
	global_load_sbyte v14, v[4:5], off offset:8
	global_load_dwordx2 v[8:9], v[4:5], off
	v_add_u32_e32 v0, 32, v0
	v_cmp_ge_i32_e32 vcc, v0, v11
	v_lshl_add_u64 v[4:5], v[4:5], 0, s[10:11]
	s_or_b64 s[2:3], vcc, s[2:3]
	s_waitcnt vmcnt(2)
	v_subrev_u32_e32 v1, s12, v1
	v_lshl_add_u32 v6, v1, 1, v1
	v_ashrrev_i32_e32 v7, 31, v6
	s_waitcnt lgkmcnt(0)
	v_lshl_add_u64 v[6:7], s[4:5], 0, v[6:7]
	global_load_ushort v1, v[6:7], off
	global_load_sbyte v15, v[6:7], off offset:2
	s_waitcnt vmcnt(2)
	v_bfe_i32 v6, v8, 0, 8
	v_perm_b32 v7, v9, v8, s15
	v_perm_b32 v9, v9, v8, s17
	;; [unrolled: 1-line block ×3, first 2 shown]
	s_waitcnt vmcnt(1)
	v_bfe_i32 v14, v1, 0, 8
	s_waitcnt vmcnt(0)
	v_perm_b32 v16, v15, v1, s14
	v_perm_b32 v1, v15, v1, s18
	v_mad_i32_i24 v13, v14, v6, v13
	v_dot4c_i32_i8_e32 v12, v9, v1
	v_dot4c_i32_i8_e32 v10, v8, v1
	;; [unrolled: 1-line block ×3, first 2 shown]
	s_andn2_b64 exec, exec, s[2:3]
	s_cbranch_execnz .LBB63_26
; %bb.27:
	s_or_b64 exec, exec, s[2:3]
.LBB63_28:
	s_or_b64 exec, exec, s[6:7]
.LBB63_29:
	v_mov_b32_dpp v0, v13 row_shr:1 row_mask:0xf bank_mask:0xf
	v_mov_b32_dpp v4, v12 row_shr:1 row_mask:0xf bank_mask:0xf
	v_mov_b32_dpp v6, v10 row_shr:1 row_mask:0xf bank_mask:0xf
	v_add_u32_e32 v0, v0, v13
	v_add_u32_e32 v4, v4, v12
	v_add_u32_e32 v6, v6, v10
	v_mov_b32_dpp v1, v0 row_shr:2 row_mask:0xf bank_mask:0xf
	v_mov_b32_dpp v5, v4 row_shr:2 row_mask:0xf bank_mask:0xf
	v_mov_b32_dpp v7, v6 row_shr:2 row_mask:0xf bank_mask:0xf
	v_add_u32_e32 v0, v0, v1
	v_add_u32_e32 v4, v4, v5
	v_add_u32_e32 v6, v6, v7
	;; [unrolled: 6-line block ×4, first 2 shown]
	v_mov_b32_dpp v1, v0 row_bcast:15 row_mask:0xa bank_mask:0xf
	v_mov_b32_dpp v5, v4 row_bcast:15 row_mask:0xa bank_mask:0xf
	;; [unrolled: 1-line block ×3, first 2 shown]
	v_cmp_eq_u32_e32 vcc, 31, v3
	s_and_b64 exec, exec, vcc
	s_cbranch_execz .LBB63_14
; %bb.30:
	s_load_dwordx2 s[0:1], s[0:1], 0x50
	v_add_u32_e32 v0, v0, v1
	v_add_u32_e32 v1, v4, v5
	;; [unrolled: 1-line block ×3, first 2 shown]
	v_lshl_add_u32 v2, v2, 1, v2
	s_cmp_eq_u32 s16, 0
	v_mul_lo_u32 v0, v0, s13
	v_mul_lo_u32 v6, v1, s13
	;; [unrolled: 1-line block ×3, first 2 shown]
	v_ashrrev_i32_e32 v3, 31, v2
	s_cbranch_scc1 .LBB63_32
; %bb.31:
	s_waitcnt lgkmcnt(0)
	v_lshl_add_u64 v[16:17], v[2:3], 2, s[0:1]
	global_load_dwordx3 v[8:10], v[16:17], off
	s_waitcnt vmcnt(0)
	v_mad_u64_u32 v[12:13], s[2:3], v8, s16, v[0:1]
	v_mad_u64_u32 v[8:9], s[2:3], v9, s16, v[6:7]
	v_mad_u64_u32 v[10:11], s[2:3], v10, s16, v[4:5]
	v_mov_b32_e32 v13, v8
	v_mov_b32_e32 v14, v10
	global_store_dwordx3 v[16:17], v[12:14], off
	s_cbranch_execnz .LBB63_14
	s_branch .LBB63_33
.LBB63_32:
.LBB63_33:
	s_waitcnt lgkmcnt(0)
	v_lshl_add_u64 v[8:9], v[2:3], 2, s[0:1]
	v_mov_b32_e32 v1, v6
	v_mov_b32_e32 v2, v4
	global_store_dwordx3 v[8:9], v[0:2], off
	s_endpgm
	.section	.rodata,"a",@progbits
	.p2align	6, 0x0
	.amdhsa_kernel _ZN9rocsparseL18bsrxmvn_3x3_kernelILj256ELj32EiiiaaiEEvT3_20rocsparse_direction_NS_24const_host_device_scalarIT1_EES1_PKS1_PKT2_SA_S7_PKT4_PKT5_S5_PT6_21rocsparse_index_base_b
		.amdhsa_group_segment_fixed_size 0
		.amdhsa_private_segment_fixed_size 0
		.amdhsa_kernarg_size 96
		.amdhsa_user_sgpr_count 2
		.amdhsa_user_sgpr_dispatch_ptr 0
		.amdhsa_user_sgpr_queue_ptr 0
		.amdhsa_user_sgpr_kernarg_segment_ptr 1
		.amdhsa_user_sgpr_dispatch_id 0
		.amdhsa_user_sgpr_kernarg_preload_length 0
		.amdhsa_user_sgpr_kernarg_preload_offset 0
		.amdhsa_user_sgpr_private_segment_size 0
		.amdhsa_uses_dynamic_stack 0
		.amdhsa_enable_private_segment 0
		.amdhsa_system_sgpr_workgroup_id_x 1
		.amdhsa_system_sgpr_workgroup_id_y 0
		.amdhsa_system_sgpr_workgroup_id_z 0
		.amdhsa_system_sgpr_workgroup_info 0
		.amdhsa_system_vgpr_workitem_id 0
		.amdhsa_next_free_vgpr 20
		.amdhsa_next_free_sgpr 23
		.amdhsa_accum_offset 20
		.amdhsa_reserve_vcc 1
		.amdhsa_float_round_mode_32 0
		.amdhsa_float_round_mode_16_64 0
		.amdhsa_float_denorm_mode_32 3
		.amdhsa_float_denorm_mode_16_64 3
		.amdhsa_dx10_clamp 1
		.amdhsa_ieee_mode 1
		.amdhsa_fp16_overflow 0
		.amdhsa_tg_split 0
		.amdhsa_exception_fp_ieee_invalid_op 0
		.amdhsa_exception_fp_denorm_src 0
		.amdhsa_exception_fp_ieee_div_zero 0
		.amdhsa_exception_fp_ieee_overflow 0
		.amdhsa_exception_fp_ieee_underflow 0
		.amdhsa_exception_fp_ieee_inexact 0
		.amdhsa_exception_int_div_zero 0
	.end_amdhsa_kernel
	.section	.text._ZN9rocsparseL18bsrxmvn_3x3_kernelILj256ELj32EiiiaaiEEvT3_20rocsparse_direction_NS_24const_host_device_scalarIT1_EES1_PKS1_PKT2_SA_S7_PKT4_PKT5_S5_PT6_21rocsparse_index_base_b,"axG",@progbits,_ZN9rocsparseL18bsrxmvn_3x3_kernelILj256ELj32EiiiaaiEEvT3_20rocsparse_direction_NS_24const_host_device_scalarIT1_EES1_PKS1_PKT2_SA_S7_PKT4_PKT5_S5_PT6_21rocsparse_index_base_b,comdat
.Lfunc_end63:
	.size	_ZN9rocsparseL18bsrxmvn_3x3_kernelILj256ELj32EiiiaaiEEvT3_20rocsparse_direction_NS_24const_host_device_scalarIT1_EES1_PKS1_PKT2_SA_S7_PKT4_PKT5_S5_PT6_21rocsparse_index_base_b, .Lfunc_end63-_ZN9rocsparseL18bsrxmvn_3x3_kernelILj256ELj32EiiiaaiEEvT3_20rocsparse_direction_NS_24const_host_device_scalarIT1_EES1_PKS1_PKT2_SA_S7_PKT4_PKT5_S5_PT6_21rocsparse_index_base_b
                                        ; -- End function
	.section	.AMDGPU.csdata,"",@progbits
; Kernel info:
; codeLenInByte = 1428
; NumSgprs: 29
; NumVgprs: 20
; NumAgprs: 0
; TotalNumVgprs: 20
; ScratchSize: 0
; MemoryBound: 0
; FloatMode: 240
; IeeeMode: 1
; LDSByteSize: 0 bytes/workgroup (compile time only)
; SGPRBlocks: 3
; VGPRBlocks: 2
; NumSGPRsForWavesPerEU: 29
; NumVGPRsForWavesPerEU: 20
; AccumOffset: 20
; Occupancy: 8
; WaveLimiterHint : 1
; COMPUTE_PGM_RSRC2:SCRATCH_EN: 0
; COMPUTE_PGM_RSRC2:USER_SGPR: 2
; COMPUTE_PGM_RSRC2:TRAP_HANDLER: 0
; COMPUTE_PGM_RSRC2:TGID_X_EN: 1
; COMPUTE_PGM_RSRC2:TGID_Y_EN: 0
; COMPUTE_PGM_RSRC2:TGID_Z_EN: 0
; COMPUTE_PGM_RSRC2:TIDIG_COMP_CNT: 0
; COMPUTE_PGM_RSRC3_GFX90A:ACCUM_OFFSET: 4
; COMPUTE_PGM_RSRC3_GFX90A:TG_SPLIT: 0
	.section	.text._ZN9rocsparseL18bsrxmvn_3x3_kernelILj256ELj64EiiiaaiEEvT3_20rocsparse_direction_NS_24const_host_device_scalarIT1_EES1_PKS1_PKT2_SA_S7_PKT4_PKT5_S5_PT6_21rocsparse_index_base_b,"axG",@progbits,_ZN9rocsparseL18bsrxmvn_3x3_kernelILj256ELj64EiiiaaiEEvT3_20rocsparse_direction_NS_24const_host_device_scalarIT1_EES1_PKS1_PKT2_SA_S7_PKT4_PKT5_S5_PT6_21rocsparse_index_base_b,comdat
	.globl	_ZN9rocsparseL18bsrxmvn_3x3_kernelILj256ELj64EiiiaaiEEvT3_20rocsparse_direction_NS_24const_host_device_scalarIT1_EES1_PKS1_PKT2_SA_S7_PKT4_PKT5_S5_PT6_21rocsparse_index_base_b ; -- Begin function _ZN9rocsparseL18bsrxmvn_3x3_kernelILj256ELj64EiiiaaiEEvT3_20rocsparse_direction_NS_24const_host_device_scalarIT1_EES1_PKS1_PKT2_SA_S7_PKT4_PKT5_S5_PT6_21rocsparse_index_base_b
	.p2align	8
	.type	_ZN9rocsparseL18bsrxmvn_3x3_kernelILj256ELj64EiiiaaiEEvT3_20rocsparse_direction_NS_24const_host_device_scalarIT1_EES1_PKS1_PKT2_SA_S7_PKT4_PKT5_S5_PT6_21rocsparse_index_base_b,@function
_ZN9rocsparseL18bsrxmvn_3x3_kernelILj256ELj64EiiiaaiEEvT3_20rocsparse_direction_NS_24const_host_device_scalarIT1_EES1_PKS1_PKT2_SA_S7_PKT4_PKT5_S5_PT6_21rocsparse_index_base_b: ; @_ZN9rocsparseL18bsrxmvn_3x3_kernelILj256ELj64EiiiaaiEEvT3_20rocsparse_direction_NS_24const_host_device_scalarIT1_EES1_PKS1_PKT2_SA_S7_PKT4_PKT5_S5_PT6_21rocsparse_index_base_b
; %bb.0:
	s_load_dwordx2 s[12:13], s[0:1], 0x58
	s_load_dwordx2 s[8:9], s[0:1], 0x8
	s_mov_b64 s[10:11], -1
	s_waitcnt lgkmcnt(0)
	s_bitcmp1_b32 s13, 0
	s_cselect_b64 s[4:5], -1, 0
	s_xor_b64 s[6:7], s[4:5], -1
	s_and_b64 vcc, exec, s[6:7]
                                        ; implicit-def: $sgpr13
	s_cbranch_vccnz .LBB64_4
; %bb.1:
	s_load_dwordx2 s[4:5], s[0:1], 0x48
	s_andn2_b64 vcc, exec, s[10:11]
	s_cbranch_vccz .LBB64_5
.LBB64_2:
	s_and_b64 vcc, exec, s[6:7]
	s_cbranch_vccz .LBB64_6
.LBB64_3:
	s_waitcnt lgkmcnt(0)
	s_load_dword s16, s[4:5], 0x0
	s_cbranch_execz .LBB64_7
	s_branch .LBB64_8
.LBB64_4:
	s_load_dword s13, s[8:9], 0x0
	s_load_dwordx2 s[4:5], s[0:1], 0x48
	s_cbranch_execnz .LBB64_2
.LBB64_5:
	s_waitcnt lgkmcnt(0)
	s_mov_b32 s13, s8
	s_and_b64 vcc, exec, s[6:7]
	s_cbranch_vccnz .LBB64_3
.LBB64_6:
                                        ; implicit-def: $sgpr16
.LBB64_7:
	s_waitcnt lgkmcnt(0)
	s_mov_b32 s16, s4
.LBB64_8:
	s_waitcnt lgkmcnt(0)
	s_cmp_lg_u32 s13, 0
	s_cselect_b64 s[4:5], -1, 0
	s_cmp_lg_u32 s16, 1
	s_cselect_b64 s[6:7], -1, 0
	s_or_b64 s[4:5], s[4:5], s[6:7]
	s_andn2_b64 vcc, exec, s[4:5]
	s_cbranch_vccnz .LBB64_14
; %bb.9:
	s_load_dwordx2 s[4:5], s[0:1], 0x18
	s_load_dwordx2 s[14:15], s[0:1], 0x0
	v_lshrrev_b32_e32 v1, 6, v0
	v_lshl_or_b32 v2, s2, 2, v1
	s_mov_b64 s[2:3], 0
	s_waitcnt lgkmcnt(0)
	s_cmp_lg_u64 s[4:5], 0
	s_cbranch_scc0 .LBB64_15
; %bb.10:
	s_load_dword s6, s[0:1], 0x10
                                        ; implicit-def: $vgpr1
	s_waitcnt lgkmcnt(0)
	v_cmp_gt_i32_e32 vcc, s6, v2
	s_and_saveexec_b64 s[6:7], vcc
	s_xor_b64 s[6:7], exec, s[6:7]
	s_cbranch_execz .LBB64_12
; %bb.11:
	v_ashrrev_i32_e32 v3, 31, v2
	v_lshl_add_u64 v[4:5], v[2:3], 2, s[4:5]
	global_load_dword v1, v[4:5], off
	s_mov_b64 s[2:3], exec
	s_waitcnt vmcnt(0)
	v_subrev_u32_e32 v1, s12, v1
.LBB64_12:
	s_or_b64 exec, exec, s[6:7]
	s_branch .LBB64_16
.LBB64_13:
	v_cmp_gt_i32_e32 vcc, s14, v2
	s_andn2_b64 s[2:3], s[2:3], exec
	s_and_b64 s[4:5], vcc, exec
	s_or_b64 s[2:3], s[2:3], s[4:5]
	s_and_saveexec_b64 s[4:5], s[2:3]
	s_cbranch_execnz .LBB64_17
.LBB64_14:
	s_endpgm
.LBB64_15:
                                        ; implicit-def: $vgpr1
	s_cbranch_execnz .LBB64_13
.LBB64_16:
	v_mov_b32_e32 v2, v1
	s_and_saveexec_b64 s[4:5], s[2:3]
	s_cbranch_execz .LBB64_14
.LBB64_17:
	s_load_dwordx8 s[4:11], s[0:1], 0x20
	v_ashrrev_i32_e32 v3, 31, v2
	v_lshlrev_b64 v[4:5], 2, v[2:3]
	v_and_b32_e32 v3, 63, v0
	s_waitcnt lgkmcnt(0)
	v_lshl_add_u64 v[6:7], s[4:5], 0, v[4:5]
	s_cmp_eq_u64 s[6:7], 0
	global_load_dword v1, v[6:7], off
	v_lshl_add_u64 v[6:7], v[6:7], 0, 4
	v_lshl_add_u64 v[4:5], s[6:7], 0, v[4:5]
	s_cselect_b64 vcc, -1, 0
	v_cndmask_b32_e32 v5, v5, v7, vcc
	v_cndmask_b32_e32 v4, v4, v6, vcc
	global_load_dword v4, v[4:5], off
	s_load_dwordx2 s[4:5], s[0:1], 0x40
	s_cmp_eq_u32 s15, 1
	s_waitcnt vmcnt(1)
	v_subrev_u32_e32 v0, s12, v1
	v_add_u32_e32 v0, v0, v3
	s_waitcnt vmcnt(0)
	v_subrev_u32_e32 v11, s12, v4
	v_mad_i64_i32 v[4:5], s[2:3], v0, 9, s[10:11]
	v_cmp_lt_i32_e64 s[2:3], v0, v11
	s_cbranch_scc1 .LBB64_23
; %bb.18:
	v_mov_b32_e32 v12, 0
	v_mov_b32_e32 v13, 0
	;; [unrolled: 1-line block ×3, first 2 shown]
	s_and_saveexec_b64 s[6:7], s[2:3]
	s_cbranch_execz .LBB64_22
; %bb.19:
	s_mov_b64 s[10:11], 0
	v_mov_b32_e32 v10, 0
	s_mov_b32 s17, 0xc0c0401
	s_mov_b32 s18, 0xc0c0201
	;; [unrolled: 1-line block ×6, first 2 shown]
	s_mov_b64 s[14:15], 0x240
	v_mov_b64_e32 v[6:7], v[4:5]
	v_mov_b32_e32 v8, v0
	v_mov_b32_e32 v12, 0
	;; [unrolled: 1-line block ×3, first 2 shown]
.LBB64_20:                              ; =>This Inner Loop Header: Depth=1
	v_ashrrev_i32_e32 v9, 31, v8
	v_lshl_add_u64 v[14:15], v[8:9], 2, s[8:9]
	global_load_dword v1, v[14:15], off
	global_load_dwordx2 v[16:17], v[6:7], off
	global_load_sbyte v9, v[6:7], off offset:8
	v_add_u32_e32 v8, 64, v8
	v_cmp_ge_i32_e32 vcc, v8, v11
	v_lshl_add_u64 v[6:7], v[6:7], 0, s[14:15]
	s_or_b64 s[10:11], vcc, s[10:11]
	s_waitcnt vmcnt(2)
	v_subrev_u32_e32 v1, s12, v1
	v_lshl_add_u32 v14, v1, 1, v1
	v_ashrrev_i32_e32 v15, 31, v14
	s_waitcnt lgkmcnt(0)
	v_lshl_add_u64 v[14:15], s[4:5], 0, v[14:15]
	global_load_ushort v1, v[14:15], off
	global_load_sbyte v18, v[14:15], off offset:2
	s_waitcnt vmcnt(3)
	v_bfe_i32 v14, v16, 0, 8
	v_perm_b32 v15, v16, v16, s18
	v_perm_b32 v19, v17, v16, s19
	s_waitcnt vmcnt(2)
	v_perm_b32 v9, v9, v16, s21
	v_perm_b32 v16, v17, v17, s22
	v_or_b32_e32 v9, v9, v16
	s_waitcnt vmcnt(1)
	v_bfe_i32 v16, v1, 0, 8
	s_waitcnt vmcnt(0)
	v_perm_b32 v17, v18, v1, s17
	v_perm_b32 v1, v18, v1, s20
	v_mad_i32_i24 v13, v16, v14, v13
	v_dot4c_i32_i8_e32 v12, v19, v1
	v_dot4c_i32_i8_e32 v10, v9, v1
	;; [unrolled: 1-line block ×3, first 2 shown]
	s_andn2_b64 exec, exec, s[10:11]
	s_cbranch_execnz .LBB64_20
; %bb.21:
	s_or_b64 exec, exec, s[10:11]
.LBB64_22:
	s_or_b64 exec, exec, s[6:7]
	s_cbranch_execz .LBB64_24
	s_branch .LBB64_29
.LBB64_23:
                                        ; implicit-def: $vgpr12
                                        ; implicit-def: $vgpr13
                                        ; implicit-def: $vgpr10
.LBB64_24:
	v_mov_b32_e32 v12, 0
	v_mov_b32_e32 v13, 0
	;; [unrolled: 1-line block ×3, first 2 shown]
	s_and_saveexec_b64 s[6:7], s[2:3]
	s_cbranch_execz .LBB64_28
; %bb.25:
	s_mov_b64 s[2:3], 0
	v_mov_b32_e32 v10, 0
	s_mov_b32 s14, 0xc0c0403
	s_mov_b32 s15, 0xc0c0601
	;; [unrolled: 1-line block ×5, first 2 shown]
	s_mov_b64 s[10:11], 0x240
	v_mov_b32_e32 v12, 0
	v_mov_b32_e32 v13, 0
.LBB64_26:                              ; =>This Inner Loop Header: Depth=1
	v_ashrrev_i32_e32 v1, 31, v0
	v_lshl_add_u64 v[6:7], v[0:1], 2, s[8:9]
	global_load_dword v1, v[6:7], off
	global_load_sbyte v14, v[4:5], off offset:8
	global_load_dwordx2 v[8:9], v[4:5], off
	v_add_u32_e32 v0, 64, v0
	v_cmp_ge_i32_e32 vcc, v0, v11
	v_lshl_add_u64 v[4:5], v[4:5], 0, s[10:11]
	s_or_b64 s[2:3], vcc, s[2:3]
	s_waitcnt vmcnt(2)
	v_subrev_u32_e32 v1, s12, v1
	v_lshl_add_u32 v6, v1, 1, v1
	v_ashrrev_i32_e32 v7, 31, v6
	s_waitcnt lgkmcnt(0)
	v_lshl_add_u64 v[6:7], s[4:5], 0, v[6:7]
	global_load_ushort v1, v[6:7], off
	global_load_sbyte v15, v[6:7], off offset:2
	s_waitcnt vmcnt(2)
	v_bfe_i32 v6, v8, 0, 8
	v_perm_b32 v7, v9, v8, s17
	v_perm_b32 v14, v14, v8, s19
	s_waitcnt vmcnt(1)
	v_bfe_i32 v16, v1, 0, 8
	s_waitcnt vmcnt(0)
	v_perm_b32 v8, v15, v8, s14
	v_perm_b32 v9, v9, v1, s15
	;; [unrolled: 1-line block ×3, first 2 shown]
	v_mad_i32_i24 v13, v16, v6, v13
	v_dot4c_i32_i8_e32 v12, v7, v1
	v_dot4c_i32_i8_e32 v10, v14, v1
	;; [unrolled: 1-line block ×3, first 2 shown]
	s_andn2_b64 exec, exec, s[2:3]
	s_cbranch_execnz .LBB64_26
; %bb.27:
	s_or_b64 exec, exec, s[2:3]
.LBB64_28:
	s_or_b64 exec, exec, s[6:7]
.LBB64_29:
	v_mov_b32_dpp v0, v13 row_shr:1 row_mask:0xf bank_mask:0xf
	v_mov_b32_dpp v1, v12 row_shr:1 row_mask:0xf bank_mask:0xf
	v_mov_b32_dpp v6, v10 row_shr:1 row_mask:0xf bank_mask:0xf
	v_add_u32_e32 v1, v1, v12
	v_add_u32_e32 v0, v0, v13
	v_add_u32_e32 v6, v6, v10
	v_mov_b32_dpp v5, v1 row_shr:2 row_mask:0xf bank_mask:0xf
	v_mov_b32_dpp v4, v0 row_shr:2 row_mask:0xf bank_mask:0xf
	v_mov_b32_dpp v7, v6 row_shr:2 row_mask:0xf bank_mask:0xf
	v_add_u32_e32 v1, v1, v5
	v_add_u32_e32 v0, v0, v4
	v_add_u32_e32 v6, v6, v7
	;; [unrolled: 6-line block ×4, first 2 shown]
	v_mov_b32_dpp v0, v1 row_bcast:15 row_mask:0xa bank_mask:0xf
	v_mov_b32_dpp v5, v4 row_bcast:15 row_mask:0xa bank_mask:0xf
	;; [unrolled: 1-line block ×3, first 2 shown]
	v_add_u32_e32 v0, v1, v0
	v_add_u32_e32 v1, v4, v5
	;; [unrolled: 1-line block ×3, first 2 shown]
	v_mov_b32_dpp v5, v0 row_bcast:31 row_mask:0xc bank_mask:0xf
	v_mov_b32_dpp v4, v1 row_bcast:31 row_mask:0xc bank_mask:0xf
	v_mov_b32_dpp v7, v6 row_bcast:31 row_mask:0xc bank_mask:0xf
	v_cmp_eq_u32_e32 vcc, 63, v3
	s_and_b64 exec, exec, vcc
	s_cbranch_execz .LBB64_14
; %bb.30:
	s_load_dwordx2 s[0:1], s[0:1], 0x50
	v_add_u32_e32 v3, v0, v5
	v_add_u32_e32 v0, v1, v4
	;; [unrolled: 1-line block ×3, first 2 shown]
	v_lshl_add_u32 v4, v2, 1, v2
	s_cmp_eq_u32 s16, 0
	v_mul_lo_u32 v2, v1, s13
	v_ashrrev_i32_e32 v5, 31, v4
	v_mul_lo_u32 v0, v0, s13
	v_mul_lo_u32 v6, v3, s13
	s_cbranch_scc1 .LBB64_32
; %bb.31:
	s_waitcnt lgkmcnt(0)
	v_lshl_add_u64 v[12:13], v[4:5], 2, s[0:1]
	global_load_dwordx3 v[8:10], v[12:13], off
	s_waitcnt vmcnt(0)
	v_mad_u64_u32 v[14:15], s[2:3], v9, s16, v[6:7]
	v_mad_u64_u32 v[8:9], s[2:3], v8, s16, v[0:1]
	;; [unrolled: 1-line block ×3, first 2 shown]
	v_mov_b32_e32 v9, v14
	global_store_dwordx3 v[12:13], v[8:10], off
	s_cbranch_execnz .LBB64_14
	s_branch .LBB64_33
.LBB64_32:
.LBB64_33:
	s_waitcnt lgkmcnt(0)
	v_lshl_add_u64 v[4:5], v[4:5], 2, s[0:1]
	v_mov_b32_e32 v1, v6
	global_store_dwordx3 v[4:5], v[0:2], off
	s_endpgm
	.section	.rodata,"a",@progbits
	.p2align	6, 0x0
	.amdhsa_kernel _ZN9rocsparseL18bsrxmvn_3x3_kernelILj256ELj64EiiiaaiEEvT3_20rocsparse_direction_NS_24const_host_device_scalarIT1_EES1_PKS1_PKT2_SA_S7_PKT4_PKT5_S5_PT6_21rocsparse_index_base_b
		.amdhsa_group_segment_fixed_size 0
		.amdhsa_private_segment_fixed_size 0
		.amdhsa_kernarg_size 96
		.amdhsa_user_sgpr_count 2
		.amdhsa_user_sgpr_dispatch_ptr 0
		.amdhsa_user_sgpr_queue_ptr 0
		.amdhsa_user_sgpr_kernarg_segment_ptr 1
		.amdhsa_user_sgpr_dispatch_id 0
		.amdhsa_user_sgpr_kernarg_preload_length 0
		.amdhsa_user_sgpr_kernarg_preload_offset 0
		.amdhsa_user_sgpr_private_segment_size 0
		.amdhsa_uses_dynamic_stack 0
		.amdhsa_enable_private_segment 0
		.amdhsa_system_sgpr_workgroup_id_x 1
		.amdhsa_system_sgpr_workgroup_id_y 0
		.amdhsa_system_sgpr_workgroup_id_z 0
		.amdhsa_system_sgpr_workgroup_info 0
		.amdhsa_system_vgpr_workitem_id 0
		.amdhsa_next_free_vgpr 20
		.amdhsa_next_free_sgpr 23
		.amdhsa_accum_offset 20
		.amdhsa_reserve_vcc 1
		.amdhsa_float_round_mode_32 0
		.amdhsa_float_round_mode_16_64 0
		.amdhsa_float_denorm_mode_32 3
		.amdhsa_float_denorm_mode_16_64 3
		.amdhsa_dx10_clamp 1
		.amdhsa_ieee_mode 1
		.amdhsa_fp16_overflow 0
		.amdhsa_tg_split 0
		.amdhsa_exception_fp_ieee_invalid_op 0
		.amdhsa_exception_fp_denorm_src 0
		.amdhsa_exception_fp_ieee_div_zero 0
		.amdhsa_exception_fp_ieee_overflow 0
		.amdhsa_exception_fp_ieee_underflow 0
		.amdhsa_exception_fp_ieee_inexact 0
		.amdhsa_exception_int_div_zero 0
	.end_amdhsa_kernel
	.section	.text._ZN9rocsparseL18bsrxmvn_3x3_kernelILj256ELj64EiiiaaiEEvT3_20rocsparse_direction_NS_24const_host_device_scalarIT1_EES1_PKS1_PKT2_SA_S7_PKT4_PKT5_S5_PT6_21rocsparse_index_base_b,"axG",@progbits,_ZN9rocsparseL18bsrxmvn_3x3_kernelILj256ELj64EiiiaaiEEvT3_20rocsparse_direction_NS_24const_host_device_scalarIT1_EES1_PKS1_PKT2_SA_S7_PKT4_PKT5_S5_PT6_21rocsparse_index_base_b,comdat
.Lfunc_end64:
	.size	_ZN9rocsparseL18bsrxmvn_3x3_kernelILj256ELj64EiiiaaiEEvT3_20rocsparse_direction_NS_24const_host_device_scalarIT1_EES1_PKS1_PKT2_SA_S7_PKT4_PKT5_S5_PT6_21rocsparse_index_base_b, .Lfunc_end64-_ZN9rocsparseL18bsrxmvn_3x3_kernelILj256ELj64EiiiaaiEEvT3_20rocsparse_direction_NS_24const_host_device_scalarIT1_EES1_PKS1_PKT2_SA_S7_PKT4_PKT5_S5_PT6_21rocsparse_index_base_b
                                        ; -- End function
	.section	.AMDGPU.csdata,"",@progbits
; Kernel info:
; codeLenInByte = 1456
; NumSgprs: 29
; NumVgprs: 20
; NumAgprs: 0
; TotalNumVgprs: 20
; ScratchSize: 0
; MemoryBound: 0
; FloatMode: 240
; IeeeMode: 1
; LDSByteSize: 0 bytes/workgroup (compile time only)
; SGPRBlocks: 3
; VGPRBlocks: 2
; NumSGPRsForWavesPerEU: 29
; NumVGPRsForWavesPerEU: 20
; AccumOffset: 20
; Occupancy: 8
; WaveLimiterHint : 1
; COMPUTE_PGM_RSRC2:SCRATCH_EN: 0
; COMPUTE_PGM_RSRC2:USER_SGPR: 2
; COMPUTE_PGM_RSRC2:TRAP_HANDLER: 0
; COMPUTE_PGM_RSRC2:TGID_X_EN: 1
; COMPUTE_PGM_RSRC2:TGID_Y_EN: 0
; COMPUTE_PGM_RSRC2:TGID_Z_EN: 0
; COMPUTE_PGM_RSRC2:TIDIG_COMP_CNT: 0
; COMPUTE_PGM_RSRC3_GFX90A:ACCUM_OFFSET: 4
; COMPUTE_PGM_RSRC3_GFX90A:TG_SPLIT: 0
	.section	.text._ZN9rocsparseL18bsrxmvn_3x3_kernelILj256ELj4EiliaaiEEvT3_20rocsparse_direction_NS_24const_host_device_scalarIT1_EES1_PKS1_PKT2_SA_S7_PKT4_PKT5_S5_PT6_21rocsparse_index_base_b,"axG",@progbits,_ZN9rocsparseL18bsrxmvn_3x3_kernelILj256ELj4EiliaaiEEvT3_20rocsparse_direction_NS_24const_host_device_scalarIT1_EES1_PKS1_PKT2_SA_S7_PKT4_PKT5_S5_PT6_21rocsparse_index_base_b,comdat
	.globl	_ZN9rocsparseL18bsrxmvn_3x3_kernelILj256ELj4EiliaaiEEvT3_20rocsparse_direction_NS_24const_host_device_scalarIT1_EES1_PKS1_PKT2_SA_S7_PKT4_PKT5_S5_PT6_21rocsparse_index_base_b ; -- Begin function _ZN9rocsparseL18bsrxmvn_3x3_kernelILj256ELj4EiliaaiEEvT3_20rocsparse_direction_NS_24const_host_device_scalarIT1_EES1_PKS1_PKT2_SA_S7_PKT4_PKT5_S5_PT6_21rocsparse_index_base_b
	.p2align	8
	.type	_ZN9rocsparseL18bsrxmvn_3x3_kernelILj256ELj4EiliaaiEEvT3_20rocsparse_direction_NS_24const_host_device_scalarIT1_EES1_PKS1_PKT2_SA_S7_PKT4_PKT5_S5_PT6_21rocsparse_index_base_b,@function
_ZN9rocsparseL18bsrxmvn_3x3_kernelILj256ELj4EiliaaiEEvT3_20rocsparse_direction_NS_24const_host_device_scalarIT1_EES1_PKS1_PKT2_SA_S7_PKT4_PKT5_S5_PT6_21rocsparse_index_base_b: ; @_ZN9rocsparseL18bsrxmvn_3x3_kernelILj256ELj4EiliaaiEEvT3_20rocsparse_direction_NS_24const_host_device_scalarIT1_EES1_PKS1_PKT2_SA_S7_PKT4_PKT5_S5_PT6_21rocsparse_index_base_b
; %bb.0:
	s_load_dwordx2 s[12:13], s[0:1], 0x58
	s_load_dwordx2 s[8:9], s[0:1], 0x8
	s_mov_b64 s[10:11], -1
	s_waitcnt lgkmcnt(0)
	s_bitcmp1_b32 s13, 0
	s_cselect_b64 s[4:5], -1, 0
	s_xor_b64 s[6:7], s[4:5], -1
	s_and_b64 vcc, exec, s[6:7]
                                        ; implicit-def: $sgpr13
	s_cbranch_vccnz .LBB65_4
; %bb.1:
	s_load_dwordx2 s[4:5], s[0:1], 0x48
	s_andn2_b64 vcc, exec, s[10:11]
	s_cbranch_vccz .LBB65_5
.LBB65_2:
	s_and_b64 vcc, exec, s[6:7]
	s_cbranch_vccz .LBB65_6
.LBB65_3:
	s_waitcnt lgkmcnt(0)
	s_load_dword s16, s[4:5], 0x0
	s_cbranch_execz .LBB65_7
	s_branch .LBB65_8
.LBB65_4:
	s_load_dword s13, s[8:9], 0x0
	s_load_dwordx2 s[4:5], s[0:1], 0x48
	s_cbranch_execnz .LBB65_2
.LBB65_5:
	s_waitcnt lgkmcnt(0)
	s_mov_b32 s13, s8
	s_and_b64 vcc, exec, s[6:7]
	s_cbranch_vccnz .LBB65_3
.LBB65_6:
                                        ; implicit-def: $sgpr16
.LBB65_7:
	s_waitcnt lgkmcnt(0)
	s_mov_b32 s16, s4
.LBB65_8:
	s_waitcnt lgkmcnt(0)
	s_cmp_lg_u32 s13, 0
	s_cselect_b64 s[4:5], -1, 0
	s_cmp_lg_u32 s16, 1
	s_cselect_b64 s[6:7], -1, 0
	s_or_b64 s[4:5], s[4:5], s[6:7]
	s_andn2_b64 vcc, exec, s[4:5]
	s_cbranch_vccnz .LBB65_14
; %bb.9:
	s_load_dwordx2 s[4:5], s[0:1], 0x18
	s_load_dwordx2 s[14:15], s[0:1], 0x0
	v_lshrrev_b32_e32 v1, 2, v0
	v_lshl_or_b32 v2, s2, 6, v1
	s_mov_b64 s[2:3], 0
	s_waitcnt lgkmcnt(0)
	s_cmp_lg_u64 s[4:5], 0
	s_cbranch_scc0 .LBB65_15
; %bb.10:
	s_load_dword s6, s[0:1], 0x10
                                        ; implicit-def: $vgpr1
	s_waitcnt lgkmcnt(0)
	v_cmp_gt_i32_e32 vcc, s6, v2
	s_and_saveexec_b64 s[6:7], vcc
	s_xor_b64 s[6:7], exec, s[6:7]
	s_cbranch_execz .LBB65_12
; %bb.11:
	v_ashrrev_i32_e32 v3, 31, v2
	v_lshl_add_u64 v[4:5], v[2:3], 2, s[4:5]
	global_load_dword v1, v[4:5], off
	s_mov_b64 s[2:3], exec
	s_waitcnt vmcnt(0)
	v_subrev_u32_e32 v1, s12, v1
.LBB65_12:
	s_or_b64 exec, exec, s[6:7]
	s_branch .LBB65_16
.LBB65_13:
	v_cmp_gt_i32_e32 vcc, s14, v2
	s_andn2_b64 s[2:3], s[2:3], exec
	s_and_b64 s[4:5], vcc, exec
	s_or_b64 s[2:3], s[2:3], s[4:5]
	s_and_saveexec_b64 s[4:5], s[2:3]
	s_cbranch_execnz .LBB65_17
.LBB65_14:
	s_endpgm
.LBB65_15:
                                        ; implicit-def: $vgpr1
	s_cbranch_execnz .LBB65_13
.LBB65_16:
	v_mov_b32_e32 v2, v1
	s_and_saveexec_b64 s[4:5], s[2:3]
	s_cbranch_execz .LBB65_14
.LBB65_17:
	s_load_dwordx8 s[4:11], s[0:1], 0x20
	v_ashrrev_i32_e32 v3, 31, v2
	v_lshlrev_b64 v[4:5], 3, v[2:3]
	v_and_b32_e32 v0, 3, v0
	v_mov_b32_e32 v1, 0
	s_waitcnt lgkmcnt(0)
	v_lshl_add_u64 v[6:7], s[4:5], 0, v[4:5]
	global_load_dwordx2 v[8:9], v[6:7], off
	s_cmp_eq_u64 s[6:7], 0
	v_lshl_add_u64 v[4:5], s[6:7], 0, v[4:5]
	v_lshl_add_u64 v[6:7], v[6:7], 0, 8
	s_cselect_b64 vcc, -1, 0
	v_cndmask_b32_e32 v5, v5, v7, vcc
	v_cndmask_b32_e32 v4, v4, v6, vcc
	global_load_dwordx2 v[6:7], v[4:5], off
	s_load_dwordx2 s[4:5], s[0:1], 0x40
	s_cmp_eq_u32 s15, 1
	s_waitcnt vmcnt(1)
	v_subrev_co_u32_e32 v4, vcc, s12, v8
	s_nop 1
	v_subbrev_co_u32_e32 v5, vcc, 0, v9, vcc
	v_lshl_add_u64 v[4:5], v[4:5], 0, v[0:1]
	v_mad_u64_u32 v[8:9], s[2:3], v4, 9, s[10:11]
	s_waitcnt vmcnt(0)
	v_subrev_co_u32_e32 v6, vcc, s12, v6
	v_mov_b32_e32 v10, v9
	s_nop 0
	v_subbrev_co_u32_e32 v7, vcc, 0, v7, vcc
	v_mad_u64_u32 v[10:11], s[2:3], v5, 9, v[10:11]
	v_mov_b32_e32 v9, v10
	v_cmp_lt_i64_e64 s[2:3], v[4:5], v[6:7]
	s_cbranch_scc1 .LBB65_23
; %bb.18:
	v_mov_b32_e32 v3, 0
	v_mov_b32_e32 v16, 0
	s_and_saveexec_b64 s[6:7], s[2:3]
	s_cbranch_execz .LBB65_22
; %bb.19:
	v_mov_b32_e32 v1, 0
	v_lshl_add_u64 v[10:11], v[4:5], 2, s[8:9]
	s_mov_b64 s[10:11], 0
	s_mov_b32 s14, 0xc0c0401
	s_mov_b32 s15, 0xc0c0201
	;; [unrolled: 1-line block ×6, first 2 shown]
	v_mov_b64_e32 v[12:13], v[8:9]
	v_mov_b64_e32 v[14:15], v[4:5]
	v_mov_b32_e32 v3, v1
	v_mov_b32_e32 v16, v1
.LBB65_20:                              ; =>This Inner Loop Header: Depth=1
	global_load_dword v17, v[10:11], off
	global_load_dwordx2 v[18:19], v[12:13], off
	global_load_sbyte v22, v[12:13], off offset:8
	v_lshl_add_u64 v[14:15], v[14:15], 0, 4
	v_cmp_ge_i64_e32 vcc, v[14:15], v[6:7]
	v_lshl_add_u64 v[12:13], v[12:13], 0, 36
	v_lshl_add_u64 v[10:11], v[10:11], 0, 16
	s_or_b64 s[10:11], vcc, s[10:11]
	s_waitcnt vmcnt(2)
	v_subrev_u32_e32 v17, s12, v17
	v_lshl_add_u32 v20, v17, 1, v17
	v_ashrrev_i32_e32 v21, 31, v20
	s_waitcnt lgkmcnt(0)
	v_lshl_add_u64 v[20:21], s[4:5], 0, v[20:21]
	global_load_ushort v17, v[20:21], off
	global_load_sbyte v23, v[20:21], off offset:2
	s_waitcnt vmcnt(3)
	v_bfe_i32 v20, v18, 0, 8
	v_perm_b32 v21, v18, v18, s15
	v_perm_b32 v24, v19, v18, s17
	s_waitcnt vmcnt(2)
	v_perm_b32 v18, v22, v18, s19
	v_perm_b32 v19, v19, v19, s20
	v_or_b32_e32 v18, v18, v19
	s_waitcnt vmcnt(1)
	v_bfe_i32 v19, v17, 0, 8
	s_waitcnt vmcnt(0)
	v_perm_b32 v22, v23, v17, s14
	v_perm_b32 v17, v23, v17, s18
	v_mad_i32_i24 v16, v19, v20, v16
	v_dot4c_i32_i8_e32 v3, v24, v17
	v_dot4c_i32_i8_e32 v1, v18, v17
	v_dot4c_i32_i8_e32 v16, v22, v21
	s_andn2_b64 exec, exec, s[10:11]
	s_cbranch_execnz .LBB65_20
; %bb.21:
	s_or_b64 exec, exec, s[10:11]
.LBB65_22:
	s_or_b64 exec, exec, s[6:7]
	s_cbranch_execz .LBB65_24
	s_branch .LBB65_29
.LBB65_23:
                                        ; implicit-def: $vgpr3
                                        ; implicit-def: $vgpr16
.LBB65_24:
	v_mov_b32_e32 v1, 0
	v_mov_b32_e32 v3, 0
	;; [unrolled: 1-line block ×3, first 2 shown]
	s_and_saveexec_b64 s[6:7], s[2:3]
	s_cbranch_execz .LBB65_28
; %bb.25:
	v_mov_b32_e32 v1, 0
	v_lshl_add_u64 v[10:11], v[4:5], 2, s[8:9]
	s_mov_b64 s[2:3], 0
	s_mov_b32 s8, 0xc0c0401
	s_mov_b32 s9, 0xc0c0603
	;; [unrolled: 1-line block ×5, first 2 shown]
	v_mov_b32_e32 v3, v1
	v_mov_b32_e32 v16, v1
.LBB65_26:                              ; =>This Inner Loop Header: Depth=1
	global_load_dword v14, v[10:11], off
	global_load_sbyte v17, v[8:9], off offset:8
	global_load_dwordx2 v[12:13], v[8:9], off
	v_lshl_add_u64 v[4:5], v[4:5], 0, 4
	v_cmp_ge_i64_e32 vcc, v[4:5], v[6:7]
	v_lshl_add_u64 v[8:9], v[8:9], 0, 36
	v_lshl_add_u64 v[10:11], v[10:11], 0, 16
	s_or_b64 s[2:3], vcc, s[2:3]
	s_waitcnt vmcnt(2)
	v_subrev_u32_e32 v14, s12, v14
	v_lshl_add_u32 v14, v14, 1, v14
	v_ashrrev_i32_e32 v15, 31, v14
	s_waitcnt lgkmcnt(0)
	v_lshl_add_u64 v[14:15], s[4:5], 0, v[14:15]
	global_load_ushort v18, v[14:15], off
	global_load_sbyte v19, v[14:15], off offset:2
	s_waitcnt vmcnt(2)
	v_bfe_i32 v14, v12, 0, 8
	v_perm_b32 v15, v13, v12, s9
	v_perm_b32 v13, v13, v12, s10
	;; [unrolled: 1-line block ×3, first 2 shown]
	s_waitcnt vmcnt(1)
	v_bfe_i32 v17, v18, 0, 8
	s_waitcnt vmcnt(0)
	v_perm_b32 v20, v19, v18, s8
	v_perm_b32 v18, v19, v18, s11
	v_mad_i32_i24 v16, v17, v14, v16
	v_dot4c_i32_i8_e32 v3, v13, v18
	v_dot4c_i32_i8_e32 v1, v12, v18
	;; [unrolled: 1-line block ×3, first 2 shown]
	s_andn2_b64 exec, exec, s[2:3]
	s_cbranch_execnz .LBB65_26
; %bb.27:
	s_or_b64 exec, exec, s[2:3]
.LBB65_28:
	s_or_b64 exec, exec, s[6:7]
.LBB65_29:
	v_mov_b32_dpp v4, v16 row_shr:1 row_mask:0xf bank_mask:0xf
	v_mov_b32_dpp v6, v3 row_shr:1 row_mask:0xf bank_mask:0xf
	;; [unrolled: 1-line block ×3, first 2 shown]
	v_add_u32_e32 v4, v4, v16
	v_add_u32_e32 v3, v6, v3
	;; [unrolled: 1-line block ×3, first 2 shown]
	v_mov_b32_dpp v5, v4 row_shr:2 row_mask:0xf bank_mask:0xf
	v_mov_b32_dpp v6, v3 row_shr:2 row_mask:0xf bank_mask:0xf
	;; [unrolled: 1-line block ×3, first 2 shown]
	v_cmp_eq_u32_e32 vcc, 3, v0
	s_and_b64 exec, exec, vcc
	s_cbranch_execz .LBB65_14
; %bb.30:
	s_load_dwordx2 s[0:1], s[0:1], 0x50
	v_add_u32_e32 v0, v4, v5
	v_add_u32_e32 v3, v3, v6
	;; [unrolled: 1-line block ×3, first 2 shown]
	v_lshl_add_u32 v2, v2, 1, v2
	s_cmp_eq_u32 s16, 0
	v_mul_lo_u32 v0, v0, s13
	v_mul_lo_u32 v6, v3, s13
	v_mul_lo_u32 v4, v1, s13
	v_ashrrev_i32_e32 v3, 31, v2
	s_cbranch_scc1 .LBB65_32
; %bb.31:
	s_waitcnt lgkmcnt(0)
	v_lshl_add_u64 v[16:17], v[2:3], 2, s[0:1]
	global_load_dwordx3 v[8:10], v[16:17], off
	s_waitcnt vmcnt(0)
	v_mad_u64_u32 v[12:13], s[2:3], v8, s16, v[0:1]
	v_mad_u64_u32 v[8:9], s[2:3], v9, s16, v[6:7]
	;; [unrolled: 1-line block ×3, first 2 shown]
	v_mov_b32_e32 v13, v8
	v_mov_b32_e32 v14, v10
	global_store_dwordx3 v[16:17], v[12:14], off
	s_cbranch_execnz .LBB65_14
	s_branch .LBB65_33
.LBB65_32:
.LBB65_33:
	s_waitcnt lgkmcnt(0)
	v_lshl_add_u64 v[8:9], v[2:3], 2, s[0:1]
	v_mov_b32_e32 v1, v6
	v_mov_b32_e32 v2, v4
	global_store_dwordx3 v[8:9], v[0:2], off
	s_endpgm
	.section	.rodata,"a",@progbits
	.p2align	6, 0x0
	.amdhsa_kernel _ZN9rocsparseL18bsrxmvn_3x3_kernelILj256ELj4EiliaaiEEvT3_20rocsparse_direction_NS_24const_host_device_scalarIT1_EES1_PKS1_PKT2_SA_S7_PKT4_PKT5_S5_PT6_21rocsparse_index_base_b
		.amdhsa_group_segment_fixed_size 0
		.amdhsa_private_segment_fixed_size 0
		.amdhsa_kernarg_size 96
		.amdhsa_user_sgpr_count 2
		.amdhsa_user_sgpr_dispatch_ptr 0
		.amdhsa_user_sgpr_queue_ptr 0
		.amdhsa_user_sgpr_kernarg_segment_ptr 1
		.amdhsa_user_sgpr_dispatch_id 0
		.amdhsa_user_sgpr_kernarg_preload_length 0
		.amdhsa_user_sgpr_kernarg_preload_offset 0
		.amdhsa_user_sgpr_private_segment_size 0
		.amdhsa_uses_dynamic_stack 0
		.amdhsa_enable_private_segment 0
		.amdhsa_system_sgpr_workgroup_id_x 1
		.amdhsa_system_sgpr_workgroup_id_y 0
		.amdhsa_system_sgpr_workgroup_id_z 0
		.amdhsa_system_sgpr_workgroup_info 0
		.amdhsa_system_vgpr_workitem_id 0
		.amdhsa_next_free_vgpr 25
		.amdhsa_next_free_sgpr 21
		.amdhsa_accum_offset 28
		.amdhsa_reserve_vcc 1
		.amdhsa_float_round_mode_32 0
		.amdhsa_float_round_mode_16_64 0
		.amdhsa_float_denorm_mode_32 3
		.amdhsa_float_denorm_mode_16_64 3
		.amdhsa_dx10_clamp 1
		.amdhsa_ieee_mode 1
		.amdhsa_fp16_overflow 0
		.amdhsa_tg_split 0
		.amdhsa_exception_fp_ieee_invalid_op 0
		.amdhsa_exception_fp_denorm_src 0
		.amdhsa_exception_fp_ieee_div_zero 0
		.amdhsa_exception_fp_ieee_overflow 0
		.amdhsa_exception_fp_ieee_underflow 0
		.amdhsa_exception_fp_ieee_inexact 0
		.amdhsa_exception_int_div_zero 0
	.end_amdhsa_kernel
	.section	.text._ZN9rocsparseL18bsrxmvn_3x3_kernelILj256ELj4EiliaaiEEvT3_20rocsparse_direction_NS_24const_host_device_scalarIT1_EES1_PKS1_PKT2_SA_S7_PKT4_PKT5_S5_PT6_21rocsparse_index_base_b,"axG",@progbits,_ZN9rocsparseL18bsrxmvn_3x3_kernelILj256ELj4EiliaaiEEvT3_20rocsparse_direction_NS_24const_host_device_scalarIT1_EES1_PKS1_PKT2_SA_S7_PKT4_PKT5_S5_PT6_21rocsparse_index_base_b,comdat
.Lfunc_end65:
	.size	_ZN9rocsparseL18bsrxmvn_3x3_kernelILj256ELj4EiliaaiEEvT3_20rocsparse_direction_NS_24const_host_device_scalarIT1_EES1_PKS1_PKT2_SA_S7_PKT4_PKT5_S5_PT6_21rocsparse_index_base_b, .Lfunc_end65-_ZN9rocsparseL18bsrxmvn_3x3_kernelILj256ELj4EiliaaiEEvT3_20rocsparse_direction_NS_24const_host_device_scalarIT1_EES1_PKS1_PKT2_SA_S7_PKT4_PKT5_S5_PT6_21rocsparse_index_base_b
                                        ; -- End function
	.section	.AMDGPU.csdata,"",@progbits
; Kernel info:
; codeLenInByte = 1356
; NumSgprs: 27
; NumVgprs: 25
; NumAgprs: 0
; TotalNumVgprs: 25
; ScratchSize: 0
; MemoryBound: 0
; FloatMode: 240
; IeeeMode: 1
; LDSByteSize: 0 bytes/workgroup (compile time only)
; SGPRBlocks: 3
; VGPRBlocks: 3
; NumSGPRsForWavesPerEU: 27
; NumVGPRsForWavesPerEU: 25
; AccumOffset: 28
; Occupancy: 8
; WaveLimiterHint : 1
; COMPUTE_PGM_RSRC2:SCRATCH_EN: 0
; COMPUTE_PGM_RSRC2:USER_SGPR: 2
; COMPUTE_PGM_RSRC2:TRAP_HANDLER: 0
; COMPUTE_PGM_RSRC2:TGID_X_EN: 1
; COMPUTE_PGM_RSRC2:TGID_Y_EN: 0
; COMPUTE_PGM_RSRC2:TGID_Z_EN: 0
; COMPUTE_PGM_RSRC2:TIDIG_COMP_CNT: 0
; COMPUTE_PGM_RSRC3_GFX90A:ACCUM_OFFSET: 6
; COMPUTE_PGM_RSRC3_GFX90A:TG_SPLIT: 0
	.section	.text._ZN9rocsparseL18bsrxmvn_3x3_kernelILj256ELj8EiliaaiEEvT3_20rocsparse_direction_NS_24const_host_device_scalarIT1_EES1_PKS1_PKT2_SA_S7_PKT4_PKT5_S5_PT6_21rocsparse_index_base_b,"axG",@progbits,_ZN9rocsparseL18bsrxmvn_3x3_kernelILj256ELj8EiliaaiEEvT3_20rocsparse_direction_NS_24const_host_device_scalarIT1_EES1_PKS1_PKT2_SA_S7_PKT4_PKT5_S5_PT6_21rocsparse_index_base_b,comdat
	.globl	_ZN9rocsparseL18bsrxmvn_3x3_kernelILj256ELj8EiliaaiEEvT3_20rocsparse_direction_NS_24const_host_device_scalarIT1_EES1_PKS1_PKT2_SA_S7_PKT4_PKT5_S5_PT6_21rocsparse_index_base_b ; -- Begin function _ZN9rocsparseL18bsrxmvn_3x3_kernelILj256ELj8EiliaaiEEvT3_20rocsparse_direction_NS_24const_host_device_scalarIT1_EES1_PKS1_PKT2_SA_S7_PKT4_PKT5_S5_PT6_21rocsparse_index_base_b
	.p2align	8
	.type	_ZN9rocsparseL18bsrxmvn_3x3_kernelILj256ELj8EiliaaiEEvT3_20rocsparse_direction_NS_24const_host_device_scalarIT1_EES1_PKS1_PKT2_SA_S7_PKT4_PKT5_S5_PT6_21rocsparse_index_base_b,@function
_ZN9rocsparseL18bsrxmvn_3x3_kernelILj256ELj8EiliaaiEEvT3_20rocsparse_direction_NS_24const_host_device_scalarIT1_EES1_PKS1_PKT2_SA_S7_PKT4_PKT5_S5_PT6_21rocsparse_index_base_b: ; @_ZN9rocsparseL18bsrxmvn_3x3_kernelILj256ELj8EiliaaiEEvT3_20rocsparse_direction_NS_24const_host_device_scalarIT1_EES1_PKS1_PKT2_SA_S7_PKT4_PKT5_S5_PT6_21rocsparse_index_base_b
; %bb.0:
	s_load_dwordx2 s[12:13], s[0:1], 0x58
	s_load_dwordx2 s[8:9], s[0:1], 0x8
	s_mov_b64 s[10:11], -1
	s_waitcnt lgkmcnt(0)
	s_bitcmp1_b32 s13, 0
	s_cselect_b64 s[4:5], -1, 0
	s_xor_b64 s[6:7], s[4:5], -1
	s_and_b64 vcc, exec, s[6:7]
                                        ; implicit-def: $sgpr13
	s_cbranch_vccnz .LBB66_4
; %bb.1:
	s_load_dwordx2 s[4:5], s[0:1], 0x48
	s_andn2_b64 vcc, exec, s[10:11]
	s_cbranch_vccz .LBB66_5
.LBB66_2:
	s_and_b64 vcc, exec, s[6:7]
	s_cbranch_vccz .LBB66_6
.LBB66_3:
	s_waitcnt lgkmcnt(0)
	s_load_dword s16, s[4:5], 0x0
	s_cbranch_execz .LBB66_7
	s_branch .LBB66_8
.LBB66_4:
	s_load_dword s13, s[8:9], 0x0
	s_load_dwordx2 s[4:5], s[0:1], 0x48
	s_cbranch_execnz .LBB66_2
.LBB66_5:
	s_waitcnt lgkmcnt(0)
	s_mov_b32 s13, s8
	s_and_b64 vcc, exec, s[6:7]
	s_cbranch_vccnz .LBB66_3
.LBB66_6:
                                        ; implicit-def: $sgpr16
.LBB66_7:
	s_waitcnt lgkmcnt(0)
	s_mov_b32 s16, s4
.LBB66_8:
	s_waitcnt lgkmcnt(0)
	s_cmp_lg_u32 s13, 0
	s_cselect_b64 s[4:5], -1, 0
	s_cmp_lg_u32 s16, 1
	s_cselect_b64 s[6:7], -1, 0
	s_or_b64 s[4:5], s[4:5], s[6:7]
	s_andn2_b64 vcc, exec, s[4:5]
	s_cbranch_vccnz .LBB66_14
; %bb.9:
	s_load_dwordx2 s[4:5], s[0:1], 0x18
	s_load_dwordx2 s[14:15], s[0:1], 0x0
	v_lshrrev_b32_e32 v1, 3, v0
	v_lshl_or_b32 v2, s2, 5, v1
	s_mov_b64 s[2:3], 0
	s_waitcnt lgkmcnt(0)
	s_cmp_lg_u64 s[4:5], 0
	s_cbranch_scc0 .LBB66_15
; %bb.10:
	s_load_dword s6, s[0:1], 0x10
                                        ; implicit-def: $vgpr1
	s_waitcnt lgkmcnt(0)
	v_cmp_gt_i32_e32 vcc, s6, v2
	s_and_saveexec_b64 s[6:7], vcc
	s_xor_b64 s[6:7], exec, s[6:7]
	s_cbranch_execz .LBB66_12
; %bb.11:
	v_ashrrev_i32_e32 v3, 31, v2
	v_lshl_add_u64 v[4:5], v[2:3], 2, s[4:5]
	global_load_dword v1, v[4:5], off
	s_mov_b64 s[2:3], exec
	s_waitcnt vmcnt(0)
	v_subrev_u32_e32 v1, s12, v1
.LBB66_12:
	s_or_b64 exec, exec, s[6:7]
	s_branch .LBB66_16
.LBB66_13:
	v_cmp_gt_i32_e32 vcc, s14, v2
	s_andn2_b64 s[2:3], s[2:3], exec
	s_and_b64 s[4:5], vcc, exec
	s_or_b64 s[2:3], s[2:3], s[4:5]
	s_and_saveexec_b64 s[4:5], s[2:3]
	s_cbranch_execnz .LBB66_17
.LBB66_14:
	s_endpgm
.LBB66_15:
                                        ; implicit-def: $vgpr1
	s_cbranch_execnz .LBB66_13
.LBB66_16:
	v_mov_b32_e32 v2, v1
	s_and_saveexec_b64 s[4:5], s[2:3]
	s_cbranch_execz .LBB66_14
.LBB66_17:
	s_load_dwordx8 s[4:11], s[0:1], 0x20
	v_ashrrev_i32_e32 v3, 31, v2
	v_lshlrev_b64 v[4:5], 3, v[2:3]
	v_and_b32_e32 v0, 7, v0
	v_mov_b32_e32 v1, 0
	s_waitcnt lgkmcnt(0)
	v_lshl_add_u64 v[6:7], s[4:5], 0, v[4:5]
	global_load_dwordx2 v[8:9], v[6:7], off
	s_cmp_eq_u64 s[6:7], 0
	v_lshl_add_u64 v[4:5], s[6:7], 0, v[4:5]
	v_lshl_add_u64 v[6:7], v[6:7], 0, 8
	s_cselect_b64 vcc, -1, 0
	v_cndmask_b32_e32 v5, v5, v7, vcc
	v_cndmask_b32_e32 v4, v4, v6, vcc
	global_load_dwordx2 v[6:7], v[4:5], off
	s_load_dwordx2 s[4:5], s[0:1], 0x40
	s_cmp_eq_u32 s15, 1
	s_waitcnt vmcnt(1)
	v_subrev_co_u32_e32 v4, vcc, s12, v8
	s_nop 1
	v_subbrev_co_u32_e32 v5, vcc, 0, v9, vcc
	v_lshl_add_u64 v[4:5], v[4:5], 0, v[0:1]
	v_mad_u64_u32 v[8:9], s[2:3], v4, 9, s[10:11]
	s_waitcnt vmcnt(0)
	v_subrev_co_u32_e32 v6, vcc, s12, v6
	v_mov_b32_e32 v10, v9
	s_nop 0
	v_subbrev_co_u32_e32 v7, vcc, 0, v7, vcc
	v_mad_u64_u32 v[10:11], s[2:3], v5, 9, v[10:11]
	v_mov_b32_e32 v9, v10
	v_cmp_lt_i64_e64 s[2:3], v[4:5], v[6:7]
	s_cbranch_scc1 .LBB66_23
; %bb.18:
	v_mov_b32_e32 v3, 0
	v_mov_b32_e32 v16, 0
	s_and_saveexec_b64 s[6:7], s[2:3]
	s_cbranch_execz .LBB66_22
; %bb.19:
	v_mov_b32_e32 v1, 0
	v_lshl_add_u64 v[10:11], v[4:5], 2, s[8:9]
	s_mov_b64 s[10:11], 0
	s_mov_b32 s17, 0xc0c0401
	s_mov_b32 s18, 0xc0c0201
	;; [unrolled: 1-line block ×6, first 2 shown]
	s_mov_b64 s[14:15], 0x48
	v_mov_b64_e32 v[12:13], v[8:9]
	v_mov_b64_e32 v[14:15], v[4:5]
	v_mov_b32_e32 v3, v1
	v_mov_b32_e32 v16, v1
.LBB66_20:                              ; =>This Inner Loop Header: Depth=1
	global_load_dword v17, v[10:11], off
	global_load_dwordx2 v[18:19], v[12:13], off
	global_load_sbyte v22, v[12:13], off offset:8
	v_lshl_add_u64 v[14:15], v[14:15], 0, 8
	v_cmp_ge_i64_e32 vcc, v[14:15], v[6:7]
	v_lshl_add_u64 v[12:13], v[12:13], 0, s[14:15]
	v_lshl_add_u64 v[10:11], v[10:11], 0, 32
	s_or_b64 s[10:11], vcc, s[10:11]
	s_waitcnt vmcnt(2)
	v_subrev_u32_e32 v17, s12, v17
	v_lshl_add_u32 v20, v17, 1, v17
	v_ashrrev_i32_e32 v21, 31, v20
	s_waitcnt lgkmcnt(0)
	v_lshl_add_u64 v[20:21], s[4:5], 0, v[20:21]
	global_load_ushort v17, v[20:21], off
	global_load_sbyte v23, v[20:21], off offset:2
	s_waitcnt vmcnt(3)
	v_bfe_i32 v20, v18, 0, 8
	v_perm_b32 v21, v18, v18, s18
	v_perm_b32 v24, v19, v18, s19
	s_waitcnt vmcnt(2)
	v_perm_b32 v18, v22, v18, s21
	v_perm_b32 v19, v19, v19, s22
	v_or_b32_e32 v18, v18, v19
	s_waitcnt vmcnt(1)
	v_bfe_i32 v19, v17, 0, 8
	s_waitcnt vmcnt(0)
	v_perm_b32 v22, v23, v17, s17
	v_perm_b32 v17, v23, v17, s20
	v_mad_i32_i24 v16, v19, v20, v16
	v_dot4c_i32_i8_e32 v3, v24, v17
	v_dot4c_i32_i8_e32 v1, v18, v17
	;; [unrolled: 1-line block ×3, first 2 shown]
	s_andn2_b64 exec, exec, s[10:11]
	s_cbranch_execnz .LBB66_20
; %bb.21:
	s_or_b64 exec, exec, s[10:11]
.LBB66_22:
	s_or_b64 exec, exec, s[6:7]
	s_cbranch_execz .LBB66_24
	s_branch .LBB66_29
.LBB66_23:
                                        ; implicit-def: $vgpr3
                                        ; implicit-def: $vgpr16
.LBB66_24:
	v_mov_b32_e32 v1, 0
	v_mov_b32_e32 v3, 0
	;; [unrolled: 1-line block ×3, first 2 shown]
	s_and_saveexec_b64 s[6:7], s[2:3]
	s_cbranch_execz .LBB66_28
; %bb.25:
	v_mov_b32_e32 v1, 0
	v_lshl_add_u64 v[10:11], v[4:5], 2, s[8:9]
	s_mov_b64 s[2:3], 0
	s_mov_b32 s10, 0xc0c0401
	s_mov_b32 s11, 0xc0c0603
	;; [unrolled: 1-line block ×5, first 2 shown]
	s_mov_b64 s[8:9], 0x48
	v_mov_b32_e32 v3, v1
	v_mov_b32_e32 v16, v1
.LBB66_26:                              ; =>This Inner Loop Header: Depth=1
	global_load_dword v14, v[10:11], off
	global_load_sbyte v17, v[8:9], off offset:8
	global_load_dwordx2 v[12:13], v[8:9], off
	v_lshl_add_u64 v[4:5], v[4:5], 0, 8
	v_cmp_ge_i64_e32 vcc, v[4:5], v[6:7]
	v_lshl_add_u64 v[8:9], v[8:9], 0, s[8:9]
	v_lshl_add_u64 v[10:11], v[10:11], 0, 32
	s_or_b64 s[2:3], vcc, s[2:3]
	s_waitcnt vmcnt(2)
	v_subrev_u32_e32 v14, s12, v14
	v_lshl_add_u32 v14, v14, 1, v14
	v_ashrrev_i32_e32 v15, 31, v14
	s_waitcnt lgkmcnt(0)
	v_lshl_add_u64 v[14:15], s[4:5], 0, v[14:15]
	global_load_ushort v18, v[14:15], off
	global_load_sbyte v19, v[14:15], off offset:2
	s_waitcnt vmcnt(2)
	v_bfe_i32 v14, v12, 0, 8
	v_perm_b32 v15, v13, v12, s11
	v_perm_b32 v13, v13, v12, s14
	;; [unrolled: 1-line block ×3, first 2 shown]
	s_waitcnt vmcnt(1)
	v_bfe_i32 v17, v18, 0, 8
	s_waitcnt vmcnt(0)
	v_perm_b32 v20, v19, v18, s10
	v_perm_b32 v18, v19, v18, s15
	v_mad_i32_i24 v16, v17, v14, v16
	v_dot4c_i32_i8_e32 v3, v13, v18
	v_dot4c_i32_i8_e32 v1, v12, v18
	;; [unrolled: 1-line block ×3, first 2 shown]
	s_andn2_b64 exec, exec, s[2:3]
	s_cbranch_execnz .LBB66_26
; %bb.27:
	s_or_b64 exec, exec, s[2:3]
.LBB66_28:
	s_or_b64 exec, exec, s[6:7]
.LBB66_29:
	v_mov_b32_dpp v4, v16 row_shr:1 row_mask:0xf bank_mask:0xf
	v_mov_b32_dpp v6, v3 row_shr:1 row_mask:0xf bank_mask:0xf
	;; [unrolled: 1-line block ×3, first 2 shown]
	v_add_u32_e32 v4, v4, v16
	v_add_u32_e32 v3, v6, v3
	;; [unrolled: 1-line block ×3, first 2 shown]
	v_mov_b32_dpp v5, v4 row_shr:2 row_mask:0xf bank_mask:0xf
	v_mov_b32_dpp v6, v3 row_shr:2 row_mask:0xf bank_mask:0xf
	;; [unrolled: 1-line block ×3, first 2 shown]
	v_add_u32_e32 v4, v4, v5
	v_add_u32_e32 v3, v3, v6
	;; [unrolled: 1-line block ×3, first 2 shown]
	v_mov_b32_dpp v5, v4 row_shr:4 row_mask:0xf bank_mask:0xe
	v_mov_b32_dpp v6, v3 row_shr:4 row_mask:0xf bank_mask:0xe
	;; [unrolled: 1-line block ×3, first 2 shown]
	v_cmp_eq_u32_e32 vcc, 7, v0
	s_and_b64 exec, exec, vcc
	s_cbranch_execz .LBB66_14
; %bb.30:
	s_load_dwordx2 s[0:1], s[0:1], 0x50
	v_add_u32_e32 v0, v4, v5
	v_add_u32_e32 v3, v3, v6
	;; [unrolled: 1-line block ×3, first 2 shown]
	v_lshl_add_u32 v2, v2, 1, v2
	s_cmp_eq_u32 s16, 0
	v_mul_lo_u32 v0, v0, s13
	v_mul_lo_u32 v6, v3, s13
	;; [unrolled: 1-line block ×3, first 2 shown]
	v_ashrrev_i32_e32 v3, 31, v2
	s_cbranch_scc1 .LBB66_32
; %bb.31:
	s_waitcnt lgkmcnt(0)
	v_lshl_add_u64 v[16:17], v[2:3], 2, s[0:1]
	global_load_dwordx3 v[8:10], v[16:17], off
	s_waitcnt vmcnt(0)
	v_mad_u64_u32 v[12:13], s[2:3], v8, s16, v[0:1]
	v_mad_u64_u32 v[8:9], s[2:3], v9, s16, v[6:7]
	;; [unrolled: 1-line block ×3, first 2 shown]
	v_mov_b32_e32 v13, v8
	v_mov_b32_e32 v14, v10
	global_store_dwordx3 v[16:17], v[12:14], off
	s_cbranch_execnz .LBB66_14
	s_branch .LBB66_33
.LBB66_32:
.LBB66_33:
	s_waitcnt lgkmcnt(0)
	v_lshl_add_u64 v[8:9], v[2:3], 2, s[0:1]
	v_mov_b32_e32 v1, v6
	v_mov_b32_e32 v2, v4
	global_store_dwordx3 v[8:9], v[0:2], off
	s_endpgm
	.section	.rodata,"a",@progbits
	.p2align	6, 0x0
	.amdhsa_kernel _ZN9rocsparseL18bsrxmvn_3x3_kernelILj256ELj8EiliaaiEEvT3_20rocsparse_direction_NS_24const_host_device_scalarIT1_EES1_PKS1_PKT2_SA_S7_PKT4_PKT5_S5_PT6_21rocsparse_index_base_b
		.amdhsa_group_segment_fixed_size 0
		.amdhsa_private_segment_fixed_size 0
		.amdhsa_kernarg_size 96
		.amdhsa_user_sgpr_count 2
		.amdhsa_user_sgpr_dispatch_ptr 0
		.amdhsa_user_sgpr_queue_ptr 0
		.amdhsa_user_sgpr_kernarg_segment_ptr 1
		.amdhsa_user_sgpr_dispatch_id 0
		.amdhsa_user_sgpr_kernarg_preload_length 0
		.amdhsa_user_sgpr_kernarg_preload_offset 0
		.amdhsa_user_sgpr_private_segment_size 0
		.amdhsa_uses_dynamic_stack 0
		.amdhsa_enable_private_segment 0
		.amdhsa_system_sgpr_workgroup_id_x 1
		.amdhsa_system_sgpr_workgroup_id_y 0
		.amdhsa_system_sgpr_workgroup_id_z 0
		.amdhsa_system_sgpr_workgroup_info 0
		.amdhsa_system_vgpr_workitem_id 0
		.amdhsa_next_free_vgpr 25
		.amdhsa_next_free_sgpr 23
		.amdhsa_accum_offset 28
		.amdhsa_reserve_vcc 1
		.amdhsa_float_round_mode_32 0
		.amdhsa_float_round_mode_16_64 0
		.amdhsa_float_denorm_mode_32 3
		.amdhsa_float_denorm_mode_16_64 3
		.amdhsa_dx10_clamp 1
		.amdhsa_ieee_mode 1
		.amdhsa_fp16_overflow 0
		.amdhsa_tg_split 0
		.amdhsa_exception_fp_ieee_invalid_op 0
		.amdhsa_exception_fp_denorm_src 0
		.amdhsa_exception_fp_ieee_div_zero 0
		.amdhsa_exception_fp_ieee_overflow 0
		.amdhsa_exception_fp_ieee_underflow 0
		.amdhsa_exception_fp_ieee_inexact 0
		.amdhsa_exception_int_div_zero 0
	.end_amdhsa_kernel
	.section	.text._ZN9rocsparseL18bsrxmvn_3x3_kernelILj256ELj8EiliaaiEEvT3_20rocsparse_direction_NS_24const_host_device_scalarIT1_EES1_PKS1_PKT2_SA_S7_PKT4_PKT5_S5_PT6_21rocsparse_index_base_b,"axG",@progbits,_ZN9rocsparseL18bsrxmvn_3x3_kernelILj256ELj8EiliaaiEEvT3_20rocsparse_direction_NS_24const_host_device_scalarIT1_EES1_PKS1_PKT2_SA_S7_PKT4_PKT5_S5_PT6_21rocsparse_index_base_b,comdat
.Lfunc_end66:
	.size	_ZN9rocsparseL18bsrxmvn_3x3_kernelILj256ELj8EiliaaiEEvT3_20rocsparse_direction_NS_24const_host_device_scalarIT1_EES1_PKS1_PKT2_SA_S7_PKT4_PKT5_S5_PT6_21rocsparse_index_base_b, .Lfunc_end66-_ZN9rocsparseL18bsrxmvn_3x3_kernelILj256ELj8EiliaaiEEvT3_20rocsparse_direction_NS_24const_host_device_scalarIT1_EES1_PKS1_PKT2_SA_S7_PKT4_PKT5_S5_PT6_21rocsparse_index_base_b
                                        ; -- End function
	.section	.AMDGPU.csdata,"",@progbits
; Kernel info:
; codeLenInByte = 1408
; NumSgprs: 29
; NumVgprs: 25
; NumAgprs: 0
; TotalNumVgprs: 25
; ScratchSize: 0
; MemoryBound: 0
; FloatMode: 240
; IeeeMode: 1
; LDSByteSize: 0 bytes/workgroup (compile time only)
; SGPRBlocks: 3
; VGPRBlocks: 3
; NumSGPRsForWavesPerEU: 29
; NumVGPRsForWavesPerEU: 25
; AccumOffset: 28
; Occupancy: 8
; WaveLimiterHint : 1
; COMPUTE_PGM_RSRC2:SCRATCH_EN: 0
; COMPUTE_PGM_RSRC2:USER_SGPR: 2
; COMPUTE_PGM_RSRC2:TRAP_HANDLER: 0
; COMPUTE_PGM_RSRC2:TGID_X_EN: 1
; COMPUTE_PGM_RSRC2:TGID_Y_EN: 0
; COMPUTE_PGM_RSRC2:TGID_Z_EN: 0
; COMPUTE_PGM_RSRC2:TIDIG_COMP_CNT: 0
; COMPUTE_PGM_RSRC3_GFX90A:ACCUM_OFFSET: 6
; COMPUTE_PGM_RSRC3_GFX90A:TG_SPLIT: 0
	.section	.text._ZN9rocsparseL18bsrxmvn_3x3_kernelILj256ELj16EiliaaiEEvT3_20rocsparse_direction_NS_24const_host_device_scalarIT1_EES1_PKS1_PKT2_SA_S7_PKT4_PKT5_S5_PT6_21rocsparse_index_base_b,"axG",@progbits,_ZN9rocsparseL18bsrxmvn_3x3_kernelILj256ELj16EiliaaiEEvT3_20rocsparse_direction_NS_24const_host_device_scalarIT1_EES1_PKS1_PKT2_SA_S7_PKT4_PKT5_S5_PT6_21rocsparse_index_base_b,comdat
	.globl	_ZN9rocsparseL18bsrxmvn_3x3_kernelILj256ELj16EiliaaiEEvT3_20rocsparse_direction_NS_24const_host_device_scalarIT1_EES1_PKS1_PKT2_SA_S7_PKT4_PKT5_S5_PT6_21rocsparse_index_base_b ; -- Begin function _ZN9rocsparseL18bsrxmvn_3x3_kernelILj256ELj16EiliaaiEEvT3_20rocsparse_direction_NS_24const_host_device_scalarIT1_EES1_PKS1_PKT2_SA_S7_PKT4_PKT5_S5_PT6_21rocsparse_index_base_b
	.p2align	8
	.type	_ZN9rocsparseL18bsrxmvn_3x3_kernelILj256ELj16EiliaaiEEvT3_20rocsparse_direction_NS_24const_host_device_scalarIT1_EES1_PKS1_PKT2_SA_S7_PKT4_PKT5_S5_PT6_21rocsparse_index_base_b,@function
_ZN9rocsparseL18bsrxmvn_3x3_kernelILj256ELj16EiliaaiEEvT3_20rocsparse_direction_NS_24const_host_device_scalarIT1_EES1_PKS1_PKT2_SA_S7_PKT4_PKT5_S5_PT6_21rocsparse_index_base_b: ; @_ZN9rocsparseL18bsrxmvn_3x3_kernelILj256ELj16EiliaaiEEvT3_20rocsparse_direction_NS_24const_host_device_scalarIT1_EES1_PKS1_PKT2_SA_S7_PKT4_PKT5_S5_PT6_21rocsparse_index_base_b
; %bb.0:
	s_load_dwordx2 s[12:13], s[0:1], 0x58
	s_load_dwordx2 s[8:9], s[0:1], 0x8
	s_mov_b64 s[10:11], -1
	s_waitcnt lgkmcnt(0)
	s_bitcmp1_b32 s13, 0
	s_cselect_b64 s[4:5], -1, 0
	s_xor_b64 s[6:7], s[4:5], -1
	s_and_b64 vcc, exec, s[6:7]
                                        ; implicit-def: $sgpr13
	s_cbranch_vccnz .LBB67_4
; %bb.1:
	s_load_dwordx2 s[4:5], s[0:1], 0x48
	s_andn2_b64 vcc, exec, s[10:11]
	s_cbranch_vccz .LBB67_5
.LBB67_2:
	s_and_b64 vcc, exec, s[6:7]
	s_cbranch_vccz .LBB67_6
.LBB67_3:
	s_waitcnt lgkmcnt(0)
	s_load_dword s16, s[4:5], 0x0
	s_cbranch_execz .LBB67_7
	s_branch .LBB67_8
.LBB67_4:
	s_load_dword s13, s[8:9], 0x0
	s_load_dwordx2 s[4:5], s[0:1], 0x48
	s_cbranch_execnz .LBB67_2
.LBB67_5:
	s_waitcnt lgkmcnt(0)
	s_mov_b32 s13, s8
	s_and_b64 vcc, exec, s[6:7]
	s_cbranch_vccnz .LBB67_3
.LBB67_6:
                                        ; implicit-def: $sgpr16
.LBB67_7:
	s_waitcnt lgkmcnt(0)
	s_mov_b32 s16, s4
.LBB67_8:
	s_waitcnt lgkmcnt(0)
	s_cmp_lg_u32 s13, 0
	s_cselect_b64 s[4:5], -1, 0
	s_cmp_lg_u32 s16, 1
	s_cselect_b64 s[6:7], -1, 0
	s_or_b64 s[4:5], s[4:5], s[6:7]
	s_andn2_b64 vcc, exec, s[4:5]
	s_cbranch_vccnz .LBB67_14
; %bb.9:
	s_load_dwordx2 s[4:5], s[0:1], 0x18
	s_load_dwordx2 s[14:15], s[0:1], 0x0
	v_lshrrev_b32_e32 v1, 4, v0
	v_lshl_or_b32 v2, s2, 4, v1
	s_mov_b64 s[2:3], 0
	s_waitcnt lgkmcnt(0)
	s_cmp_lg_u64 s[4:5], 0
	s_cbranch_scc0 .LBB67_15
; %bb.10:
	s_load_dword s6, s[0:1], 0x10
                                        ; implicit-def: $vgpr1
	s_waitcnt lgkmcnt(0)
	v_cmp_gt_i32_e32 vcc, s6, v2
	s_and_saveexec_b64 s[6:7], vcc
	s_xor_b64 s[6:7], exec, s[6:7]
	s_cbranch_execz .LBB67_12
; %bb.11:
	v_ashrrev_i32_e32 v3, 31, v2
	v_lshl_add_u64 v[4:5], v[2:3], 2, s[4:5]
	global_load_dword v1, v[4:5], off
	s_mov_b64 s[2:3], exec
	s_waitcnt vmcnt(0)
	v_subrev_u32_e32 v1, s12, v1
.LBB67_12:
	s_or_b64 exec, exec, s[6:7]
	s_branch .LBB67_16
.LBB67_13:
	v_cmp_gt_i32_e32 vcc, s14, v2
	s_andn2_b64 s[2:3], s[2:3], exec
	s_and_b64 s[4:5], vcc, exec
	s_or_b64 s[2:3], s[2:3], s[4:5]
	s_and_saveexec_b64 s[4:5], s[2:3]
	s_cbranch_execnz .LBB67_17
.LBB67_14:
	s_endpgm
.LBB67_15:
                                        ; implicit-def: $vgpr1
	s_cbranch_execnz .LBB67_13
.LBB67_16:
	v_mov_b32_e32 v2, v1
	s_and_saveexec_b64 s[4:5], s[2:3]
	s_cbranch_execz .LBB67_14
.LBB67_17:
	s_load_dwordx8 s[4:11], s[0:1], 0x20
	v_ashrrev_i32_e32 v3, 31, v2
	v_lshlrev_b64 v[4:5], 3, v[2:3]
	v_and_b32_e32 v0, 15, v0
	v_mov_b32_e32 v1, 0
	s_waitcnt lgkmcnt(0)
	v_lshl_add_u64 v[6:7], s[4:5], 0, v[4:5]
	global_load_dwordx2 v[8:9], v[6:7], off
	s_cmp_eq_u64 s[6:7], 0
	v_lshl_add_u64 v[4:5], s[6:7], 0, v[4:5]
	v_lshl_add_u64 v[6:7], v[6:7], 0, 8
	s_cselect_b64 vcc, -1, 0
	v_cndmask_b32_e32 v5, v5, v7, vcc
	v_cndmask_b32_e32 v4, v4, v6, vcc
	global_load_dwordx2 v[6:7], v[4:5], off
	s_load_dwordx2 s[4:5], s[0:1], 0x40
	s_cmp_eq_u32 s15, 1
	s_waitcnt vmcnt(1)
	v_subrev_co_u32_e32 v4, vcc, s12, v8
	s_nop 1
	v_subbrev_co_u32_e32 v5, vcc, 0, v9, vcc
	v_lshl_add_u64 v[4:5], v[4:5], 0, v[0:1]
	v_mad_u64_u32 v[8:9], s[2:3], v4, 9, s[10:11]
	s_waitcnt vmcnt(0)
	v_subrev_co_u32_e32 v6, vcc, s12, v6
	v_mov_b32_e32 v10, v9
	s_nop 0
	v_subbrev_co_u32_e32 v7, vcc, 0, v7, vcc
	v_mad_u64_u32 v[10:11], s[2:3], v5, 9, v[10:11]
	v_mov_b32_e32 v9, v10
	v_cmp_lt_i64_e64 s[2:3], v[4:5], v[6:7]
	s_cbranch_scc1 .LBB67_23
; %bb.18:
	v_mov_b32_e32 v3, 0
	v_mov_b32_e32 v16, 0
	s_and_saveexec_b64 s[6:7], s[2:3]
	s_cbranch_execz .LBB67_22
; %bb.19:
	v_mov_b32_e32 v1, 0
	v_lshl_add_u64 v[10:11], v[4:5], 2, s[8:9]
	s_mov_b64 s[10:11], 0
	s_mov_b32 s17, 0xc0c0401
	s_mov_b32 s18, 0xc0c0201
	;; [unrolled: 1-line block ×6, first 2 shown]
	s_mov_b64 s[14:15], 0x90
	v_mov_b64_e32 v[12:13], v[8:9]
	v_mov_b64_e32 v[14:15], v[4:5]
	v_mov_b32_e32 v3, v1
	v_mov_b32_e32 v16, v1
.LBB67_20:                              ; =>This Inner Loop Header: Depth=1
	global_load_dword v17, v[10:11], off
	global_load_dwordx2 v[18:19], v[12:13], off
	global_load_sbyte v22, v[12:13], off offset:8
	v_lshl_add_u64 v[14:15], v[14:15], 0, 16
	v_cmp_ge_i64_e32 vcc, v[14:15], v[6:7]
	v_lshl_add_u64 v[12:13], v[12:13], 0, s[14:15]
	v_lshl_add_u64 v[10:11], v[10:11], 0, 64
	s_or_b64 s[10:11], vcc, s[10:11]
	s_waitcnt vmcnt(2)
	v_subrev_u32_e32 v17, s12, v17
	v_lshl_add_u32 v20, v17, 1, v17
	v_ashrrev_i32_e32 v21, 31, v20
	s_waitcnt lgkmcnt(0)
	v_lshl_add_u64 v[20:21], s[4:5], 0, v[20:21]
	global_load_ushort v17, v[20:21], off
	global_load_sbyte v23, v[20:21], off offset:2
	s_waitcnt vmcnt(3)
	v_bfe_i32 v20, v18, 0, 8
	v_perm_b32 v21, v18, v18, s18
	v_perm_b32 v24, v19, v18, s19
	s_waitcnt vmcnt(2)
	v_perm_b32 v18, v22, v18, s21
	v_perm_b32 v19, v19, v19, s22
	v_or_b32_e32 v18, v18, v19
	s_waitcnt vmcnt(1)
	v_bfe_i32 v19, v17, 0, 8
	s_waitcnt vmcnt(0)
	v_perm_b32 v22, v23, v17, s17
	v_perm_b32 v17, v23, v17, s20
	v_mad_i32_i24 v16, v19, v20, v16
	v_dot4c_i32_i8_e32 v3, v24, v17
	v_dot4c_i32_i8_e32 v1, v18, v17
	;; [unrolled: 1-line block ×3, first 2 shown]
	s_andn2_b64 exec, exec, s[10:11]
	s_cbranch_execnz .LBB67_20
; %bb.21:
	s_or_b64 exec, exec, s[10:11]
.LBB67_22:
	s_or_b64 exec, exec, s[6:7]
	s_cbranch_execz .LBB67_24
	s_branch .LBB67_29
.LBB67_23:
                                        ; implicit-def: $vgpr3
                                        ; implicit-def: $vgpr16
.LBB67_24:
	v_mov_b32_e32 v1, 0
	v_mov_b32_e32 v3, 0
	;; [unrolled: 1-line block ×3, first 2 shown]
	s_and_saveexec_b64 s[6:7], s[2:3]
	s_cbranch_execz .LBB67_28
; %bb.25:
	v_mov_b32_e32 v1, 0
	v_lshl_add_u64 v[10:11], v[4:5], 2, s[8:9]
	s_mov_b64 s[2:3], 0
	s_mov_b32 s10, 0xc0c0401
	s_mov_b32 s11, 0xc0c0603
	;; [unrolled: 1-line block ×5, first 2 shown]
	s_mov_b64 s[8:9], 0x90
	v_mov_b32_e32 v3, v1
	v_mov_b32_e32 v16, v1
.LBB67_26:                              ; =>This Inner Loop Header: Depth=1
	global_load_dword v14, v[10:11], off
	global_load_sbyte v17, v[8:9], off offset:8
	global_load_dwordx2 v[12:13], v[8:9], off
	v_lshl_add_u64 v[4:5], v[4:5], 0, 16
	v_cmp_ge_i64_e32 vcc, v[4:5], v[6:7]
	v_lshl_add_u64 v[8:9], v[8:9], 0, s[8:9]
	v_lshl_add_u64 v[10:11], v[10:11], 0, 64
	s_or_b64 s[2:3], vcc, s[2:3]
	s_waitcnt vmcnt(2)
	v_subrev_u32_e32 v14, s12, v14
	v_lshl_add_u32 v14, v14, 1, v14
	v_ashrrev_i32_e32 v15, 31, v14
	s_waitcnt lgkmcnt(0)
	v_lshl_add_u64 v[14:15], s[4:5], 0, v[14:15]
	global_load_ushort v18, v[14:15], off
	global_load_sbyte v19, v[14:15], off offset:2
	s_waitcnt vmcnt(2)
	v_bfe_i32 v14, v12, 0, 8
	v_perm_b32 v15, v13, v12, s11
	v_perm_b32 v13, v13, v12, s14
	;; [unrolled: 1-line block ×3, first 2 shown]
	s_waitcnt vmcnt(1)
	v_bfe_i32 v17, v18, 0, 8
	s_waitcnt vmcnt(0)
	v_perm_b32 v20, v19, v18, s10
	v_perm_b32 v18, v19, v18, s15
	v_mad_i32_i24 v16, v17, v14, v16
	v_dot4c_i32_i8_e32 v3, v13, v18
	v_dot4c_i32_i8_e32 v1, v12, v18
	;; [unrolled: 1-line block ×3, first 2 shown]
	s_andn2_b64 exec, exec, s[2:3]
	s_cbranch_execnz .LBB67_26
; %bb.27:
	s_or_b64 exec, exec, s[2:3]
.LBB67_28:
	s_or_b64 exec, exec, s[6:7]
.LBB67_29:
	v_mov_b32_dpp v4, v16 row_shr:1 row_mask:0xf bank_mask:0xf
	v_mov_b32_dpp v6, v3 row_shr:1 row_mask:0xf bank_mask:0xf
	v_mov_b32_dpp v7, v1 row_shr:1 row_mask:0xf bank_mask:0xf
	v_add_u32_e32 v4, v4, v16
	v_add_u32_e32 v3, v6, v3
	v_add_u32_e32 v1, v7, v1
	v_mov_b32_dpp v5, v4 row_shr:2 row_mask:0xf bank_mask:0xf
	v_mov_b32_dpp v6, v3 row_shr:2 row_mask:0xf bank_mask:0xf
	v_mov_b32_dpp v7, v1 row_shr:2 row_mask:0xf bank_mask:0xf
	v_add_u32_e32 v4, v4, v5
	v_add_u32_e32 v3, v3, v6
	v_add_u32_e32 v1, v1, v7
	;; [unrolled: 6-line block ×3, first 2 shown]
	v_mov_b32_dpp v5, v4 row_shr:8 row_mask:0xf bank_mask:0xc
	v_mov_b32_dpp v6, v3 row_shr:8 row_mask:0xf bank_mask:0xc
	;; [unrolled: 1-line block ×3, first 2 shown]
	v_cmp_eq_u32_e32 vcc, 15, v0
	s_and_b64 exec, exec, vcc
	s_cbranch_execz .LBB67_14
; %bb.30:
	s_load_dwordx2 s[0:1], s[0:1], 0x50
	v_add_u32_e32 v0, v4, v5
	v_add_u32_e32 v3, v3, v6
	;; [unrolled: 1-line block ×3, first 2 shown]
	v_lshl_add_u32 v2, v2, 1, v2
	s_cmp_eq_u32 s16, 0
	v_mul_lo_u32 v0, v0, s13
	v_mul_lo_u32 v6, v3, s13
	;; [unrolled: 1-line block ×3, first 2 shown]
	v_ashrrev_i32_e32 v3, 31, v2
	s_cbranch_scc1 .LBB67_32
; %bb.31:
	s_waitcnt lgkmcnt(0)
	v_lshl_add_u64 v[16:17], v[2:3], 2, s[0:1]
	global_load_dwordx3 v[8:10], v[16:17], off
	s_waitcnt vmcnt(0)
	v_mad_u64_u32 v[12:13], s[2:3], v8, s16, v[0:1]
	v_mad_u64_u32 v[8:9], s[2:3], v9, s16, v[6:7]
	v_mad_u64_u32 v[10:11], s[2:3], v10, s16, v[4:5]
	v_mov_b32_e32 v13, v8
	v_mov_b32_e32 v14, v10
	global_store_dwordx3 v[16:17], v[12:14], off
	s_cbranch_execnz .LBB67_14
	s_branch .LBB67_33
.LBB67_32:
.LBB67_33:
	s_waitcnt lgkmcnt(0)
	v_lshl_add_u64 v[8:9], v[2:3], 2, s[0:1]
	v_mov_b32_e32 v1, v6
	v_mov_b32_e32 v2, v4
	global_store_dwordx3 v[8:9], v[0:2], off
	s_endpgm
	.section	.rodata,"a",@progbits
	.p2align	6, 0x0
	.amdhsa_kernel _ZN9rocsparseL18bsrxmvn_3x3_kernelILj256ELj16EiliaaiEEvT3_20rocsparse_direction_NS_24const_host_device_scalarIT1_EES1_PKS1_PKT2_SA_S7_PKT4_PKT5_S5_PT6_21rocsparse_index_base_b
		.amdhsa_group_segment_fixed_size 0
		.amdhsa_private_segment_fixed_size 0
		.amdhsa_kernarg_size 96
		.amdhsa_user_sgpr_count 2
		.amdhsa_user_sgpr_dispatch_ptr 0
		.amdhsa_user_sgpr_queue_ptr 0
		.amdhsa_user_sgpr_kernarg_segment_ptr 1
		.amdhsa_user_sgpr_dispatch_id 0
		.amdhsa_user_sgpr_kernarg_preload_length 0
		.amdhsa_user_sgpr_kernarg_preload_offset 0
		.amdhsa_user_sgpr_private_segment_size 0
		.amdhsa_uses_dynamic_stack 0
		.amdhsa_enable_private_segment 0
		.amdhsa_system_sgpr_workgroup_id_x 1
		.amdhsa_system_sgpr_workgroup_id_y 0
		.amdhsa_system_sgpr_workgroup_id_z 0
		.amdhsa_system_sgpr_workgroup_info 0
		.amdhsa_system_vgpr_workitem_id 0
		.amdhsa_next_free_vgpr 25
		.amdhsa_next_free_sgpr 23
		.amdhsa_accum_offset 28
		.amdhsa_reserve_vcc 1
		.amdhsa_float_round_mode_32 0
		.amdhsa_float_round_mode_16_64 0
		.amdhsa_float_denorm_mode_32 3
		.amdhsa_float_denorm_mode_16_64 3
		.amdhsa_dx10_clamp 1
		.amdhsa_ieee_mode 1
		.amdhsa_fp16_overflow 0
		.amdhsa_tg_split 0
		.amdhsa_exception_fp_ieee_invalid_op 0
		.amdhsa_exception_fp_denorm_src 0
		.amdhsa_exception_fp_ieee_div_zero 0
		.amdhsa_exception_fp_ieee_overflow 0
		.amdhsa_exception_fp_ieee_underflow 0
		.amdhsa_exception_fp_ieee_inexact 0
		.amdhsa_exception_int_div_zero 0
	.end_amdhsa_kernel
	.section	.text._ZN9rocsparseL18bsrxmvn_3x3_kernelILj256ELj16EiliaaiEEvT3_20rocsparse_direction_NS_24const_host_device_scalarIT1_EES1_PKS1_PKT2_SA_S7_PKT4_PKT5_S5_PT6_21rocsparse_index_base_b,"axG",@progbits,_ZN9rocsparseL18bsrxmvn_3x3_kernelILj256ELj16EiliaaiEEvT3_20rocsparse_direction_NS_24const_host_device_scalarIT1_EES1_PKS1_PKT2_SA_S7_PKT4_PKT5_S5_PT6_21rocsparse_index_base_b,comdat
.Lfunc_end67:
	.size	_ZN9rocsparseL18bsrxmvn_3x3_kernelILj256ELj16EiliaaiEEvT3_20rocsparse_direction_NS_24const_host_device_scalarIT1_EES1_PKS1_PKT2_SA_S7_PKT4_PKT5_S5_PT6_21rocsparse_index_base_b, .Lfunc_end67-_ZN9rocsparseL18bsrxmvn_3x3_kernelILj256ELj16EiliaaiEEvT3_20rocsparse_direction_NS_24const_host_device_scalarIT1_EES1_PKS1_PKT2_SA_S7_PKT4_PKT5_S5_PT6_21rocsparse_index_base_b
                                        ; -- End function
	.section	.AMDGPU.csdata,"",@progbits
; Kernel info:
; codeLenInByte = 1444
; NumSgprs: 29
; NumVgprs: 25
; NumAgprs: 0
; TotalNumVgprs: 25
; ScratchSize: 0
; MemoryBound: 0
; FloatMode: 240
; IeeeMode: 1
; LDSByteSize: 0 bytes/workgroup (compile time only)
; SGPRBlocks: 3
; VGPRBlocks: 3
; NumSGPRsForWavesPerEU: 29
; NumVGPRsForWavesPerEU: 25
; AccumOffset: 28
; Occupancy: 8
; WaveLimiterHint : 1
; COMPUTE_PGM_RSRC2:SCRATCH_EN: 0
; COMPUTE_PGM_RSRC2:USER_SGPR: 2
; COMPUTE_PGM_RSRC2:TRAP_HANDLER: 0
; COMPUTE_PGM_RSRC2:TGID_X_EN: 1
; COMPUTE_PGM_RSRC2:TGID_Y_EN: 0
; COMPUTE_PGM_RSRC2:TGID_Z_EN: 0
; COMPUTE_PGM_RSRC2:TIDIG_COMP_CNT: 0
; COMPUTE_PGM_RSRC3_GFX90A:ACCUM_OFFSET: 6
; COMPUTE_PGM_RSRC3_GFX90A:TG_SPLIT: 0
	.section	.text._ZN9rocsparseL18bsrxmvn_3x3_kernelILj256ELj32EiliaaiEEvT3_20rocsparse_direction_NS_24const_host_device_scalarIT1_EES1_PKS1_PKT2_SA_S7_PKT4_PKT5_S5_PT6_21rocsparse_index_base_b,"axG",@progbits,_ZN9rocsparseL18bsrxmvn_3x3_kernelILj256ELj32EiliaaiEEvT3_20rocsparse_direction_NS_24const_host_device_scalarIT1_EES1_PKS1_PKT2_SA_S7_PKT4_PKT5_S5_PT6_21rocsparse_index_base_b,comdat
	.globl	_ZN9rocsparseL18bsrxmvn_3x3_kernelILj256ELj32EiliaaiEEvT3_20rocsparse_direction_NS_24const_host_device_scalarIT1_EES1_PKS1_PKT2_SA_S7_PKT4_PKT5_S5_PT6_21rocsparse_index_base_b ; -- Begin function _ZN9rocsparseL18bsrxmvn_3x3_kernelILj256ELj32EiliaaiEEvT3_20rocsparse_direction_NS_24const_host_device_scalarIT1_EES1_PKS1_PKT2_SA_S7_PKT4_PKT5_S5_PT6_21rocsparse_index_base_b
	.p2align	8
	.type	_ZN9rocsparseL18bsrxmvn_3x3_kernelILj256ELj32EiliaaiEEvT3_20rocsparse_direction_NS_24const_host_device_scalarIT1_EES1_PKS1_PKT2_SA_S7_PKT4_PKT5_S5_PT6_21rocsparse_index_base_b,@function
_ZN9rocsparseL18bsrxmvn_3x3_kernelILj256ELj32EiliaaiEEvT3_20rocsparse_direction_NS_24const_host_device_scalarIT1_EES1_PKS1_PKT2_SA_S7_PKT4_PKT5_S5_PT6_21rocsparse_index_base_b: ; @_ZN9rocsparseL18bsrxmvn_3x3_kernelILj256ELj32EiliaaiEEvT3_20rocsparse_direction_NS_24const_host_device_scalarIT1_EES1_PKS1_PKT2_SA_S7_PKT4_PKT5_S5_PT6_21rocsparse_index_base_b
; %bb.0:
	s_load_dwordx2 s[12:13], s[0:1], 0x58
	s_load_dwordx2 s[8:9], s[0:1], 0x8
	s_mov_b64 s[10:11], -1
	s_waitcnt lgkmcnt(0)
	s_bitcmp1_b32 s13, 0
	s_cselect_b64 s[4:5], -1, 0
	s_xor_b64 s[6:7], s[4:5], -1
	s_and_b64 vcc, exec, s[6:7]
                                        ; implicit-def: $sgpr13
	s_cbranch_vccnz .LBB68_4
; %bb.1:
	s_load_dwordx2 s[4:5], s[0:1], 0x48
	s_andn2_b64 vcc, exec, s[10:11]
	s_cbranch_vccz .LBB68_5
.LBB68_2:
	s_and_b64 vcc, exec, s[6:7]
	s_cbranch_vccz .LBB68_6
.LBB68_3:
	s_waitcnt lgkmcnt(0)
	s_load_dword s18, s[4:5], 0x0
	s_cbranch_execz .LBB68_7
	s_branch .LBB68_8
.LBB68_4:
	s_load_dword s13, s[8:9], 0x0
	s_load_dwordx2 s[4:5], s[0:1], 0x48
	s_cbranch_execnz .LBB68_2
.LBB68_5:
	s_waitcnt lgkmcnt(0)
	s_mov_b32 s13, s8
	s_and_b64 vcc, exec, s[6:7]
	s_cbranch_vccnz .LBB68_3
.LBB68_6:
                                        ; implicit-def: $sgpr18
.LBB68_7:
	s_waitcnt lgkmcnt(0)
	s_mov_b32 s18, s4
.LBB68_8:
	s_waitcnt lgkmcnt(0)
	s_cmp_lg_u32 s13, 0
	s_cselect_b64 s[4:5], -1, 0
	s_cmp_lg_u32 s18, 1
	s_cselect_b64 s[6:7], -1, 0
	s_or_b64 s[4:5], s[4:5], s[6:7]
	s_andn2_b64 vcc, exec, s[4:5]
	s_cbranch_vccnz .LBB68_14
; %bb.9:
	s_load_dwordx2 s[4:5], s[0:1], 0x18
	s_load_dwordx2 s[14:15], s[0:1], 0x0
	v_lshrrev_b32_e32 v1, 5, v0
	v_lshl_or_b32 v2, s2, 3, v1
	s_mov_b64 s[2:3], 0
	s_waitcnt lgkmcnt(0)
	s_cmp_lg_u64 s[4:5], 0
	s_cbranch_scc0 .LBB68_15
; %bb.10:
	s_load_dword s6, s[0:1], 0x10
                                        ; implicit-def: $vgpr1
	s_waitcnt lgkmcnt(0)
	v_cmp_gt_i32_e32 vcc, s6, v2
	s_and_saveexec_b64 s[6:7], vcc
	s_xor_b64 s[6:7], exec, s[6:7]
	s_cbranch_execz .LBB68_12
; %bb.11:
	v_ashrrev_i32_e32 v3, 31, v2
	v_lshl_add_u64 v[4:5], v[2:3], 2, s[4:5]
	global_load_dword v1, v[4:5], off
	s_mov_b64 s[2:3], exec
	s_waitcnt vmcnt(0)
	v_subrev_u32_e32 v1, s12, v1
.LBB68_12:
	s_or_b64 exec, exec, s[6:7]
	s_branch .LBB68_16
.LBB68_13:
	v_cmp_gt_i32_e32 vcc, s14, v2
	s_andn2_b64 s[2:3], s[2:3], exec
	s_and_b64 s[4:5], vcc, exec
	s_or_b64 s[2:3], s[2:3], s[4:5]
	s_and_saveexec_b64 s[4:5], s[2:3]
	s_cbranch_execnz .LBB68_17
.LBB68_14:
	s_endpgm
.LBB68_15:
                                        ; implicit-def: $vgpr1
	s_cbranch_execnz .LBB68_13
.LBB68_16:
	v_mov_b32_e32 v2, v1
	s_and_saveexec_b64 s[4:5], s[2:3]
	s_cbranch_execz .LBB68_14
.LBB68_17:
	s_load_dwordx8 s[4:11], s[0:1], 0x20
	v_ashrrev_i32_e32 v3, 31, v2
	v_lshlrev_b64 v[4:5], 3, v[2:3]
	v_and_b32_e32 v0, 31, v0
	v_mov_b32_e32 v1, 0
	s_waitcnt lgkmcnt(0)
	v_lshl_add_u64 v[6:7], s[4:5], 0, v[4:5]
	global_load_dwordx2 v[8:9], v[6:7], off
	s_cmp_eq_u64 s[6:7], 0
	v_lshl_add_u64 v[4:5], s[6:7], 0, v[4:5]
	v_lshl_add_u64 v[6:7], v[6:7], 0, 8
	s_cselect_b64 vcc, -1, 0
	v_cndmask_b32_e32 v5, v5, v7, vcc
	v_cndmask_b32_e32 v4, v4, v6, vcc
	global_load_dwordx2 v[6:7], v[4:5], off
	s_load_dwordx2 s[4:5], s[0:1], 0x40
	s_cmp_eq_u32 s15, 1
	s_waitcnt vmcnt(1)
	v_subrev_co_u32_e32 v4, vcc, s12, v8
	s_nop 1
	v_subbrev_co_u32_e32 v5, vcc, 0, v9, vcc
	v_lshl_add_u64 v[4:5], v[4:5], 0, v[0:1]
	v_mad_u64_u32 v[8:9], s[2:3], v4, 9, s[10:11]
	s_waitcnt vmcnt(0)
	v_subrev_co_u32_e32 v6, vcc, s12, v6
	v_mov_b32_e32 v10, v9
	s_nop 0
	v_subbrev_co_u32_e32 v7, vcc, 0, v7, vcc
	v_mad_u64_u32 v[10:11], s[2:3], v5, 9, v[10:11]
	v_mov_b32_e32 v9, v10
	v_cmp_lt_i64_e64 s[2:3], v[4:5], v[6:7]
	s_cbranch_scc1 .LBB68_23
; %bb.18:
	v_mov_b32_e32 v3, 0
	v_mov_b32_e32 v16, 0
	s_and_saveexec_b64 s[6:7], s[2:3]
	s_cbranch_execz .LBB68_22
; %bb.19:
	v_mov_b32_e32 v1, 0
	v_lshl_add_u64 v[10:11], v[4:5], 2, s[8:9]
	s_mov_b64 s[10:11], 0
	s_mov_b32 s19, 0xc0c0401
	s_mov_b32 s20, 0xc0c0201
	;; [unrolled: 1-line block ×6, first 2 shown]
	s_mov_b64 s[14:15], 0x120
	s_mov_b64 s[16:17], 0x80
	v_mov_b64_e32 v[12:13], v[8:9]
	v_mov_b64_e32 v[14:15], v[4:5]
	v_mov_b32_e32 v3, v1
	v_mov_b32_e32 v16, v1
.LBB68_20:                              ; =>This Inner Loop Header: Depth=1
	global_load_dword v17, v[10:11], off
	global_load_dwordx2 v[18:19], v[12:13], off
	global_load_sbyte v22, v[12:13], off offset:8
	v_lshl_add_u64 v[14:15], v[14:15], 0, 32
	v_cmp_ge_i64_e32 vcc, v[14:15], v[6:7]
	v_lshl_add_u64 v[12:13], v[12:13], 0, s[14:15]
	v_lshl_add_u64 v[10:11], v[10:11], 0, s[16:17]
	s_or_b64 s[10:11], vcc, s[10:11]
	s_waitcnt vmcnt(2)
	v_subrev_u32_e32 v17, s12, v17
	v_lshl_add_u32 v20, v17, 1, v17
	v_ashrrev_i32_e32 v21, 31, v20
	s_waitcnt lgkmcnt(0)
	v_lshl_add_u64 v[20:21], s[4:5], 0, v[20:21]
	global_load_ushort v17, v[20:21], off
	global_load_sbyte v23, v[20:21], off offset:2
	s_waitcnt vmcnt(3)
	v_bfe_i32 v20, v18, 0, 8
	v_perm_b32 v21, v18, v18, s20
	v_perm_b32 v24, v19, v18, s21
	s_waitcnt vmcnt(2)
	v_perm_b32 v18, v22, v18, s23
	v_perm_b32 v19, v19, v19, s24
	v_or_b32_e32 v18, v18, v19
	s_waitcnt vmcnt(1)
	v_bfe_i32 v19, v17, 0, 8
	s_waitcnt vmcnt(0)
	v_perm_b32 v22, v23, v17, s19
	v_perm_b32 v17, v23, v17, s22
	v_mad_i32_i24 v16, v19, v20, v16
	v_dot4c_i32_i8_e32 v3, v24, v17
	v_dot4c_i32_i8_e32 v1, v18, v17
	v_dot4c_i32_i8_e32 v16, v22, v21
	s_andn2_b64 exec, exec, s[10:11]
	s_cbranch_execnz .LBB68_20
; %bb.21:
	s_or_b64 exec, exec, s[10:11]
.LBB68_22:
	s_or_b64 exec, exec, s[6:7]
	s_cbranch_execz .LBB68_24
	s_branch .LBB68_29
.LBB68_23:
                                        ; implicit-def: $vgpr3
                                        ; implicit-def: $vgpr16
.LBB68_24:
	v_mov_b32_e32 v1, 0
	v_mov_b32_e32 v3, 0
	;; [unrolled: 1-line block ×3, first 2 shown]
	s_and_saveexec_b64 s[6:7], s[2:3]
	s_cbranch_execz .LBB68_28
; %bb.25:
	v_mov_b32_e32 v1, 0
	v_lshl_add_u64 v[10:11], v[4:5], 2, s[8:9]
	s_mov_b64 s[2:3], 0
	s_mov_b32 s14, 0xc0c0401
	s_mov_b32 s15, 0xc0c0603
	;; [unrolled: 1-line block ×5, first 2 shown]
	s_mov_b64 s[8:9], 0x120
	s_mov_b64 s[10:11], 0x80
	v_mov_b32_e32 v3, v1
	v_mov_b32_e32 v16, v1
.LBB68_26:                              ; =>This Inner Loop Header: Depth=1
	global_load_dword v14, v[10:11], off
	global_load_sbyte v17, v[8:9], off offset:8
	global_load_dwordx2 v[12:13], v[8:9], off
	v_lshl_add_u64 v[4:5], v[4:5], 0, 32
	v_cmp_ge_i64_e32 vcc, v[4:5], v[6:7]
	v_lshl_add_u64 v[8:9], v[8:9], 0, s[8:9]
	v_lshl_add_u64 v[10:11], v[10:11], 0, s[10:11]
	s_or_b64 s[2:3], vcc, s[2:3]
	s_waitcnt vmcnt(2)
	v_subrev_u32_e32 v14, s12, v14
	v_lshl_add_u32 v14, v14, 1, v14
	v_ashrrev_i32_e32 v15, 31, v14
	s_waitcnt lgkmcnt(0)
	v_lshl_add_u64 v[14:15], s[4:5], 0, v[14:15]
	global_load_ushort v18, v[14:15], off
	global_load_sbyte v19, v[14:15], off offset:2
	s_waitcnt vmcnt(2)
	v_bfe_i32 v14, v12, 0, 8
	v_perm_b32 v15, v13, v12, s15
	v_perm_b32 v13, v13, v12, s16
	;; [unrolled: 1-line block ×3, first 2 shown]
	s_waitcnt vmcnt(1)
	v_bfe_i32 v17, v18, 0, 8
	s_waitcnt vmcnt(0)
	v_perm_b32 v20, v19, v18, s14
	v_perm_b32 v18, v19, v18, s17
	v_mad_i32_i24 v16, v17, v14, v16
	v_dot4c_i32_i8_e32 v3, v13, v18
	v_dot4c_i32_i8_e32 v1, v12, v18
	;; [unrolled: 1-line block ×3, first 2 shown]
	s_andn2_b64 exec, exec, s[2:3]
	s_cbranch_execnz .LBB68_26
; %bb.27:
	s_or_b64 exec, exec, s[2:3]
.LBB68_28:
	s_or_b64 exec, exec, s[6:7]
.LBB68_29:
	v_mov_b32_dpp v4, v16 row_shr:1 row_mask:0xf bank_mask:0xf
	v_mov_b32_dpp v6, v3 row_shr:1 row_mask:0xf bank_mask:0xf
	v_mov_b32_dpp v7, v1 row_shr:1 row_mask:0xf bank_mask:0xf
	v_add_u32_e32 v4, v4, v16
	v_add_u32_e32 v3, v6, v3
	v_add_u32_e32 v1, v7, v1
	v_mov_b32_dpp v5, v4 row_shr:2 row_mask:0xf bank_mask:0xf
	v_mov_b32_dpp v6, v3 row_shr:2 row_mask:0xf bank_mask:0xf
	v_mov_b32_dpp v7, v1 row_shr:2 row_mask:0xf bank_mask:0xf
	v_add_u32_e32 v4, v4, v5
	v_add_u32_e32 v3, v3, v6
	v_add_u32_e32 v1, v1, v7
	v_mov_b32_dpp v5, v4 row_shr:4 row_mask:0xf bank_mask:0xe
	v_mov_b32_dpp v6, v3 row_shr:4 row_mask:0xf bank_mask:0xe
	v_mov_b32_dpp v7, v1 row_shr:4 row_mask:0xf bank_mask:0xe
	v_add_u32_e32 v4, v4, v5
	v_add_u32_e32 v3, v3, v6
	v_add_u32_e32 v1, v1, v7
	v_mov_b32_dpp v5, v4 row_shr:8 row_mask:0xf bank_mask:0xc
	v_mov_b32_dpp v6, v3 row_shr:8 row_mask:0xf bank_mask:0xc
	v_mov_b32_dpp v7, v1 row_shr:8 row_mask:0xf bank_mask:0xc
	v_add_u32_e32 v4, v4, v5
	v_add_u32_e32 v3, v3, v6
	v_add_u32_e32 v1, v1, v7
	v_mov_b32_dpp v5, v4 row_bcast:15 row_mask:0xa bank_mask:0xf
	v_mov_b32_dpp v6, v3 row_bcast:15 row_mask:0xa bank_mask:0xf
	;; [unrolled: 1-line block ×3, first 2 shown]
	v_cmp_eq_u32_e32 vcc, 31, v0
	s_and_b64 exec, exec, vcc
	s_cbranch_execz .LBB68_14
; %bb.30:
	s_load_dwordx2 s[0:1], s[0:1], 0x50
	v_add_u32_e32 v0, v4, v5
	v_add_u32_e32 v3, v3, v6
	;; [unrolled: 1-line block ×3, first 2 shown]
	v_lshl_add_u32 v2, v2, 1, v2
	s_cmp_eq_u32 s18, 0
	v_mul_lo_u32 v0, v0, s13
	v_mul_lo_u32 v6, v3, s13
	;; [unrolled: 1-line block ×3, first 2 shown]
	v_ashrrev_i32_e32 v3, 31, v2
	s_cbranch_scc1 .LBB68_32
; %bb.31:
	s_waitcnt lgkmcnt(0)
	v_lshl_add_u64 v[16:17], v[2:3], 2, s[0:1]
	global_load_dwordx3 v[8:10], v[16:17], off
	s_waitcnt vmcnt(0)
	v_mad_u64_u32 v[12:13], s[2:3], v8, s18, v[0:1]
	v_mad_u64_u32 v[8:9], s[2:3], v9, s18, v[6:7]
	v_mad_u64_u32 v[10:11], s[2:3], v10, s18, v[4:5]
	v_mov_b32_e32 v13, v8
	v_mov_b32_e32 v14, v10
	global_store_dwordx3 v[16:17], v[12:14], off
	s_cbranch_execnz .LBB68_14
	s_branch .LBB68_33
.LBB68_32:
.LBB68_33:
	s_waitcnt lgkmcnt(0)
	v_lshl_add_u64 v[8:9], v[2:3], 2, s[0:1]
	v_mov_b32_e32 v1, v6
	v_mov_b32_e32 v2, v4
	global_store_dwordx3 v[8:9], v[0:2], off
	s_endpgm
	.section	.rodata,"a",@progbits
	.p2align	6, 0x0
	.amdhsa_kernel _ZN9rocsparseL18bsrxmvn_3x3_kernelILj256ELj32EiliaaiEEvT3_20rocsparse_direction_NS_24const_host_device_scalarIT1_EES1_PKS1_PKT2_SA_S7_PKT4_PKT5_S5_PT6_21rocsparse_index_base_b
		.amdhsa_group_segment_fixed_size 0
		.amdhsa_private_segment_fixed_size 0
		.amdhsa_kernarg_size 96
		.amdhsa_user_sgpr_count 2
		.amdhsa_user_sgpr_dispatch_ptr 0
		.amdhsa_user_sgpr_queue_ptr 0
		.amdhsa_user_sgpr_kernarg_segment_ptr 1
		.amdhsa_user_sgpr_dispatch_id 0
		.amdhsa_user_sgpr_kernarg_preload_length 0
		.amdhsa_user_sgpr_kernarg_preload_offset 0
		.amdhsa_user_sgpr_private_segment_size 0
		.amdhsa_uses_dynamic_stack 0
		.amdhsa_enable_private_segment 0
		.amdhsa_system_sgpr_workgroup_id_x 1
		.amdhsa_system_sgpr_workgroup_id_y 0
		.amdhsa_system_sgpr_workgroup_id_z 0
		.amdhsa_system_sgpr_workgroup_info 0
		.amdhsa_system_vgpr_workitem_id 0
		.amdhsa_next_free_vgpr 25
		.amdhsa_next_free_sgpr 25
		.amdhsa_accum_offset 28
		.amdhsa_reserve_vcc 1
		.amdhsa_float_round_mode_32 0
		.amdhsa_float_round_mode_16_64 0
		.amdhsa_float_denorm_mode_32 3
		.amdhsa_float_denorm_mode_16_64 3
		.amdhsa_dx10_clamp 1
		.amdhsa_ieee_mode 1
		.amdhsa_fp16_overflow 0
		.amdhsa_tg_split 0
		.amdhsa_exception_fp_ieee_invalid_op 0
		.amdhsa_exception_fp_denorm_src 0
		.amdhsa_exception_fp_ieee_div_zero 0
		.amdhsa_exception_fp_ieee_overflow 0
		.amdhsa_exception_fp_ieee_underflow 0
		.amdhsa_exception_fp_ieee_inexact 0
		.amdhsa_exception_int_div_zero 0
	.end_amdhsa_kernel
	.section	.text._ZN9rocsparseL18bsrxmvn_3x3_kernelILj256ELj32EiliaaiEEvT3_20rocsparse_direction_NS_24const_host_device_scalarIT1_EES1_PKS1_PKT2_SA_S7_PKT4_PKT5_S5_PT6_21rocsparse_index_base_b,"axG",@progbits,_ZN9rocsparseL18bsrxmvn_3x3_kernelILj256ELj32EiliaaiEEvT3_20rocsparse_direction_NS_24const_host_device_scalarIT1_EES1_PKS1_PKT2_SA_S7_PKT4_PKT5_S5_PT6_21rocsparse_index_base_b,comdat
.Lfunc_end68:
	.size	_ZN9rocsparseL18bsrxmvn_3x3_kernelILj256ELj32EiliaaiEEvT3_20rocsparse_direction_NS_24const_host_device_scalarIT1_EES1_PKS1_PKT2_SA_S7_PKT4_PKT5_S5_PT6_21rocsparse_index_base_b, .Lfunc_end68-_ZN9rocsparseL18bsrxmvn_3x3_kernelILj256ELj32EiliaaiEEvT3_20rocsparse_direction_NS_24const_host_device_scalarIT1_EES1_PKS1_PKT2_SA_S7_PKT4_PKT5_S5_PT6_21rocsparse_index_base_b
                                        ; -- End function
	.section	.AMDGPU.csdata,"",@progbits
; Kernel info:
; codeLenInByte = 1496
; NumSgprs: 31
; NumVgprs: 25
; NumAgprs: 0
; TotalNumVgprs: 25
; ScratchSize: 0
; MemoryBound: 0
; FloatMode: 240
; IeeeMode: 1
; LDSByteSize: 0 bytes/workgroup (compile time only)
; SGPRBlocks: 3
; VGPRBlocks: 3
; NumSGPRsForWavesPerEU: 31
; NumVGPRsForWavesPerEU: 25
; AccumOffset: 28
; Occupancy: 8
; WaveLimiterHint : 1
; COMPUTE_PGM_RSRC2:SCRATCH_EN: 0
; COMPUTE_PGM_RSRC2:USER_SGPR: 2
; COMPUTE_PGM_RSRC2:TRAP_HANDLER: 0
; COMPUTE_PGM_RSRC2:TGID_X_EN: 1
; COMPUTE_PGM_RSRC2:TGID_Y_EN: 0
; COMPUTE_PGM_RSRC2:TGID_Z_EN: 0
; COMPUTE_PGM_RSRC2:TIDIG_COMP_CNT: 0
; COMPUTE_PGM_RSRC3_GFX90A:ACCUM_OFFSET: 6
; COMPUTE_PGM_RSRC3_GFX90A:TG_SPLIT: 0
	.section	.text._ZN9rocsparseL18bsrxmvn_3x3_kernelILj256ELj64EiliaaiEEvT3_20rocsparse_direction_NS_24const_host_device_scalarIT1_EES1_PKS1_PKT2_SA_S7_PKT4_PKT5_S5_PT6_21rocsparse_index_base_b,"axG",@progbits,_ZN9rocsparseL18bsrxmvn_3x3_kernelILj256ELj64EiliaaiEEvT3_20rocsparse_direction_NS_24const_host_device_scalarIT1_EES1_PKS1_PKT2_SA_S7_PKT4_PKT5_S5_PT6_21rocsparse_index_base_b,comdat
	.globl	_ZN9rocsparseL18bsrxmvn_3x3_kernelILj256ELj64EiliaaiEEvT3_20rocsparse_direction_NS_24const_host_device_scalarIT1_EES1_PKS1_PKT2_SA_S7_PKT4_PKT5_S5_PT6_21rocsparse_index_base_b ; -- Begin function _ZN9rocsparseL18bsrxmvn_3x3_kernelILj256ELj64EiliaaiEEvT3_20rocsparse_direction_NS_24const_host_device_scalarIT1_EES1_PKS1_PKT2_SA_S7_PKT4_PKT5_S5_PT6_21rocsparse_index_base_b
	.p2align	8
	.type	_ZN9rocsparseL18bsrxmvn_3x3_kernelILj256ELj64EiliaaiEEvT3_20rocsparse_direction_NS_24const_host_device_scalarIT1_EES1_PKS1_PKT2_SA_S7_PKT4_PKT5_S5_PT6_21rocsparse_index_base_b,@function
_ZN9rocsparseL18bsrxmvn_3x3_kernelILj256ELj64EiliaaiEEvT3_20rocsparse_direction_NS_24const_host_device_scalarIT1_EES1_PKS1_PKT2_SA_S7_PKT4_PKT5_S5_PT6_21rocsparse_index_base_b: ; @_ZN9rocsparseL18bsrxmvn_3x3_kernelILj256ELj64EiliaaiEEvT3_20rocsparse_direction_NS_24const_host_device_scalarIT1_EES1_PKS1_PKT2_SA_S7_PKT4_PKT5_S5_PT6_21rocsparse_index_base_b
; %bb.0:
	s_load_dwordx2 s[12:13], s[0:1], 0x58
	s_load_dwordx2 s[8:9], s[0:1], 0x8
	s_mov_b64 s[10:11], -1
	s_waitcnt lgkmcnt(0)
	s_bitcmp1_b32 s13, 0
	s_cselect_b64 s[4:5], -1, 0
	s_xor_b64 s[6:7], s[4:5], -1
	s_and_b64 vcc, exec, s[6:7]
                                        ; implicit-def: $sgpr13
	s_cbranch_vccnz .LBB69_4
; %bb.1:
	s_load_dwordx2 s[4:5], s[0:1], 0x48
	s_andn2_b64 vcc, exec, s[10:11]
	s_cbranch_vccz .LBB69_5
.LBB69_2:
	s_and_b64 vcc, exec, s[6:7]
	s_cbranch_vccz .LBB69_6
.LBB69_3:
	s_waitcnt lgkmcnt(0)
	s_load_dword s18, s[4:5], 0x0
	s_cbranch_execz .LBB69_7
	s_branch .LBB69_8
.LBB69_4:
	s_load_dword s13, s[8:9], 0x0
	s_load_dwordx2 s[4:5], s[0:1], 0x48
	s_cbranch_execnz .LBB69_2
.LBB69_5:
	s_waitcnt lgkmcnt(0)
	s_mov_b32 s13, s8
	s_and_b64 vcc, exec, s[6:7]
	s_cbranch_vccnz .LBB69_3
.LBB69_6:
                                        ; implicit-def: $sgpr18
.LBB69_7:
	s_waitcnt lgkmcnt(0)
	s_mov_b32 s18, s4
.LBB69_8:
	s_waitcnt lgkmcnt(0)
	s_cmp_lg_u32 s13, 0
	s_cselect_b64 s[4:5], -1, 0
	s_cmp_lg_u32 s18, 1
	s_cselect_b64 s[6:7], -1, 0
	s_or_b64 s[4:5], s[4:5], s[6:7]
	s_andn2_b64 vcc, exec, s[4:5]
	s_cbranch_vccnz .LBB69_14
; %bb.9:
	s_load_dwordx2 s[4:5], s[0:1], 0x18
	s_load_dwordx2 s[14:15], s[0:1], 0x0
	v_lshrrev_b32_e32 v1, 6, v0
	v_lshl_or_b32 v2, s2, 2, v1
	s_mov_b64 s[2:3], 0
	s_waitcnt lgkmcnt(0)
	s_cmp_lg_u64 s[4:5], 0
	s_cbranch_scc0 .LBB69_15
; %bb.10:
	s_load_dword s6, s[0:1], 0x10
                                        ; implicit-def: $vgpr1
	s_waitcnt lgkmcnt(0)
	v_cmp_gt_i32_e32 vcc, s6, v2
	s_and_saveexec_b64 s[6:7], vcc
	s_xor_b64 s[6:7], exec, s[6:7]
	s_cbranch_execz .LBB69_12
; %bb.11:
	v_ashrrev_i32_e32 v3, 31, v2
	v_lshl_add_u64 v[4:5], v[2:3], 2, s[4:5]
	global_load_dword v1, v[4:5], off
	s_mov_b64 s[2:3], exec
	s_waitcnt vmcnt(0)
	v_subrev_u32_e32 v1, s12, v1
.LBB69_12:
	s_or_b64 exec, exec, s[6:7]
	s_branch .LBB69_16
.LBB69_13:
	v_cmp_gt_i32_e32 vcc, s14, v2
	s_andn2_b64 s[2:3], s[2:3], exec
	s_and_b64 s[4:5], vcc, exec
	s_or_b64 s[2:3], s[2:3], s[4:5]
	s_and_saveexec_b64 s[4:5], s[2:3]
	s_cbranch_execnz .LBB69_17
.LBB69_14:
	s_endpgm
.LBB69_15:
                                        ; implicit-def: $vgpr1
	s_cbranch_execnz .LBB69_13
.LBB69_16:
	v_mov_b32_e32 v2, v1
	s_and_saveexec_b64 s[4:5], s[2:3]
	s_cbranch_execz .LBB69_14
.LBB69_17:
	s_load_dwordx8 s[4:11], s[0:1], 0x20
	v_ashrrev_i32_e32 v3, 31, v2
	v_lshlrev_b64 v[4:5], 3, v[2:3]
	v_and_b32_e32 v0, 63, v0
	v_mov_b32_e32 v1, 0
	s_waitcnt lgkmcnt(0)
	v_lshl_add_u64 v[6:7], s[4:5], 0, v[4:5]
	global_load_dwordx2 v[8:9], v[6:7], off
	s_cmp_eq_u64 s[6:7], 0
	v_lshl_add_u64 v[4:5], s[6:7], 0, v[4:5]
	v_lshl_add_u64 v[6:7], v[6:7], 0, 8
	s_cselect_b64 vcc, -1, 0
	v_cndmask_b32_e32 v5, v5, v7, vcc
	v_cndmask_b32_e32 v4, v4, v6, vcc
	global_load_dwordx2 v[6:7], v[4:5], off
	s_load_dwordx2 s[4:5], s[0:1], 0x40
	s_cmp_eq_u32 s15, 1
	s_waitcnt vmcnt(1)
	v_subrev_co_u32_e32 v4, vcc, s12, v8
	s_nop 1
	v_subbrev_co_u32_e32 v5, vcc, 0, v9, vcc
	v_lshl_add_u64 v[4:5], v[4:5], 0, v[0:1]
	v_mad_u64_u32 v[8:9], s[2:3], v4, 9, s[10:11]
	s_waitcnt vmcnt(0)
	v_subrev_co_u32_e32 v6, vcc, s12, v6
	v_mov_b32_e32 v10, v9
	s_nop 0
	v_subbrev_co_u32_e32 v7, vcc, 0, v7, vcc
	v_mad_u64_u32 v[10:11], s[2:3], v5, 9, v[10:11]
	v_mov_b32_e32 v9, v10
	v_cmp_lt_i64_e64 s[2:3], v[4:5], v[6:7]
	s_cbranch_scc1 .LBB69_23
; %bb.18:
	v_mov_b32_e32 v16, 0
	v_mov_b32_e32 v3, 0
	s_and_saveexec_b64 s[6:7], s[2:3]
	s_cbranch_execz .LBB69_22
; %bb.19:
	v_mov_b32_e32 v3, 0
	v_lshl_add_u64 v[10:11], v[4:5], 2, s[8:9]
	s_mov_b64 s[10:11], 0
	s_mov_b32 s19, 0xc0c0401
	s_mov_b32 s20, 0xc0c0201
	;; [unrolled: 1-line block ×6, first 2 shown]
	s_mov_b64 s[14:15], 0x240
	s_mov_b64 s[16:17], 0x100
	v_mov_b64_e32 v[12:13], v[8:9]
	v_mov_b64_e32 v[14:15], v[4:5]
	v_mov_b32_e32 v1, v3
	v_mov_b32_e32 v16, 0
.LBB69_20:                              ; =>This Inner Loop Header: Depth=1
	global_load_dword v17, v[10:11], off
	global_load_dwordx2 v[18:19], v[12:13], off
	global_load_sbyte v22, v[12:13], off offset:8
	v_lshl_add_u64 v[14:15], v[14:15], 0, 64
	v_cmp_ge_i64_e32 vcc, v[14:15], v[6:7]
	v_lshl_add_u64 v[12:13], v[12:13], 0, s[14:15]
	v_lshl_add_u64 v[10:11], v[10:11], 0, s[16:17]
	s_or_b64 s[10:11], vcc, s[10:11]
	s_waitcnt vmcnt(2)
	v_subrev_u32_e32 v17, s12, v17
	v_lshl_add_u32 v20, v17, 1, v17
	v_ashrrev_i32_e32 v21, 31, v20
	s_waitcnt lgkmcnt(0)
	v_lshl_add_u64 v[20:21], s[4:5], 0, v[20:21]
	global_load_ushort v17, v[20:21], off
	global_load_sbyte v23, v[20:21], off offset:2
	s_waitcnt vmcnt(3)
	v_bfe_i32 v20, v18, 0, 8
	v_perm_b32 v21, v18, v18, s20
	v_perm_b32 v24, v19, v18, s21
	s_waitcnt vmcnt(2)
	v_perm_b32 v18, v22, v18, s23
	v_perm_b32 v19, v19, v19, s24
	v_or_b32_e32 v18, v18, v19
	s_waitcnt vmcnt(1)
	v_bfe_i32 v19, v17, 0, 8
	s_waitcnt vmcnt(0)
	v_perm_b32 v22, v23, v17, s19
	v_perm_b32 v17, v23, v17, s22
	v_mad_i32_i24 v16, v19, v20, v16
	v_dot4c_i32_i8_e32 v1, v24, v17
	v_dot4c_i32_i8_e32 v3, v18, v17
	v_dot4c_i32_i8_e32 v16, v21, v22
	s_andn2_b64 exec, exec, s[10:11]
	s_cbranch_execnz .LBB69_20
; %bb.21:
	s_or_b64 exec, exec, s[10:11]
.LBB69_22:
	s_or_b64 exec, exec, s[6:7]
	s_cbranch_execz .LBB69_24
	s_branch .LBB69_29
.LBB69_23:
                                        ; implicit-def: $vgpr16
                                        ; implicit-def: $vgpr3
.LBB69_24:
	v_mov_b32_e32 v1, 0
	v_mov_b32_e32 v16, 0
	;; [unrolled: 1-line block ×3, first 2 shown]
	s_and_saveexec_b64 s[6:7], s[2:3]
	s_cbranch_execz .LBB69_28
; %bb.25:
	v_mov_b32_e32 v3, 0
	v_lshl_add_u64 v[10:11], v[4:5], 2, s[8:9]
	s_mov_b64 s[2:3], 0
	s_mov_b32 s14, 0xc0c0403
	s_mov_b32 s15, 0xc0c0601
	;; [unrolled: 1-line block ×5, first 2 shown]
	s_mov_b64 s[8:9], 0x240
	s_mov_b64 s[10:11], 0x100
	v_mov_b32_e32 v1, v3
	v_mov_b32_e32 v16, 0
.LBB69_26:                              ; =>This Inner Loop Header: Depth=1
	global_load_dword v14, v[10:11], off
	global_load_sbyte v17, v[8:9], off offset:8
	global_load_dwordx2 v[12:13], v[8:9], off
	v_lshl_add_u64 v[4:5], v[4:5], 0, 64
	v_cmp_ge_i64_e32 vcc, v[4:5], v[6:7]
	v_lshl_add_u64 v[8:9], v[8:9], 0, s[8:9]
	v_lshl_add_u64 v[10:11], v[10:11], 0, s[10:11]
	s_or_b64 s[2:3], vcc, s[2:3]
	s_waitcnt vmcnt(2)
	v_subrev_u32_e32 v14, s12, v14
	v_lshl_add_u32 v14, v14, 1, v14
	v_ashrrev_i32_e32 v15, 31, v14
	s_waitcnt lgkmcnt(0)
	v_lshl_add_u64 v[14:15], s[4:5], 0, v[14:15]
	global_load_ushort v18, v[14:15], off
	global_load_sbyte v19, v[14:15], off offset:2
	s_waitcnt vmcnt(2)
	v_bfe_i32 v14, v12, 0, 8
	v_perm_b32 v15, v13, v12, s16
	v_perm_b32 v17, v17, v12, s19
	s_waitcnt vmcnt(1)
	v_bfe_i32 v20, v18, 0, 8
	s_waitcnt vmcnt(0)
	v_perm_b32 v12, v19, v12, s14
	v_perm_b32 v13, v13, v18, s15
	;; [unrolled: 1-line block ×3, first 2 shown]
	v_mad_i32_i24 v16, v20, v14, v16
	v_dot4c_i32_i8_e32 v1, v15, v18
	v_dot4c_i32_i8_e32 v3, v17, v18
	;; [unrolled: 1-line block ×3, first 2 shown]
	s_andn2_b64 exec, exec, s[2:3]
	s_cbranch_execnz .LBB69_26
; %bb.27:
	s_or_b64 exec, exec, s[2:3]
.LBB69_28:
	s_or_b64 exec, exec, s[6:7]
.LBB69_29:
	v_mov_b32_dpp v4, v16 row_shr:1 row_mask:0xf bank_mask:0xf
	v_mov_b32_dpp v5, v1 row_shr:1 row_mask:0xf bank_mask:0xf
	v_mov_b32_dpp v7, v3 row_shr:1 row_mask:0xf bank_mask:0xf
	v_add_u32_e32 v1, v5, v1
	v_add_u32_e32 v4, v4, v16
	v_add_u32_e32 v3, v7, v3
	v_mov_b32_dpp v6, v1 row_shr:2 row_mask:0xf bank_mask:0xf
	v_mov_b32_dpp v5, v4 row_shr:2 row_mask:0xf bank_mask:0xf
	v_mov_b32_dpp v7, v3 row_shr:2 row_mask:0xf bank_mask:0xf
	v_add_u32_e32 v1, v1, v6
	v_add_u32_e32 v4, v4, v5
	v_add_u32_e32 v3, v3, v7
	;; [unrolled: 6-line block ×4, first 2 shown]
	v_mov_b32_dpp v6, v1 row_bcast:15 row_mask:0xa bank_mask:0xf
	v_mov_b32_dpp v5, v4 row_bcast:15 row_mask:0xa bank_mask:0xf
	;; [unrolled: 1-line block ×3, first 2 shown]
	v_add_u32_e32 v1, v1, v6
	v_add_u32_e32 v4, v4, v5
	;; [unrolled: 1-line block ×3, first 2 shown]
	v_mov_b32_dpp v6, v1 row_bcast:31 row_mask:0xc bank_mask:0xf
	v_mov_b32_dpp v5, v4 row_bcast:31 row_mask:0xc bank_mask:0xf
	;; [unrolled: 1-line block ×3, first 2 shown]
	v_cmp_eq_u32_e32 vcc, 63, v0
	s_and_b64 exec, exec, vcc
	s_cbranch_execz .LBB69_14
; %bb.30:
	s_load_dwordx2 s[0:1], s[0:1], 0x50
	v_add_u32_e32 v1, v1, v6
	v_add_u32_e32 v0, v4, v5
	;; [unrolled: 1-line block ×3, first 2 shown]
	v_lshl_add_u32 v4, v2, 1, v2
	s_cmp_eq_u32 s18, 0
	v_mul_lo_u32 v2, v3, s13
	v_ashrrev_i32_e32 v5, 31, v4
	v_mul_lo_u32 v0, v0, s13
	v_mul_lo_u32 v6, v1, s13
	s_cbranch_scc1 .LBB69_32
; %bb.31:
	s_waitcnt lgkmcnt(0)
	v_lshl_add_u64 v[12:13], v[4:5], 2, s[0:1]
	global_load_dwordx3 v[8:10], v[12:13], off
	s_waitcnt vmcnt(0)
	v_mad_u64_u32 v[14:15], s[2:3], v9, s18, v[6:7]
	v_mad_u64_u32 v[8:9], s[2:3], v8, s18, v[0:1]
	;; [unrolled: 1-line block ×3, first 2 shown]
	v_mov_b32_e32 v9, v14
	global_store_dwordx3 v[12:13], v[8:10], off
	s_cbranch_execnz .LBB69_14
	s_branch .LBB69_33
.LBB69_32:
.LBB69_33:
	s_waitcnt lgkmcnt(0)
	v_lshl_add_u64 v[4:5], v[4:5], 2, s[0:1]
	v_mov_b32_e32 v1, v6
	global_store_dwordx3 v[4:5], v[0:2], off
	s_endpgm
	.section	.rodata,"a",@progbits
	.p2align	6, 0x0
	.amdhsa_kernel _ZN9rocsparseL18bsrxmvn_3x3_kernelILj256ELj64EiliaaiEEvT3_20rocsparse_direction_NS_24const_host_device_scalarIT1_EES1_PKS1_PKT2_SA_S7_PKT4_PKT5_S5_PT6_21rocsparse_index_base_b
		.amdhsa_group_segment_fixed_size 0
		.amdhsa_private_segment_fixed_size 0
		.amdhsa_kernarg_size 96
		.amdhsa_user_sgpr_count 2
		.amdhsa_user_sgpr_dispatch_ptr 0
		.amdhsa_user_sgpr_queue_ptr 0
		.amdhsa_user_sgpr_kernarg_segment_ptr 1
		.amdhsa_user_sgpr_dispatch_id 0
		.amdhsa_user_sgpr_kernarg_preload_length 0
		.amdhsa_user_sgpr_kernarg_preload_offset 0
		.amdhsa_user_sgpr_private_segment_size 0
		.amdhsa_uses_dynamic_stack 0
		.amdhsa_enable_private_segment 0
		.amdhsa_system_sgpr_workgroup_id_x 1
		.amdhsa_system_sgpr_workgroup_id_y 0
		.amdhsa_system_sgpr_workgroup_id_z 0
		.amdhsa_system_sgpr_workgroup_info 0
		.amdhsa_system_vgpr_workitem_id 0
		.amdhsa_next_free_vgpr 25
		.amdhsa_next_free_sgpr 25
		.amdhsa_accum_offset 28
		.amdhsa_reserve_vcc 1
		.amdhsa_float_round_mode_32 0
		.amdhsa_float_round_mode_16_64 0
		.amdhsa_float_denorm_mode_32 3
		.amdhsa_float_denorm_mode_16_64 3
		.amdhsa_dx10_clamp 1
		.amdhsa_ieee_mode 1
		.amdhsa_fp16_overflow 0
		.amdhsa_tg_split 0
		.amdhsa_exception_fp_ieee_invalid_op 0
		.amdhsa_exception_fp_denorm_src 0
		.amdhsa_exception_fp_ieee_div_zero 0
		.amdhsa_exception_fp_ieee_overflow 0
		.amdhsa_exception_fp_ieee_underflow 0
		.amdhsa_exception_fp_ieee_inexact 0
		.amdhsa_exception_int_div_zero 0
	.end_amdhsa_kernel
	.section	.text._ZN9rocsparseL18bsrxmvn_3x3_kernelILj256ELj64EiliaaiEEvT3_20rocsparse_direction_NS_24const_host_device_scalarIT1_EES1_PKS1_PKT2_SA_S7_PKT4_PKT5_S5_PT6_21rocsparse_index_base_b,"axG",@progbits,_ZN9rocsparseL18bsrxmvn_3x3_kernelILj256ELj64EiliaaiEEvT3_20rocsparse_direction_NS_24const_host_device_scalarIT1_EES1_PKS1_PKT2_SA_S7_PKT4_PKT5_S5_PT6_21rocsparse_index_base_b,comdat
.Lfunc_end69:
	.size	_ZN9rocsparseL18bsrxmvn_3x3_kernelILj256ELj64EiliaaiEEvT3_20rocsparse_direction_NS_24const_host_device_scalarIT1_EES1_PKS1_PKT2_SA_S7_PKT4_PKT5_S5_PT6_21rocsparse_index_base_b, .Lfunc_end69-_ZN9rocsparseL18bsrxmvn_3x3_kernelILj256ELj64EiliaaiEEvT3_20rocsparse_direction_NS_24const_host_device_scalarIT1_EES1_PKS1_PKT2_SA_S7_PKT4_PKT5_S5_PT6_21rocsparse_index_base_b
                                        ; -- End function
	.section	.AMDGPU.csdata,"",@progbits
; Kernel info:
; codeLenInByte = 1524
; NumSgprs: 31
; NumVgprs: 25
; NumAgprs: 0
; TotalNumVgprs: 25
; ScratchSize: 0
; MemoryBound: 0
; FloatMode: 240
; IeeeMode: 1
; LDSByteSize: 0 bytes/workgroup (compile time only)
; SGPRBlocks: 3
; VGPRBlocks: 3
; NumSGPRsForWavesPerEU: 31
; NumVGPRsForWavesPerEU: 25
; AccumOffset: 28
; Occupancy: 8
; WaveLimiterHint : 1
; COMPUTE_PGM_RSRC2:SCRATCH_EN: 0
; COMPUTE_PGM_RSRC2:USER_SGPR: 2
; COMPUTE_PGM_RSRC2:TRAP_HANDLER: 0
; COMPUTE_PGM_RSRC2:TGID_X_EN: 1
; COMPUTE_PGM_RSRC2:TGID_Y_EN: 0
; COMPUTE_PGM_RSRC2:TGID_Z_EN: 0
; COMPUTE_PGM_RSRC2:TIDIG_COMP_CNT: 0
; COMPUTE_PGM_RSRC3_GFX90A:ACCUM_OFFSET: 6
; COMPUTE_PGM_RSRC3_GFX90A:TG_SPLIT: 0
	.section	.text._ZN9rocsparseL18bsrxmvn_3x3_kernelILj256ELj4EillaaiEEvT3_20rocsparse_direction_NS_24const_host_device_scalarIT1_EES1_PKS1_PKT2_SA_S7_PKT4_PKT5_S5_PT6_21rocsparse_index_base_b,"axG",@progbits,_ZN9rocsparseL18bsrxmvn_3x3_kernelILj256ELj4EillaaiEEvT3_20rocsparse_direction_NS_24const_host_device_scalarIT1_EES1_PKS1_PKT2_SA_S7_PKT4_PKT5_S5_PT6_21rocsparse_index_base_b,comdat
	.globl	_ZN9rocsparseL18bsrxmvn_3x3_kernelILj256ELj4EillaaiEEvT3_20rocsparse_direction_NS_24const_host_device_scalarIT1_EES1_PKS1_PKT2_SA_S7_PKT4_PKT5_S5_PT6_21rocsparse_index_base_b ; -- Begin function _ZN9rocsparseL18bsrxmvn_3x3_kernelILj256ELj4EillaaiEEvT3_20rocsparse_direction_NS_24const_host_device_scalarIT1_EES1_PKS1_PKT2_SA_S7_PKT4_PKT5_S5_PT6_21rocsparse_index_base_b
	.p2align	8
	.type	_ZN9rocsparseL18bsrxmvn_3x3_kernelILj256ELj4EillaaiEEvT3_20rocsparse_direction_NS_24const_host_device_scalarIT1_EES1_PKS1_PKT2_SA_S7_PKT4_PKT5_S5_PT6_21rocsparse_index_base_b,@function
_ZN9rocsparseL18bsrxmvn_3x3_kernelILj256ELj4EillaaiEEvT3_20rocsparse_direction_NS_24const_host_device_scalarIT1_EES1_PKS1_PKT2_SA_S7_PKT4_PKT5_S5_PT6_21rocsparse_index_base_b: ; @_ZN9rocsparseL18bsrxmvn_3x3_kernelILj256ELj4EillaaiEEvT3_20rocsparse_direction_NS_24const_host_device_scalarIT1_EES1_PKS1_PKT2_SA_S7_PKT4_PKT5_S5_PT6_21rocsparse_index_base_b
; %bb.0:
	s_load_dwordx2 s[12:13], s[0:1], 0x60
	s_load_dwordx4 s[4:7], s[0:1], 0x10
	s_mov_b64 s[14:15], -1
	s_waitcnt lgkmcnt(0)
	s_bitcmp1_b32 s13, 0
	s_cselect_b64 s[8:9], -1, 0
	s_xor_b64 s[10:11], s[8:9], -1
	s_and_b64 vcc, exec, s[10:11]
                                        ; implicit-def: $sgpr13
	s_cbranch_vccnz .LBB70_4
; %bb.1:
	s_load_dwordx2 s[8:9], s[0:1], 0x50
	s_andn2_b64 vcc, exec, s[14:15]
	s_cbranch_vccz .LBB70_5
.LBB70_2:
	s_and_b64 vcc, exec, s[10:11]
	s_cbranch_vccz .LBB70_6
.LBB70_3:
	s_waitcnt lgkmcnt(0)
	s_load_dword s16, s[8:9], 0x0
	s_cbranch_execz .LBB70_7
	s_branch .LBB70_8
.LBB70_4:
	s_load_dword s13, s[4:5], 0x0
	s_load_dwordx2 s[8:9], s[0:1], 0x50
	s_cbranch_execnz .LBB70_2
.LBB70_5:
	s_waitcnt lgkmcnt(0)
	s_mov_b32 s13, s4
	s_and_b64 vcc, exec, s[10:11]
	s_cbranch_vccnz .LBB70_3
.LBB70_6:
                                        ; implicit-def: $sgpr16
.LBB70_7:
	s_waitcnt lgkmcnt(0)
	s_mov_b32 s16, s8
.LBB70_8:
	s_waitcnt lgkmcnt(0)
	s_cmp_lg_u32 s13, 0
	s_cselect_b64 s[4:5], -1, 0
	s_cmp_lg_u32 s16, 1
	s_cselect_b64 s[8:9], -1, 0
	s_or_b64 s[4:5], s[4:5], s[8:9]
	s_andn2_b64 vcc, exec, s[4:5]
	s_cbranch_vccnz .LBB70_14
; %bb.9:
	s_load_dwordx2 s[4:5], s[0:1], 0x20
	v_lshrrev_b32_e32 v1, 2, v0
	v_lshl_or_b32 v4, s2, 6, v1
	v_mov_b32_e32 v5, 0
	s_mov_b64 s[2:3], 0
	s_waitcnt lgkmcnt(0)
	s_cmp_lg_u64 s[4:5], 0
	s_cbranch_scc0 .LBB70_15
; %bb.10:
	v_cmp_gt_i64_e32 vcc, s[6:7], v[4:5]
                                        ; implicit-def: $vgpr2_vgpr3
	s_and_saveexec_b64 s[6:7], vcc
	s_xor_b64 s[6:7], exec, s[6:7]
                                        ; implicit-def: $sgpr14_sgpr15
	s_cbranch_execz .LBB70_12
; %bb.11:
	v_lshl_add_u64 v[2:3], v[4:5], 3, s[4:5]
	global_load_dwordx2 v[2:3], v[2:3], off
	s_mov_b64 s[2:3], exec
	s_mov_b32 s15, 0
	s_waitcnt vmcnt(0)
	v_subrev_co_u32_e32 v2, vcc, s12, v2
	s_nop 1
	v_subbrev_co_u32_e32 v3, vcc, 0, v3, vcc
.LBB70_12:
	s_or_b64 exec, exec, s[6:7]
.LBB70_13:
	s_and_saveexec_b64 s[4:5], s[2:3]
	s_cbranch_execnz .LBB70_19
.LBB70_14:
	s_endpgm
.LBB70_15:
                                        ; implicit-def: $vgpr2_vgpr3
                                        ; implicit-def: $sgpr14_sgpr15
	s_cbranch_execz .LBB70_13
; %bb.16:
	s_load_dwordx2 s[4:5], s[0:1], 0x0
                                        ; implicit-def: $vgpr2_vgpr3
	s_waitcnt lgkmcnt(0)
	v_cmp_gt_i64_e32 vcc, s[4:5], v[4:5]
	s_and_saveexec_b64 s[4:5], vcc
                                        ; implicit-def: $sgpr14_sgpr15
; %bb.17:
	s_mov_b32 s15, 0
	s_or_b64 s[2:3], s[2:3], exec
	v_mov_b64_e32 v[2:3], v[4:5]
; %bb.18:
	s_or_b64 exec, exec, s[4:5]
	s_and_saveexec_b64 s[4:5], s[2:3]
	s_cbranch_execz .LBB70_14
.LBB70_19:
	s_load_dwordx8 s[4:11], s[0:1], 0x28
	v_lshlrev_b64 v[4:5], 3, v[2:3]
	v_mov_b32_e32 v10, s15
	v_and_b32_e32 v0, 3, v0
	v_mov_b32_e32 v1, 0
	s_waitcnt lgkmcnt(0)
	v_lshl_add_u64 v[6:7], s[4:5], 0, v[4:5]
	s_cmp_eq_u64 s[6:7], 0
	global_load_dwordx2 v[8:9], v[6:7], off
	v_lshl_add_u64 v[4:5], s[6:7], 0, v[4:5]
	v_lshl_add_u64 v[6:7], v[6:7], 0, 8
	s_cselect_b64 vcc, -1, 0
	v_cndmask_b32_e32 v5, v5, v7, vcc
	v_cndmask_b32_e32 v4, v4, v6, vcc
	global_load_dwordx2 v[6:7], v[4:5], off
	s_load_dword s2, s[0:1], 0x8
	s_load_dwordx2 s[4:5], s[0:1], 0x48
	s_waitcnt lgkmcnt(0)
	s_cmp_eq_u32 s2, 1
	s_waitcnt vmcnt(1)
	v_subrev_co_u32_e32 v4, vcc, s12, v8
	s_nop 1
	v_subb_co_u32_e32 v5, vcc, v9, v10, vcc
	v_lshl_add_u64 v[4:5], v[4:5], 0, v[0:1]
	v_mad_u64_u32 v[8:9], s[2:3], v4, 9, s[10:11]
	s_waitcnt vmcnt(0)
	v_subrev_co_u32_e32 v6, vcc, s12, v6
	s_nop 1
	v_subb_co_u32_e32 v7, vcc, v7, v10, vcc
	v_mov_b32_e32 v10, v9
	v_mad_u64_u32 v[10:11], s[2:3], v5, 9, v[10:11]
	v_mov_b32_e32 v9, v10
	v_cmp_lt_i64_e64 s[2:3], v[4:5], v[6:7]
	s_cbranch_scc1 .LBB70_25
; %bb.20:
	v_mov_b32_e32 v16, v1
	v_mov_b32_e32 v17, v1
	s_and_saveexec_b64 s[6:7], s[2:3]
	s_cbranch_execz .LBB70_24
; %bb.21:
	v_mov_b32_e32 v1, 0
	v_lshl_add_u64 v[10:11], v[4:5], 3, s[8:9]
	s_mov_b64 s[10:11], 0
	v_mov_b32_e32 v18, s15
	s_mov_b32 s14, 0xc0c0401
	s_mov_b32 s17, 0xc0c0201
	;; [unrolled: 1-line block ×6, first 2 shown]
	v_mov_b64_e32 v[12:13], v[8:9]
	v_mov_b64_e32 v[14:15], v[4:5]
	v_mov_b32_e32 v16, v1
	v_mov_b32_e32 v17, v1
.LBB70_22:                              ; =>This Inner Loop Header: Depth=1
	global_load_dwordx2 v[20:21], v[10:11], off
	global_load_sbyte v19, v[12:13], off offset:8
	global_load_dwordx2 v[22:23], v[12:13], off
	v_lshl_add_u64 v[14:15], v[14:15], 0, 4
	v_lshl_add_u64 v[12:13], v[12:13], 0, 36
	;; [unrolled: 1-line block ×3, first 2 shown]
	s_waitcnt vmcnt(2)
	v_subrev_co_u32_e32 v20, vcc, s12, v20
	s_nop 1
	v_subb_co_u32_e32 v25, vcc, v21, v18, vcc
	v_mad_u64_u32 v[20:21], s[22:23], v20, 3, s[4:5]
	v_mov_b32_e32 v24, v21
	v_mad_u64_u32 v[24:25], s[22:23], v25, 3, v[24:25]
	v_mov_b32_e32 v21, v24
	global_load_ushort v24, v[20:21], off
	global_load_sbyte v25, v[20:21], off offset:2
	s_waitcnt vmcnt(2)
	v_bfe_i32 v20, v22, 0, 8
	v_perm_b32 v21, v22, v22, s17
	v_perm_b32 v26, v23, v22, s18
	;; [unrolled: 1-line block ×4, first 2 shown]
	v_or_b32_e32 v19, v19, v22
	v_cmp_ge_i64_e32 vcc, v[14:15], v[6:7]
	s_or_b64 s[10:11], vcc, s[10:11]
	s_waitcnt vmcnt(1)
	v_bfe_i32 v22, v24, 0, 8
	s_waitcnt vmcnt(0)
	v_perm_b32 v23, v25, v24, s14
	v_perm_b32 v24, v25, v24, s19
	v_mad_i32_i24 v17, v22, v20, v17
	v_dot4c_i32_i8_e32 v16, v26, v24
	v_dot4c_i32_i8_e32 v1, v19, v24
	;; [unrolled: 1-line block ×3, first 2 shown]
	s_andn2_b64 exec, exec, s[10:11]
	s_cbranch_execnz .LBB70_22
; %bb.23:
	s_or_b64 exec, exec, s[10:11]
.LBB70_24:
	s_or_b64 exec, exec, s[6:7]
	s_cbranch_execz .LBB70_26
	s_branch .LBB70_31
.LBB70_25:
                                        ; implicit-def: $vgpr16
                                        ; implicit-def: $vgpr17
.LBB70_26:
	v_mov_b32_e32 v1, 0
	v_mov_b32_e32 v16, 0
	;; [unrolled: 1-line block ×3, first 2 shown]
	s_and_saveexec_b64 s[6:7], s[2:3]
	s_cbranch_execz .LBB70_30
; %bb.27:
	v_mov_b32_e32 v1, 0
	v_lshl_add_u64 v[10:11], v[4:5], 3, s[8:9]
	s_mov_b64 s[2:3], 0
	v_mov_b32_e32 v12, s15
	s_mov_b32 s8, 0xc0c0401
	s_mov_b32 s9, 0xc0c0603
	;; [unrolled: 1-line block ×5, first 2 shown]
	v_mov_b32_e32 v16, v1
	v_mov_b32_e32 v17, v1
.LBB70_28:                              ; =>This Inner Loop Header: Depth=1
	global_load_dwordx2 v[14:15], v[10:11], off
	global_load_sbyte v13, v[8:9], off offset:8
	global_load_dwordx2 v[18:19], v[8:9], off
	v_lshl_add_u64 v[4:5], v[4:5], 0, 4
	v_lshl_add_u64 v[8:9], v[8:9], 0, 36
	;; [unrolled: 1-line block ×3, first 2 shown]
	s_waitcnt vmcnt(2)
	v_subrev_co_u32_e32 v14, vcc, s12, v14
	s_nop 1
	v_subb_co_u32_e32 v21, vcc, v15, v12, vcc
	v_mad_u64_u32 v[14:15], s[18:19], v14, 3, s[4:5]
	v_mov_b32_e32 v20, v15
	v_mad_u64_u32 v[20:21], s[18:19], v21, 3, v[20:21]
	v_mov_b32_e32 v15, v20
	global_load_ushort v20, v[14:15], off
	global_load_sbyte v21, v[14:15], off offset:2
	s_waitcnt vmcnt(2)
	v_bfe_i32 v14, v18, 0, 8
	v_perm_b32 v15, v19, v18, s9
	v_perm_b32 v19, v19, v18, s10
	;; [unrolled: 1-line block ×3, first 2 shown]
	v_cmp_ge_i64_e32 vcc, v[4:5], v[6:7]
	s_or_b64 s[2:3], vcc, s[2:3]
	s_waitcnt vmcnt(1)
	v_bfe_i32 v18, v20, 0, 8
	s_waitcnt vmcnt(0)
	v_perm_b32 v22, v21, v20, s8
	v_perm_b32 v20, v21, v20, s11
	v_mad_i32_i24 v17, v18, v14, v17
	v_dot4c_i32_i8_e32 v16, v19, v20
	v_dot4c_i32_i8_e32 v1, v13, v20
	;; [unrolled: 1-line block ×3, first 2 shown]
	s_andn2_b64 exec, exec, s[2:3]
	s_cbranch_execnz .LBB70_28
; %bb.29:
	s_or_b64 exec, exec, s[2:3]
.LBB70_30:
	s_or_b64 exec, exec, s[6:7]
.LBB70_31:
	v_mov_b32_dpp v4, v17 row_shr:1 row_mask:0xf bank_mask:0xf
	v_mov_b32_dpp v6, v16 row_shr:1 row_mask:0xf bank_mask:0xf
	;; [unrolled: 1-line block ×3, first 2 shown]
	v_add_u32_e32 v4, v4, v17
	v_add_u32_e32 v6, v6, v16
	;; [unrolled: 1-line block ×3, first 2 shown]
	v_mov_b32_dpp v5, v4 row_shr:2 row_mask:0xf bank_mask:0xf
	v_mov_b32_dpp v7, v6 row_shr:2 row_mask:0xf bank_mask:0xf
	;; [unrolled: 1-line block ×3, first 2 shown]
	v_cmp_eq_u32_e32 vcc, 3, v0
	s_and_b64 exec, exec, vcc
	s_cbranch_execz .LBB70_14
; %bb.32:
	s_load_dwordx2 s[0:1], s[0:1], 0x58
	v_add_u32_e32 v0, v4, v5
	v_add_u32_e32 v4, v6, v7
	;; [unrolled: 1-line block ×3, first 2 shown]
	s_cmp_eq_u32 s16, 0
	v_mul_lo_u32 v0, v0, s13
	v_mul_lo_u32 v6, v4, s13
	;; [unrolled: 1-line block ×3, first 2 shown]
	s_cbranch_scc1 .LBB70_34
; %bb.33:
	s_waitcnt lgkmcnt(0)
	v_mad_u64_u32 v[16:17], s[2:3], v2, 12, s[0:1]
	v_mov_b32_e32 v8, v17
	v_mad_u64_u32 v[8:9], s[2:3], v3, 12, v[8:9]
	v_mov_b32_e32 v17, v8
	global_load_dwordx3 v[8:10], v[16:17], off
	s_waitcnt vmcnt(0)
	v_mad_u64_u32 v[12:13], s[2:3], v8, s16, v[0:1]
	v_mad_u64_u32 v[8:9], s[2:3], v9, s16, v[6:7]
	;; [unrolled: 1-line block ×3, first 2 shown]
	v_mov_b32_e32 v13, v8
	v_mov_b32_e32 v14, v10
	global_store_dwordx3 v[16:17], v[12:14], off
	s_cbranch_execnz .LBB70_14
	s_branch .LBB70_35
.LBB70_34:
.LBB70_35:
	s_waitcnt lgkmcnt(0)
	v_mad_u64_u32 v[8:9], s[0:1], v2, 12, s[0:1]
	v_mov_b32_e32 v2, v9
	v_mad_u64_u32 v[2:3], s[0:1], v3, 12, v[2:3]
	v_mov_b32_e32 v9, v2
	v_mov_b32_e32 v1, v6
	;; [unrolled: 1-line block ×3, first 2 shown]
	global_store_dwordx3 v[8:9], v[0:2], off
	s_endpgm
	.section	.rodata,"a",@progbits
	.p2align	6, 0x0
	.amdhsa_kernel _ZN9rocsparseL18bsrxmvn_3x3_kernelILj256ELj4EillaaiEEvT3_20rocsparse_direction_NS_24const_host_device_scalarIT1_EES1_PKS1_PKT2_SA_S7_PKT4_PKT5_S5_PT6_21rocsparse_index_base_b
		.amdhsa_group_segment_fixed_size 0
		.amdhsa_private_segment_fixed_size 0
		.amdhsa_kernarg_size 104
		.amdhsa_user_sgpr_count 2
		.amdhsa_user_sgpr_dispatch_ptr 0
		.amdhsa_user_sgpr_queue_ptr 0
		.amdhsa_user_sgpr_kernarg_segment_ptr 1
		.amdhsa_user_sgpr_dispatch_id 0
		.amdhsa_user_sgpr_kernarg_preload_length 0
		.amdhsa_user_sgpr_kernarg_preload_offset 0
		.amdhsa_user_sgpr_private_segment_size 0
		.amdhsa_uses_dynamic_stack 0
		.amdhsa_enable_private_segment 0
		.amdhsa_system_sgpr_workgroup_id_x 1
		.amdhsa_system_sgpr_workgroup_id_y 0
		.amdhsa_system_sgpr_workgroup_id_z 0
		.amdhsa_system_sgpr_workgroup_info 0
		.amdhsa_system_vgpr_workitem_id 0
		.amdhsa_next_free_vgpr 27
		.amdhsa_next_free_sgpr 24
		.amdhsa_accum_offset 28
		.amdhsa_reserve_vcc 1
		.amdhsa_float_round_mode_32 0
		.amdhsa_float_round_mode_16_64 0
		.amdhsa_float_denorm_mode_32 3
		.amdhsa_float_denorm_mode_16_64 3
		.amdhsa_dx10_clamp 1
		.amdhsa_ieee_mode 1
		.amdhsa_fp16_overflow 0
		.amdhsa_tg_split 0
		.amdhsa_exception_fp_ieee_invalid_op 0
		.amdhsa_exception_fp_denorm_src 0
		.amdhsa_exception_fp_ieee_div_zero 0
		.amdhsa_exception_fp_ieee_overflow 0
		.amdhsa_exception_fp_ieee_underflow 0
		.amdhsa_exception_fp_ieee_inexact 0
		.amdhsa_exception_int_div_zero 0
	.end_amdhsa_kernel
	.section	.text._ZN9rocsparseL18bsrxmvn_3x3_kernelILj256ELj4EillaaiEEvT3_20rocsparse_direction_NS_24const_host_device_scalarIT1_EES1_PKS1_PKT2_SA_S7_PKT4_PKT5_S5_PT6_21rocsparse_index_base_b,"axG",@progbits,_ZN9rocsparseL18bsrxmvn_3x3_kernelILj256ELj4EillaaiEEvT3_20rocsparse_direction_NS_24const_host_device_scalarIT1_EES1_PKS1_PKT2_SA_S7_PKT4_PKT5_S5_PT6_21rocsparse_index_base_b,comdat
.Lfunc_end70:
	.size	_ZN9rocsparseL18bsrxmvn_3x3_kernelILj256ELj4EillaaiEEvT3_20rocsparse_direction_NS_24const_host_device_scalarIT1_EES1_PKS1_PKT2_SA_S7_PKT4_PKT5_S5_PT6_21rocsparse_index_base_b, .Lfunc_end70-_ZN9rocsparseL18bsrxmvn_3x3_kernelILj256ELj4EillaaiEEvT3_20rocsparse_direction_NS_24const_host_device_scalarIT1_EES1_PKS1_PKT2_SA_S7_PKT4_PKT5_S5_PT6_21rocsparse_index_base_b
                                        ; -- End function
	.section	.AMDGPU.csdata,"",@progbits
; Kernel info:
; codeLenInByte = 1412
; NumSgprs: 30
; NumVgprs: 27
; NumAgprs: 0
; TotalNumVgprs: 27
; ScratchSize: 0
; MemoryBound: 0
; FloatMode: 240
; IeeeMode: 1
; LDSByteSize: 0 bytes/workgroup (compile time only)
; SGPRBlocks: 3
; VGPRBlocks: 3
; NumSGPRsForWavesPerEU: 30
; NumVGPRsForWavesPerEU: 27
; AccumOffset: 28
; Occupancy: 8
; WaveLimiterHint : 1
; COMPUTE_PGM_RSRC2:SCRATCH_EN: 0
; COMPUTE_PGM_RSRC2:USER_SGPR: 2
; COMPUTE_PGM_RSRC2:TRAP_HANDLER: 0
; COMPUTE_PGM_RSRC2:TGID_X_EN: 1
; COMPUTE_PGM_RSRC2:TGID_Y_EN: 0
; COMPUTE_PGM_RSRC2:TGID_Z_EN: 0
; COMPUTE_PGM_RSRC2:TIDIG_COMP_CNT: 0
; COMPUTE_PGM_RSRC3_GFX90A:ACCUM_OFFSET: 6
; COMPUTE_PGM_RSRC3_GFX90A:TG_SPLIT: 0
	.section	.text._ZN9rocsparseL18bsrxmvn_3x3_kernelILj256ELj8EillaaiEEvT3_20rocsparse_direction_NS_24const_host_device_scalarIT1_EES1_PKS1_PKT2_SA_S7_PKT4_PKT5_S5_PT6_21rocsparse_index_base_b,"axG",@progbits,_ZN9rocsparseL18bsrxmvn_3x3_kernelILj256ELj8EillaaiEEvT3_20rocsparse_direction_NS_24const_host_device_scalarIT1_EES1_PKS1_PKT2_SA_S7_PKT4_PKT5_S5_PT6_21rocsparse_index_base_b,comdat
	.globl	_ZN9rocsparseL18bsrxmvn_3x3_kernelILj256ELj8EillaaiEEvT3_20rocsparse_direction_NS_24const_host_device_scalarIT1_EES1_PKS1_PKT2_SA_S7_PKT4_PKT5_S5_PT6_21rocsparse_index_base_b ; -- Begin function _ZN9rocsparseL18bsrxmvn_3x3_kernelILj256ELj8EillaaiEEvT3_20rocsparse_direction_NS_24const_host_device_scalarIT1_EES1_PKS1_PKT2_SA_S7_PKT4_PKT5_S5_PT6_21rocsparse_index_base_b
	.p2align	8
	.type	_ZN9rocsparseL18bsrxmvn_3x3_kernelILj256ELj8EillaaiEEvT3_20rocsparse_direction_NS_24const_host_device_scalarIT1_EES1_PKS1_PKT2_SA_S7_PKT4_PKT5_S5_PT6_21rocsparse_index_base_b,@function
_ZN9rocsparseL18bsrxmvn_3x3_kernelILj256ELj8EillaaiEEvT3_20rocsparse_direction_NS_24const_host_device_scalarIT1_EES1_PKS1_PKT2_SA_S7_PKT4_PKT5_S5_PT6_21rocsparse_index_base_b: ; @_ZN9rocsparseL18bsrxmvn_3x3_kernelILj256ELj8EillaaiEEvT3_20rocsparse_direction_NS_24const_host_device_scalarIT1_EES1_PKS1_PKT2_SA_S7_PKT4_PKT5_S5_PT6_21rocsparse_index_base_b
; %bb.0:
	s_load_dwordx2 s[12:13], s[0:1], 0x60
	s_load_dwordx4 s[4:7], s[0:1], 0x10
	s_mov_b64 s[14:15], -1
	s_waitcnt lgkmcnt(0)
	s_bitcmp1_b32 s13, 0
	s_cselect_b64 s[8:9], -1, 0
	s_xor_b64 s[10:11], s[8:9], -1
	s_and_b64 vcc, exec, s[10:11]
                                        ; implicit-def: $sgpr13
	s_cbranch_vccnz .LBB71_4
; %bb.1:
	s_load_dwordx2 s[8:9], s[0:1], 0x50
	s_andn2_b64 vcc, exec, s[14:15]
	s_cbranch_vccz .LBB71_5
.LBB71_2:
	s_and_b64 vcc, exec, s[10:11]
	s_cbranch_vccz .LBB71_6
.LBB71_3:
	s_waitcnt lgkmcnt(0)
	s_load_dword s18, s[8:9], 0x0
	s_cbranch_execz .LBB71_7
	s_branch .LBB71_8
.LBB71_4:
	s_load_dword s13, s[4:5], 0x0
	s_load_dwordx2 s[8:9], s[0:1], 0x50
	s_cbranch_execnz .LBB71_2
.LBB71_5:
	s_waitcnt lgkmcnt(0)
	s_mov_b32 s13, s4
	s_and_b64 vcc, exec, s[10:11]
	s_cbranch_vccnz .LBB71_3
.LBB71_6:
                                        ; implicit-def: $sgpr18
.LBB71_7:
	s_waitcnt lgkmcnt(0)
	s_mov_b32 s18, s8
.LBB71_8:
	s_waitcnt lgkmcnt(0)
	s_cmp_lg_u32 s13, 0
	s_cselect_b64 s[4:5], -1, 0
	s_cmp_lg_u32 s18, 1
	s_cselect_b64 s[8:9], -1, 0
	s_or_b64 s[4:5], s[4:5], s[8:9]
	s_andn2_b64 vcc, exec, s[4:5]
	s_cbranch_vccnz .LBB71_14
; %bb.9:
	s_load_dwordx2 s[4:5], s[0:1], 0x20
	v_lshrrev_b32_e32 v1, 3, v0
	v_lshl_or_b32 v4, s2, 5, v1
	v_mov_b32_e32 v5, 0
	s_mov_b64 s[2:3], 0
	s_waitcnt lgkmcnt(0)
	s_cmp_lg_u64 s[4:5], 0
	s_cbranch_scc0 .LBB71_15
; %bb.10:
	v_cmp_gt_i64_e32 vcc, s[6:7], v[4:5]
                                        ; implicit-def: $vgpr2_vgpr3
	s_and_saveexec_b64 s[6:7], vcc
	s_xor_b64 s[6:7], exec, s[6:7]
                                        ; implicit-def: $sgpr14_sgpr15
	s_cbranch_execz .LBB71_12
; %bb.11:
	v_lshl_add_u64 v[2:3], v[4:5], 3, s[4:5]
	global_load_dwordx2 v[2:3], v[2:3], off
	s_mov_b64 s[2:3], exec
	s_mov_b32 s15, 0
	s_waitcnt vmcnt(0)
	v_subrev_co_u32_e32 v2, vcc, s12, v2
	s_nop 1
	v_subbrev_co_u32_e32 v3, vcc, 0, v3, vcc
.LBB71_12:
	s_or_b64 exec, exec, s[6:7]
.LBB71_13:
	s_and_saveexec_b64 s[4:5], s[2:3]
	s_cbranch_execnz .LBB71_19
.LBB71_14:
	s_endpgm
.LBB71_15:
                                        ; implicit-def: $vgpr2_vgpr3
                                        ; implicit-def: $sgpr14_sgpr15
	s_cbranch_execz .LBB71_13
; %bb.16:
	s_load_dwordx2 s[4:5], s[0:1], 0x0
                                        ; implicit-def: $vgpr2_vgpr3
	s_waitcnt lgkmcnt(0)
	v_cmp_gt_i64_e32 vcc, s[4:5], v[4:5]
	s_and_saveexec_b64 s[4:5], vcc
                                        ; implicit-def: $sgpr14_sgpr15
; %bb.17:
	s_mov_b32 s15, 0
	s_or_b64 s[2:3], s[2:3], exec
	v_mov_b64_e32 v[2:3], v[4:5]
; %bb.18:
	s_or_b64 exec, exec, s[4:5]
	s_and_saveexec_b64 s[4:5], s[2:3]
	s_cbranch_execz .LBB71_14
.LBB71_19:
	s_load_dwordx8 s[4:11], s[0:1], 0x28
	v_lshlrev_b64 v[4:5], 3, v[2:3]
	v_mov_b32_e32 v10, s15
	v_and_b32_e32 v0, 7, v0
	v_mov_b32_e32 v1, 0
	s_waitcnt lgkmcnt(0)
	v_lshl_add_u64 v[6:7], s[4:5], 0, v[4:5]
	s_cmp_eq_u64 s[6:7], 0
	global_load_dwordx2 v[8:9], v[6:7], off
	v_lshl_add_u64 v[4:5], s[6:7], 0, v[4:5]
	v_lshl_add_u64 v[6:7], v[6:7], 0, 8
	s_cselect_b64 vcc, -1, 0
	v_cndmask_b32_e32 v5, v5, v7, vcc
	v_cndmask_b32_e32 v4, v4, v6, vcc
	global_load_dwordx2 v[6:7], v[4:5], off
	s_load_dword s2, s[0:1], 0x8
	s_load_dwordx2 s[4:5], s[0:1], 0x48
	s_waitcnt lgkmcnt(0)
	s_cmp_eq_u32 s2, 1
	s_waitcnt vmcnt(1)
	v_subrev_co_u32_e32 v4, vcc, s12, v8
	s_nop 1
	v_subb_co_u32_e32 v5, vcc, v9, v10, vcc
	v_lshl_add_u64 v[4:5], v[4:5], 0, v[0:1]
	v_mad_u64_u32 v[8:9], s[2:3], v4, 9, s[10:11]
	s_waitcnt vmcnt(0)
	v_subrev_co_u32_e32 v6, vcc, s12, v6
	s_nop 1
	v_subb_co_u32_e32 v7, vcc, v7, v10, vcc
	v_mov_b32_e32 v10, v9
	v_mad_u64_u32 v[10:11], s[2:3], v5, 9, v[10:11]
	v_mov_b32_e32 v9, v10
	v_cmp_lt_i64_e64 s[2:3], v[4:5], v[6:7]
	s_cbranch_scc1 .LBB71_25
; %bb.20:
	v_mov_b32_e32 v16, v1
	v_mov_b32_e32 v17, v1
	s_and_saveexec_b64 s[6:7], s[2:3]
	s_cbranch_execz .LBB71_24
; %bb.21:
	v_mov_b32_e32 v1, 0
	v_lshl_add_u64 v[10:11], v[4:5], 3, s[8:9]
	s_mov_b64 s[10:11], 0
	v_mov_b32_e32 v18, s15
	s_mov_b32 s14, 0xc0c0401
	s_mov_b32 s19, 0xc0c0201
	;; [unrolled: 1-line block ×6, first 2 shown]
	s_mov_b64 s[16:17], 0x48
	v_mov_b64_e32 v[12:13], v[8:9]
	v_mov_b64_e32 v[14:15], v[4:5]
	v_mov_b32_e32 v16, v1
	v_mov_b32_e32 v17, v1
.LBB71_22:                              ; =>This Inner Loop Header: Depth=1
	global_load_dwordx2 v[20:21], v[10:11], off
	global_load_sbyte v19, v[12:13], off offset:8
	global_load_dwordx2 v[22:23], v[12:13], off
	v_lshl_add_u64 v[14:15], v[14:15], 0, 8
	v_lshl_add_u64 v[12:13], v[12:13], 0, s[16:17]
	;; [unrolled: 1-line block ×3, first 2 shown]
	s_waitcnt vmcnt(2)
	v_subrev_co_u32_e32 v20, vcc, s12, v20
	s_nop 1
	v_subb_co_u32_e32 v25, vcc, v21, v18, vcc
	v_mad_u64_u32 v[20:21], s[24:25], v20, 3, s[4:5]
	v_mov_b32_e32 v24, v21
	v_mad_u64_u32 v[24:25], s[24:25], v25, 3, v[24:25]
	v_mov_b32_e32 v21, v24
	global_load_ushort v24, v[20:21], off
	global_load_sbyte v25, v[20:21], off offset:2
	s_waitcnt vmcnt(2)
	v_bfe_i32 v20, v22, 0, 8
	v_perm_b32 v21, v22, v22, s19
	v_perm_b32 v26, v23, v22, s20
	;; [unrolled: 1-line block ×4, first 2 shown]
	v_or_b32_e32 v19, v19, v22
	v_cmp_ge_i64_e32 vcc, v[14:15], v[6:7]
	s_or_b64 s[10:11], vcc, s[10:11]
	s_waitcnt vmcnt(1)
	v_bfe_i32 v22, v24, 0, 8
	s_waitcnt vmcnt(0)
	v_perm_b32 v23, v25, v24, s14
	v_perm_b32 v24, v25, v24, s21
	v_mad_i32_i24 v17, v22, v20, v17
	v_dot4c_i32_i8_e32 v16, v26, v24
	v_dot4c_i32_i8_e32 v1, v19, v24
	;; [unrolled: 1-line block ×3, first 2 shown]
	s_andn2_b64 exec, exec, s[10:11]
	s_cbranch_execnz .LBB71_22
; %bb.23:
	s_or_b64 exec, exec, s[10:11]
.LBB71_24:
	s_or_b64 exec, exec, s[6:7]
	s_cbranch_execz .LBB71_26
	s_branch .LBB71_31
.LBB71_25:
                                        ; implicit-def: $vgpr16
                                        ; implicit-def: $vgpr17
.LBB71_26:
	v_mov_b32_e32 v1, 0
	v_mov_b32_e32 v16, 0
	v_mov_b32_e32 v17, 0
	s_and_saveexec_b64 s[6:7], s[2:3]
	s_cbranch_execz .LBB71_30
; %bb.27:
	v_mov_b32_e32 v1, 0
	v_lshl_add_u64 v[10:11], v[4:5], 3, s[8:9]
	s_mov_b64 s[2:3], 0
	v_mov_b32_e32 v12, s15
	s_mov_b32 s10, 0xc0c0401
	s_mov_b32 s11, 0xc0c0603
	;; [unrolled: 1-line block ×5, first 2 shown]
	s_mov_b64 s[8:9], 0x48
	v_mov_b32_e32 v16, v1
	v_mov_b32_e32 v17, v1
.LBB71_28:                              ; =>This Inner Loop Header: Depth=1
	global_load_dwordx2 v[14:15], v[10:11], off
	global_load_sbyte v13, v[8:9], off offset:8
	global_load_dwordx2 v[18:19], v[8:9], off
	v_lshl_add_u64 v[4:5], v[4:5], 0, 8
	v_lshl_add_u64 v[8:9], v[8:9], 0, s[8:9]
	;; [unrolled: 1-line block ×3, first 2 shown]
	s_waitcnt vmcnt(2)
	v_subrev_co_u32_e32 v14, vcc, s12, v14
	s_nop 1
	v_subb_co_u32_e32 v21, vcc, v15, v12, vcc
	v_mad_u64_u32 v[14:15], s[20:21], v14, 3, s[4:5]
	v_mov_b32_e32 v20, v15
	v_mad_u64_u32 v[20:21], s[20:21], v21, 3, v[20:21]
	v_mov_b32_e32 v15, v20
	global_load_ushort v20, v[14:15], off
	global_load_sbyte v21, v[14:15], off offset:2
	s_waitcnt vmcnt(2)
	v_bfe_i32 v14, v18, 0, 8
	v_perm_b32 v15, v19, v18, s11
	v_perm_b32 v19, v19, v18, s14
	;; [unrolled: 1-line block ×3, first 2 shown]
	v_cmp_ge_i64_e32 vcc, v[4:5], v[6:7]
	s_or_b64 s[2:3], vcc, s[2:3]
	s_waitcnt vmcnt(1)
	v_bfe_i32 v18, v20, 0, 8
	s_waitcnt vmcnt(0)
	v_perm_b32 v22, v21, v20, s10
	v_perm_b32 v20, v21, v20, s15
	v_mad_i32_i24 v17, v18, v14, v17
	v_dot4c_i32_i8_e32 v16, v19, v20
	v_dot4c_i32_i8_e32 v1, v13, v20
	;; [unrolled: 1-line block ×3, first 2 shown]
	s_andn2_b64 exec, exec, s[2:3]
	s_cbranch_execnz .LBB71_28
; %bb.29:
	s_or_b64 exec, exec, s[2:3]
.LBB71_30:
	s_or_b64 exec, exec, s[6:7]
.LBB71_31:
	v_mov_b32_dpp v4, v17 row_shr:1 row_mask:0xf bank_mask:0xf
	v_mov_b32_dpp v6, v16 row_shr:1 row_mask:0xf bank_mask:0xf
	;; [unrolled: 1-line block ×3, first 2 shown]
	v_add_u32_e32 v4, v4, v17
	v_add_u32_e32 v6, v6, v16
	;; [unrolled: 1-line block ×3, first 2 shown]
	v_mov_b32_dpp v5, v4 row_shr:2 row_mask:0xf bank_mask:0xf
	v_mov_b32_dpp v7, v6 row_shr:2 row_mask:0xf bank_mask:0xf
	;; [unrolled: 1-line block ×3, first 2 shown]
	v_add_u32_e32 v4, v4, v5
	v_add_u32_e32 v6, v6, v7
	;; [unrolled: 1-line block ×3, first 2 shown]
	v_mov_b32_dpp v5, v4 row_shr:4 row_mask:0xf bank_mask:0xe
	v_mov_b32_dpp v7, v6 row_shr:4 row_mask:0xf bank_mask:0xe
	;; [unrolled: 1-line block ×3, first 2 shown]
	v_cmp_eq_u32_e32 vcc, 7, v0
	s_and_b64 exec, exec, vcc
	s_cbranch_execz .LBB71_14
; %bb.32:
	s_load_dwordx2 s[0:1], s[0:1], 0x58
	v_add_u32_e32 v0, v4, v5
	v_add_u32_e32 v4, v6, v7
	;; [unrolled: 1-line block ×3, first 2 shown]
	s_cmp_eq_u32 s18, 0
	v_mul_lo_u32 v0, v0, s13
	v_mul_lo_u32 v6, v4, s13
	;; [unrolled: 1-line block ×3, first 2 shown]
	s_cbranch_scc1 .LBB71_34
; %bb.33:
	s_waitcnt lgkmcnt(0)
	v_mad_u64_u32 v[16:17], s[2:3], v2, 12, s[0:1]
	v_mov_b32_e32 v8, v17
	v_mad_u64_u32 v[8:9], s[2:3], v3, 12, v[8:9]
	v_mov_b32_e32 v17, v8
	global_load_dwordx3 v[8:10], v[16:17], off
	s_waitcnt vmcnt(0)
	v_mad_u64_u32 v[12:13], s[2:3], v8, s18, v[0:1]
	v_mad_u64_u32 v[8:9], s[2:3], v9, s18, v[6:7]
	;; [unrolled: 1-line block ×3, first 2 shown]
	v_mov_b32_e32 v13, v8
	v_mov_b32_e32 v14, v10
	global_store_dwordx3 v[16:17], v[12:14], off
	s_cbranch_execnz .LBB71_14
	s_branch .LBB71_35
.LBB71_34:
.LBB71_35:
	s_waitcnt lgkmcnt(0)
	v_mad_u64_u32 v[8:9], s[0:1], v2, 12, s[0:1]
	v_mov_b32_e32 v2, v9
	v_mad_u64_u32 v[2:3], s[0:1], v3, 12, v[2:3]
	v_mov_b32_e32 v9, v2
	v_mov_b32_e32 v1, v6
	;; [unrolled: 1-line block ×3, first 2 shown]
	global_store_dwordx3 v[8:9], v[0:2], off
	s_endpgm
	.section	.rodata,"a",@progbits
	.p2align	6, 0x0
	.amdhsa_kernel _ZN9rocsparseL18bsrxmvn_3x3_kernelILj256ELj8EillaaiEEvT3_20rocsparse_direction_NS_24const_host_device_scalarIT1_EES1_PKS1_PKT2_SA_S7_PKT4_PKT5_S5_PT6_21rocsparse_index_base_b
		.amdhsa_group_segment_fixed_size 0
		.amdhsa_private_segment_fixed_size 0
		.amdhsa_kernarg_size 104
		.amdhsa_user_sgpr_count 2
		.amdhsa_user_sgpr_dispatch_ptr 0
		.amdhsa_user_sgpr_queue_ptr 0
		.amdhsa_user_sgpr_kernarg_segment_ptr 1
		.amdhsa_user_sgpr_dispatch_id 0
		.amdhsa_user_sgpr_kernarg_preload_length 0
		.amdhsa_user_sgpr_kernarg_preload_offset 0
		.amdhsa_user_sgpr_private_segment_size 0
		.amdhsa_uses_dynamic_stack 0
		.amdhsa_enable_private_segment 0
		.amdhsa_system_sgpr_workgroup_id_x 1
		.amdhsa_system_sgpr_workgroup_id_y 0
		.amdhsa_system_sgpr_workgroup_id_z 0
		.amdhsa_system_sgpr_workgroup_info 0
		.amdhsa_system_vgpr_workitem_id 0
		.amdhsa_next_free_vgpr 27
		.amdhsa_next_free_sgpr 26
		.amdhsa_accum_offset 28
		.amdhsa_reserve_vcc 1
		.amdhsa_float_round_mode_32 0
		.amdhsa_float_round_mode_16_64 0
		.amdhsa_float_denorm_mode_32 3
		.amdhsa_float_denorm_mode_16_64 3
		.amdhsa_dx10_clamp 1
		.amdhsa_ieee_mode 1
		.amdhsa_fp16_overflow 0
		.amdhsa_tg_split 0
		.amdhsa_exception_fp_ieee_invalid_op 0
		.amdhsa_exception_fp_denorm_src 0
		.amdhsa_exception_fp_ieee_div_zero 0
		.amdhsa_exception_fp_ieee_overflow 0
		.amdhsa_exception_fp_ieee_underflow 0
		.amdhsa_exception_fp_ieee_inexact 0
		.amdhsa_exception_int_div_zero 0
	.end_amdhsa_kernel
	.section	.text._ZN9rocsparseL18bsrxmvn_3x3_kernelILj256ELj8EillaaiEEvT3_20rocsparse_direction_NS_24const_host_device_scalarIT1_EES1_PKS1_PKT2_SA_S7_PKT4_PKT5_S5_PT6_21rocsparse_index_base_b,"axG",@progbits,_ZN9rocsparseL18bsrxmvn_3x3_kernelILj256ELj8EillaaiEEvT3_20rocsparse_direction_NS_24const_host_device_scalarIT1_EES1_PKS1_PKT2_SA_S7_PKT4_PKT5_S5_PT6_21rocsparse_index_base_b,comdat
.Lfunc_end71:
	.size	_ZN9rocsparseL18bsrxmvn_3x3_kernelILj256ELj8EillaaiEEvT3_20rocsparse_direction_NS_24const_host_device_scalarIT1_EES1_PKS1_PKT2_SA_S7_PKT4_PKT5_S5_PT6_21rocsparse_index_base_b, .Lfunc_end71-_ZN9rocsparseL18bsrxmvn_3x3_kernelILj256ELj8EillaaiEEvT3_20rocsparse_direction_NS_24const_host_device_scalarIT1_EES1_PKS1_PKT2_SA_S7_PKT4_PKT5_S5_PT6_21rocsparse_index_base_b
                                        ; -- End function
	.section	.AMDGPU.csdata,"",@progbits
; Kernel info:
; codeLenInByte = 1464
; NumSgprs: 32
; NumVgprs: 27
; NumAgprs: 0
; TotalNumVgprs: 27
; ScratchSize: 0
; MemoryBound: 0
; FloatMode: 240
; IeeeMode: 1
; LDSByteSize: 0 bytes/workgroup (compile time only)
; SGPRBlocks: 3
; VGPRBlocks: 3
; NumSGPRsForWavesPerEU: 32
; NumVGPRsForWavesPerEU: 27
; AccumOffset: 28
; Occupancy: 8
; WaveLimiterHint : 1
; COMPUTE_PGM_RSRC2:SCRATCH_EN: 0
; COMPUTE_PGM_RSRC2:USER_SGPR: 2
; COMPUTE_PGM_RSRC2:TRAP_HANDLER: 0
; COMPUTE_PGM_RSRC2:TGID_X_EN: 1
; COMPUTE_PGM_RSRC2:TGID_Y_EN: 0
; COMPUTE_PGM_RSRC2:TGID_Z_EN: 0
; COMPUTE_PGM_RSRC2:TIDIG_COMP_CNT: 0
; COMPUTE_PGM_RSRC3_GFX90A:ACCUM_OFFSET: 6
; COMPUTE_PGM_RSRC3_GFX90A:TG_SPLIT: 0
	.section	.text._ZN9rocsparseL18bsrxmvn_3x3_kernelILj256ELj16EillaaiEEvT3_20rocsparse_direction_NS_24const_host_device_scalarIT1_EES1_PKS1_PKT2_SA_S7_PKT4_PKT5_S5_PT6_21rocsparse_index_base_b,"axG",@progbits,_ZN9rocsparseL18bsrxmvn_3x3_kernelILj256ELj16EillaaiEEvT3_20rocsparse_direction_NS_24const_host_device_scalarIT1_EES1_PKS1_PKT2_SA_S7_PKT4_PKT5_S5_PT6_21rocsparse_index_base_b,comdat
	.globl	_ZN9rocsparseL18bsrxmvn_3x3_kernelILj256ELj16EillaaiEEvT3_20rocsparse_direction_NS_24const_host_device_scalarIT1_EES1_PKS1_PKT2_SA_S7_PKT4_PKT5_S5_PT6_21rocsparse_index_base_b ; -- Begin function _ZN9rocsparseL18bsrxmvn_3x3_kernelILj256ELj16EillaaiEEvT3_20rocsparse_direction_NS_24const_host_device_scalarIT1_EES1_PKS1_PKT2_SA_S7_PKT4_PKT5_S5_PT6_21rocsparse_index_base_b
	.p2align	8
	.type	_ZN9rocsparseL18bsrxmvn_3x3_kernelILj256ELj16EillaaiEEvT3_20rocsparse_direction_NS_24const_host_device_scalarIT1_EES1_PKS1_PKT2_SA_S7_PKT4_PKT5_S5_PT6_21rocsparse_index_base_b,@function
_ZN9rocsparseL18bsrxmvn_3x3_kernelILj256ELj16EillaaiEEvT3_20rocsparse_direction_NS_24const_host_device_scalarIT1_EES1_PKS1_PKT2_SA_S7_PKT4_PKT5_S5_PT6_21rocsparse_index_base_b: ; @_ZN9rocsparseL18bsrxmvn_3x3_kernelILj256ELj16EillaaiEEvT3_20rocsparse_direction_NS_24const_host_device_scalarIT1_EES1_PKS1_PKT2_SA_S7_PKT4_PKT5_S5_PT6_21rocsparse_index_base_b
; %bb.0:
	s_load_dwordx2 s[12:13], s[0:1], 0x60
	s_load_dwordx4 s[4:7], s[0:1], 0x10
	s_mov_b64 s[14:15], -1
	s_waitcnt lgkmcnt(0)
	s_bitcmp1_b32 s13, 0
	s_cselect_b64 s[8:9], -1, 0
	s_xor_b64 s[10:11], s[8:9], -1
	s_and_b64 vcc, exec, s[10:11]
                                        ; implicit-def: $sgpr13
	s_cbranch_vccnz .LBB72_4
; %bb.1:
	s_load_dwordx2 s[8:9], s[0:1], 0x50
	s_andn2_b64 vcc, exec, s[14:15]
	s_cbranch_vccz .LBB72_5
.LBB72_2:
	s_and_b64 vcc, exec, s[10:11]
	s_cbranch_vccz .LBB72_6
.LBB72_3:
	s_waitcnt lgkmcnt(0)
	s_load_dword s20, s[8:9], 0x0
	s_cbranch_execz .LBB72_7
	s_branch .LBB72_8
.LBB72_4:
	s_load_dword s13, s[4:5], 0x0
	s_load_dwordx2 s[8:9], s[0:1], 0x50
	s_cbranch_execnz .LBB72_2
.LBB72_5:
	s_waitcnt lgkmcnt(0)
	s_mov_b32 s13, s4
	s_and_b64 vcc, exec, s[10:11]
	s_cbranch_vccnz .LBB72_3
.LBB72_6:
                                        ; implicit-def: $sgpr20
.LBB72_7:
	s_waitcnt lgkmcnt(0)
	s_mov_b32 s20, s8
.LBB72_8:
	s_waitcnt lgkmcnt(0)
	s_cmp_lg_u32 s13, 0
	s_cselect_b64 s[4:5], -1, 0
	s_cmp_lg_u32 s20, 1
	s_cselect_b64 s[8:9], -1, 0
	s_or_b64 s[4:5], s[4:5], s[8:9]
	s_andn2_b64 vcc, exec, s[4:5]
	s_cbranch_vccnz .LBB72_14
; %bb.9:
	s_load_dwordx2 s[4:5], s[0:1], 0x20
	v_lshrrev_b32_e32 v1, 4, v0
	v_lshl_or_b32 v4, s2, 4, v1
	v_mov_b32_e32 v5, 0
	s_mov_b64 s[2:3], 0
	s_waitcnt lgkmcnt(0)
	s_cmp_lg_u64 s[4:5], 0
	s_cbranch_scc0 .LBB72_15
; %bb.10:
	v_cmp_gt_i64_e32 vcc, s[6:7], v[4:5]
                                        ; implicit-def: $vgpr2_vgpr3
	s_and_saveexec_b64 s[6:7], vcc
	s_xor_b64 s[6:7], exec, s[6:7]
                                        ; implicit-def: $sgpr14_sgpr15
	s_cbranch_execz .LBB72_12
; %bb.11:
	v_lshl_add_u64 v[2:3], v[4:5], 3, s[4:5]
	global_load_dwordx2 v[2:3], v[2:3], off
	s_mov_b64 s[2:3], exec
	s_mov_b32 s15, 0
	s_waitcnt vmcnt(0)
	v_subrev_co_u32_e32 v2, vcc, s12, v2
	s_nop 1
	v_subbrev_co_u32_e32 v3, vcc, 0, v3, vcc
.LBB72_12:
	s_or_b64 exec, exec, s[6:7]
.LBB72_13:
	s_and_saveexec_b64 s[4:5], s[2:3]
	s_cbranch_execnz .LBB72_19
.LBB72_14:
	s_endpgm
.LBB72_15:
                                        ; implicit-def: $vgpr2_vgpr3
                                        ; implicit-def: $sgpr14_sgpr15
	s_cbranch_execz .LBB72_13
; %bb.16:
	s_load_dwordx2 s[4:5], s[0:1], 0x0
                                        ; implicit-def: $vgpr2_vgpr3
	s_waitcnt lgkmcnt(0)
	v_cmp_gt_i64_e32 vcc, s[4:5], v[4:5]
	s_and_saveexec_b64 s[4:5], vcc
                                        ; implicit-def: $sgpr14_sgpr15
; %bb.17:
	s_mov_b32 s15, 0
	s_or_b64 s[2:3], s[2:3], exec
	v_mov_b64_e32 v[2:3], v[4:5]
; %bb.18:
	s_or_b64 exec, exec, s[4:5]
	s_and_saveexec_b64 s[4:5], s[2:3]
	s_cbranch_execz .LBB72_14
.LBB72_19:
	s_load_dwordx8 s[4:11], s[0:1], 0x28
	v_lshlrev_b64 v[4:5], 3, v[2:3]
	v_mov_b32_e32 v10, s15
	v_and_b32_e32 v0, 15, v0
	v_mov_b32_e32 v1, 0
	s_waitcnt lgkmcnt(0)
	v_lshl_add_u64 v[6:7], s[4:5], 0, v[4:5]
	s_cmp_eq_u64 s[6:7], 0
	global_load_dwordx2 v[8:9], v[6:7], off
	v_lshl_add_u64 v[4:5], s[6:7], 0, v[4:5]
	v_lshl_add_u64 v[6:7], v[6:7], 0, 8
	s_cselect_b64 vcc, -1, 0
	v_cndmask_b32_e32 v5, v5, v7, vcc
	v_cndmask_b32_e32 v4, v4, v6, vcc
	global_load_dwordx2 v[6:7], v[4:5], off
	s_load_dword s2, s[0:1], 0x8
	s_load_dwordx2 s[4:5], s[0:1], 0x48
	s_waitcnt lgkmcnt(0)
	s_cmp_eq_u32 s2, 1
	s_waitcnt vmcnt(1)
	v_subrev_co_u32_e32 v4, vcc, s12, v8
	s_nop 1
	v_subb_co_u32_e32 v5, vcc, v9, v10, vcc
	v_lshl_add_u64 v[4:5], v[4:5], 0, v[0:1]
	v_mad_u64_u32 v[8:9], s[2:3], v4, 9, s[10:11]
	s_waitcnt vmcnt(0)
	v_subrev_co_u32_e32 v6, vcc, s12, v6
	s_nop 1
	v_subb_co_u32_e32 v7, vcc, v7, v10, vcc
	v_mov_b32_e32 v10, v9
	v_mad_u64_u32 v[10:11], s[2:3], v5, 9, v[10:11]
	v_mov_b32_e32 v9, v10
	v_cmp_lt_i64_e64 s[2:3], v[4:5], v[6:7]
	s_cbranch_scc1 .LBB72_25
; %bb.20:
	v_mov_b32_e32 v16, v1
	v_mov_b32_e32 v17, v1
	s_and_saveexec_b64 s[6:7], s[2:3]
	s_cbranch_execz .LBB72_24
; %bb.21:
	v_mov_b32_e32 v1, 0
	v_lshl_add_u64 v[10:11], v[4:5], 3, s[8:9]
	s_mov_b64 s[10:11], 0
	v_mov_b32_e32 v18, s15
	s_mov_b32 s14, 0xc0c0401
	s_mov_b32 s21, 0xc0c0201
	;; [unrolled: 1-line block ×6, first 2 shown]
	s_mov_b64 s[16:17], 0x90
	s_mov_b64 s[18:19], 0x80
	v_mov_b64_e32 v[12:13], v[8:9]
	v_mov_b64_e32 v[14:15], v[4:5]
	v_mov_b32_e32 v16, v1
	v_mov_b32_e32 v17, v1
.LBB72_22:                              ; =>This Inner Loop Header: Depth=1
	global_load_dwordx2 v[20:21], v[10:11], off
	global_load_sbyte v19, v[12:13], off offset:8
	global_load_dwordx2 v[22:23], v[12:13], off
	v_lshl_add_u64 v[14:15], v[14:15], 0, 16
	v_lshl_add_u64 v[12:13], v[12:13], 0, s[16:17]
	;; [unrolled: 1-line block ×3, first 2 shown]
	s_waitcnt vmcnt(2)
	v_subrev_co_u32_e32 v20, vcc, s12, v20
	s_nop 1
	v_subb_co_u32_e32 v25, vcc, v21, v18, vcc
	v_mad_u64_u32 v[20:21], s[26:27], v20, 3, s[4:5]
	v_mov_b32_e32 v24, v21
	v_mad_u64_u32 v[24:25], s[26:27], v25, 3, v[24:25]
	v_mov_b32_e32 v21, v24
	global_load_ushort v24, v[20:21], off
	global_load_sbyte v25, v[20:21], off offset:2
	s_waitcnt vmcnt(2)
	v_bfe_i32 v20, v22, 0, 8
	v_perm_b32 v21, v22, v22, s21
	v_perm_b32 v26, v23, v22, s22
	;; [unrolled: 1-line block ×4, first 2 shown]
	v_or_b32_e32 v19, v19, v22
	v_cmp_ge_i64_e32 vcc, v[14:15], v[6:7]
	s_or_b64 s[10:11], vcc, s[10:11]
	s_waitcnt vmcnt(1)
	v_bfe_i32 v22, v24, 0, 8
	s_waitcnt vmcnt(0)
	v_perm_b32 v23, v25, v24, s14
	v_perm_b32 v24, v25, v24, s23
	v_mad_i32_i24 v17, v22, v20, v17
	v_dot4c_i32_i8_e32 v16, v26, v24
	v_dot4c_i32_i8_e32 v1, v19, v24
	;; [unrolled: 1-line block ×3, first 2 shown]
	s_andn2_b64 exec, exec, s[10:11]
	s_cbranch_execnz .LBB72_22
; %bb.23:
	s_or_b64 exec, exec, s[10:11]
.LBB72_24:
	s_or_b64 exec, exec, s[6:7]
	s_cbranch_execz .LBB72_26
	s_branch .LBB72_31
.LBB72_25:
                                        ; implicit-def: $vgpr16
                                        ; implicit-def: $vgpr17
.LBB72_26:
	v_mov_b32_e32 v1, 0
	v_mov_b32_e32 v16, 0
	;; [unrolled: 1-line block ×3, first 2 shown]
	s_and_saveexec_b64 s[6:7], s[2:3]
	s_cbranch_execz .LBB72_30
; %bb.27:
	v_mov_b32_e32 v1, 0
	v_lshl_add_u64 v[10:11], v[4:5], 3, s[8:9]
	s_mov_b64 s[2:3], 0
	v_mov_b32_e32 v12, s15
	s_mov_b32 s14, 0xc0c0401
	s_mov_b32 s15, 0xc0c0603
	;; [unrolled: 1-line block ×5, first 2 shown]
	s_mov_b64 s[8:9], 0x90
	s_mov_b64 s[10:11], 0x80
	v_mov_b32_e32 v16, v1
	v_mov_b32_e32 v17, v1
.LBB72_28:                              ; =>This Inner Loop Header: Depth=1
	global_load_dwordx2 v[14:15], v[10:11], off
	global_load_sbyte v13, v[8:9], off offset:8
	global_load_dwordx2 v[18:19], v[8:9], off
	v_lshl_add_u64 v[4:5], v[4:5], 0, 16
	v_lshl_add_u64 v[8:9], v[8:9], 0, s[8:9]
	;; [unrolled: 1-line block ×3, first 2 shown]
	s_waitcnt vmcnt(2)
	v_subrev_co_u32_e32 v14, vcc, s12, v14
	s_nop 1
	v_subb_co_u32_e32 v21, vcc, v15, v12, vcc
	v_mad_u64_u32 v[14:15], s[22:23], v14, 3, s[4:5]
	v_mov_b32_e32 v20, v15
	v_mad_u64_u32 v[20:21], s[22:23], v21, 3, v[20:21]
	v_mov_b32_e32 v15, v20
	global_load_ushort v20, v[14:15], off
	global_load_sbyte v21, v[14:15], off offset:2
	s_waitcnt vmcnt(2)
	v_bfe_i32 v14, v18, 0, 8
	v_perm_b32 v15, v19, v18, s15
	v_perm_b32 v19, v19, v18, s16
	;; [unrolled: 1-line block ×3, first 2 shown]
	v_cmp_ge_i64_e32 vcc, v[4:5], v[6:7]
	s_or_b64 s[2:3], vcc, s[2:3]
	s_waitcnt vmcnt(1)
	v_bfe_i32 v18, v20, 0, 8
	s_waitcnt vmcnt(0)
	v_perm_b32 v22, v21, v20, s14
	v_perm_b32 v20, v21, v20, s17
	v_mad_i32_i24 v17, v18, v14, v17
	v_dot4c_i32_i8_e32 v16, v19, v20
	v_dot4c_i32_i8_e32 v1, v13, v20
	;; [unrolled: 1-line block ×3, first 2 shown]
	s_andn2_b64 exec, exec, s[2:3]
	s_cbranch_execnz .LBB72_28
; %bb.29:
	s_or_b64 exec, exec, s[2:3]
.LBB72_30:
	s_or_b64 exec, exec, s[6:7]
.LBB72_31:
	v_mov_b32_dpp v4, v17 row_shr:1 row_mask:0xf bank_mask:0xf
	v_mov_b32_dpp v6, v16 row_shr:1 row_mask:0xf bank_mask:0xf
	v_mov_b32_dpp v8, v1 row_shr:1 row_mask:0xf bank_mask:0xf
	v_add_u32_e32 v4, v4, v17
	v_add_u32_e32 v6, v6, v16
	v_add_u32_e32 v1, v8, v1
	v_mov_b32_dpp v5, v4 row_shr:2 row_mask:0xf bank_mask:0xf
	v_mov_b32_dpp v7, v6 row_shr:2 row_mask:0xf bank_mask:0xf
	v_mov_b32_dpp v8, v1 row_shr:2 row_mask:0xf bank_mask:0xf
	v_add_u32_e32 v4, v4, v5
	v_add_u32_e32 v6, v6, v7
	v_add_u32_e32 v1, v1, v8
	;; [unrolled: 6-line block ×3, first 2 shown]
	v_mov_b32_dpp v5, v4 row_shr:8 row_mask:0xf bank_mask:0xc
	v_mov_b32_dpp v7, v6 row_shr:8 row_mask:0xf bank_mask:0xc
	;; [unrolled: 1-line block ×3, first 2 shown]
	v_cmp_eq_u32_e32 vcc, 15, v0
	s_and_b64 exec, exec, vcc
	s_cbranch_execz .LBB72_14
; %bb.32:
	s_load_dwordx2 s[0:1], s[0:1], 0x58
	v_add_u32_e32 v0, v4, v5
	v_add_u32_e32 v4, v6, v7
	;; [unrolled: 1-line block ×3, first 2 shown]
	s_cmp_eq_u32 s20, 0
	v_mul_lo_u32 v0, v0, s13
	v_mul_lo_u32 v6, v4, s13
	;; [unrolled: 1-line block ×3, first 2 shown]
	s_cbranch_scc1 .LBB72_34
; %bb.33:
	s_waitcnt lgkmcnt(0)
	v_mad_u64_u32 v[16:17], s[2:3], v2, 12, s[0:1]
	v_mov_b32_e32 v8, v17
	v_mad_u64_u32 v[8:9], s[2:3], v3, 12, v[8:9]
	v_mov_b32_e32 v17, v8
	global_load_dwordx3 v[8:10], v[16:17], off
	s_waitcnt vmcnt(0)
	v_mad_u64_u32 v[12:13], s[2:3], v8, s20, v[0:1]
	v_mad_u64_u32 v[8:9], s[2:3], v9, s20, v[6:7]
	;; [unrolled: 1-line block ×3, first 2 shown]
	v_mov_b32_e32 v13, v8
	v_mov_b32_e32 v14, v10
	global_store_dwordx3 v[16:17], v[12:14], off
	s_cbranch_execnz .LBB72_14
	s_branch .LBB72_35
.LBB72_34:
.LBB72_35:
	s_waitcnt lgkmcnt(0)
	v_mad_u64_u32 v[8:9], s[0:1], v2, 12, s[0:1]
	v_mov_b32_e32 v2, v9
	v_mad_u64_u32 v[2:3], s[0:1], v3, 12, v[2:3]
	v_mov_b32_e32 v9, v2
	v_mov_b32_e32 v1, v6
	;; [unrolled: 1-line block ×3, first 2 shown]
	global_store_dwordx3 v[8:9], v[0:2], off
	s_endpgm
	.section	.rodata,"a",@progbits
	.p2align	6, 0x0
	.amdhsa_kernel _ZN9rocsparseL18bsrxmvn_3x3_kernelILj256ELj16EillaaiEEvT3_20rocsparse_direction_NS_24const_host_device_scalarIT1_EES1_PKS1_PKT2_SA_S7_PKT4_PKT5_S5_PT6_21rocsparse_index_base_b
		.amdhsa_group_segment_fixed_size 0
		.amdhsa_private_segment_fixed_size 0
		.amdhsa_kernarg_size 104
		.amdhsa_user_sgpr_count 2
		.amdhsa_user_sgpr_dispatch_ptr 0
		.amdhsa_user_sgpr_queue_ptr 0
		.amdhsa_user_sgpr_kernarg_segment_ptr 1
		.amdhsa_user_sgpr_dispatch_id 0
		.amdhsa_user_sgpr_kernarg_preload_length 0
		.amdhsa_user_sgpr_kernarg_preload_offset 0
		.amdhsa_user_sgpr_private_segment_size 0
		.amdhsa_uses_dynamic_stack 0
		.amdhsa_enable_private_segment 0
		.amdhsa_system_sgpr_workgroup_id_x 1
		.amdhsa_system_sgpr_workgroup_id_y 0
		.amdhsa_system_sgpr_workgroup_id_z 0
		.amdhsa_system_sgpr_workgroup_info 0
		.amdhsa_system_vgpr_workitem_id 0
		.amdhsa_next_free_vgpr 27
		.amdhsa_next_free_sgpr 28
		.amdhsa_accum_offset 28
		.amdhsa_reserve_vcc 1
		.amdhsa_float_round_mode_32 0
		.amdhsa_float_round_mode_16_64 0
		.amdhsa_float_denorm_mode_32 3
		.amdhsa_float_denorm_mode_16_64 3
		.amdhsa_dx10_clamp 1
		.amdhsa_ieee_mode 1
		.amdhsa_fp16_overflow 0
		.amdhsa_tg_split 0
		.amdhsa_exception_fp_ieee_invalid_op 0
		.amdhsa_exception_fp_denorm_src 0
		.amdhsa_exception_fp_ieee_div_zero 0
		.amdhsa_exception_fp_ieee_overflow 0
		.amdhsa_exception_fp_ieee_underflow 0
		.amdhsa_exception_fp_ieee_inexact 0
		.amdhsa_exception_int_div_zero 0
	.end_amdhsa_kernel
	.section	.text._ZN9rocsparseL18bsrxmvn_3x3_kernelILj256ELj16EillaaiEEvT3_20rocsparse_direction_NS_24const_host_device_scalarIT1_EES1_PKS1_PKT2_SA_S7_PKT4_PKT5_S5_PT6_21rocsparse_index_base_b,"axG",@progbits,_ZN9rocsparseL18bsrxmvn_3x3_kernelILj256ELj16EillaaiEEvT3_20rocsparse_direction_NS_24const_host_device_scalarIT1_EES1_PKS1_PKT2_SA_S7_PKT4_PKT5_S5_PT6_21rocsparse_index_base_b,comdat
.Lfunc_end72:
	.size	_ZN9rocsparseL18bsrxmvn_3x3_kernelILj256ELj16EillaaiEEvT3_20rocsparse_direction_NS_24const_host_device_scalarIT1_EES1_PKS1_PKT2_SA_S7_PKT4_PKT5_S5_PT6_21rocsparse_index_base_b, .Lfunc_end72-_ZN9rocsparseL18bsrxmvn_3x3_kernelILj256ELj16EillaaiEEvT3_20rocsparse_direction_NS_24const_host_device_scalarIT1_EES1_PKS1_PKT2_SA_S7_PKT4_PKT5_S5_PT6_21rocsparse_index_base_b
                                        ; -- End function
	.section	.AMDGPU.csdata,"",@progbits
; Kernel info:
; codeLenInByte = 1516
; NumSgprs: 34
; NumVgprs: 27
; NumAgprs: 0
; TotalNumVgprs: 27
; ScratchSize: 0
; MemoryBound: 0
; FloatMode: 240
; IeeeMode: 1
; LDSByteSize: 0 bytes/workgroup (compile time only)
; SGPRBlocks: 4
; VGPRBlocks: 3
; NumSGPRsForWavesPerEU: 34
; NumVGPRsForWavesPerEU: 27
; AccumOffset: 28
; Occupancy: 8
; WaveLimiterHint : 1
; COMPUTE_PGM_RSRC2:SCRATCH_EN: 0
; COMPUTE_PGM_RSRC2:USER_SGPR: 2
; COMPUTE_PGM_RSRC2:TRAP_HANDLER: 0
; COMPUTE_PGM_RSRC2:TGID_X_EN: 1
; COMPUTE_PGM_RSRC2:TGID_Y_EN: 0
; COMPUTE_PGM_RSRC2:TGID_Z_EN: 0
; COMPUTE_PGM_RSRC2:TIDIG_COMP_CNT: 0
; COMPUTE_PGM_RSRC3_GFX90A:ACCUM_OFFSET: 6
; COMPUTE_PGM_RSRC3_GFX90A:TG_SPLIT: 0
	.section	.text._ZN9rocsparseL18bsrxmvn_3x3_kernelILj256ELj32EillaaiEEvT3_20rocsparse_direction_NS_24const_host_device_scalarIT1_EES1_PKS1_PKT2_SA_S7_PKT4_PKT5_S5_PT6_21rocsparse_index_base_b,"axG",@progbits,_ZN9rocsparseL18bsrxmvn_3x3_kernelILj256ELj32EillaaiEEvT3_20rocsparse_direction_NS_24const_host_device_scalarIT1_EES1_PKS1_PKT2_SA_S7_PKT4_PKT5_S5_PT6_21rocsparse_index_base_b,comdat
	.globl	_ZN9rocsparseL18bsrxmvn_3x3_kernelILj256ELj32EillaaiEEvT3_20rocsparse_direction_NS_24const_host_device_scalarIT1_EES1_PKS1_PKT2_SA_S7_PKT4_PKT5_S5_PT6_21rocsparse_index_base_b ; -- Begin function _ZN9rocsparseL18bsrxmvn_3x3_kernelILj256ELj32EillaaiEEvT3_20rocsparse_direction_NS_24const_host_device_scalarIT1_EES1_PKS1_PKT2_SA_S7_PKT4_PKT5_S5_PT6_21rocsparse_index_base_b
	.p2align	8
	.type	_ZN9rocsparseL18bsrxmvn_3x3_kernelILj256ELj32EillaaiEEvT3_20rocsparse_direction_NS_24const_host_device_scalarIT1_EES1_PKS1_PKT2_SA_S7_PKT4_PKT5_S5_PT6_21rocsparse_index_base_b,@function
_ZN9rocsparseL18bsrxmvn_3x3_kernelILj256ELj32EillaaiEEvT3_20rocsparse_direction_NS_24const_host_device_scalarIT1_EES1_PKS1_PKT2_SA_S7_PKT4_PKT5_S5_PT6_21rocsparse_index_base_b: ; @_ZN9rocsparseL18bsrxmvn_3x3_kernelILj256ELj32EillaaiEEvT3_20rocsparse_direction_NS_24const_host_device_scalarIT1_EES1_PKS1_PKT2_SA_S7_PKT4_PKT5_S5_PT6_21rocsparse_index_base_b
; %bb.0:
	s_load_dwordx2 s[12:13], s[0:1], 0x60
	s_load_dwordx4 s[4:7], s[0:1], 0x10
	s_mov_b64 s[14:15], -1
	s_waitcnt lgkmcnt(0)
	s_bitcmp1_b32 s13, 0
	s_cselect_b64 s[8:9], -1, 0
	s_xor_b64 s[10:11], s[8:9], -1
	s_and_b64 vcc, exec, s[10:11]
                                        ; implicit-def: $sgpr13
	s_cbranch_vccnz .LBB73_4
; %bb.1:
	s_load_dwordx2 s[8:9], s[0:1], 0x50
	s_andn2_b64 vcc, exec, s[14:15]
	s_cbranch_vccz .LBB73_5
.LBB73_2:
	s_and_b64 vcc, exec, s[10:11]
	s_cbranch_vccz .LBB73_6
.LBB73_3:
	s_waitcnt lgkmcnt(0)
	s_load_dword s20, s[8:9], 0x0
	s_cbranch_execz .LBB73_7
	s_branch .LBB73_8
.LBB73_4:
	s_load_dword s13, s[4:5], 0x0
	s_load_dwordx2 s[8:9], s[0:1], 0x50
	s_cbranch_execnz .LBB73_2
.LBB73_5:
	s_waitcnt lgkmcnt(0)
	s_mov_b32 s13, s4
	s_and_b64 vcc, exec, s[10:11]
	s_cbranch_vccnz .LBB73_3
.LBB73_6:
                                        ; implicit-def: $sgpr20
.LBB73_7:
	s_waitcnt lgkmcnt(0)
	s_mov_b32 s20, s8
.LBB73_8:
	s_waitcnt lgkmcnt(0)
	s_cmp_lg_u32 s13, 0
	s_cselect_b64 s[4:5], -1, 0
	s_cmp_lg_u32 s20, 1
	s_cselect_b64 s[8:9], -1, 0
	s_or_b64 s[4:5], s[4:5], s[8:9]
	s_andn2_b64 vcc, exec, s[4:5]
	s_cbranch_vccnz .LBB73_14
; %bb.9:
	s_load_dwordx2 s[4:5], s[0:1], 0x20
	v_lshrrev_b32_e32 v1, 5, v0
	v_lshl_or_b32 v4, s2, 3, v1
	v_mov_b32_e32 v5, 0
	s_mov_b64 s[2:3], 0
	s_waitcnt lgkmcnt(0)
	s_cmp_lg_u64 s[4:5], 0
	s_cbranch_scc0 .LBB73_15
; %bb.10:
	v_cmp_gt_i64_e32 vcc, s[6:7], v[4:5]
                                        ; implicit-def: $vgpr2_vgpr3
	s_and_saveexec_b64 s[6:7], vcc
	s_xor_b64 s[6:7], exec, s[6:7]
                                        ; implicit-def: $sgpr14_sgpr15
	s_cbranch_execz .LBB73_12
; %bb.11:
	v_lshl_add_u64 v[2:3], v[4:5], 3, s[4:5]
	global_load_dwordx2 v[2:3], v[2:3], off
	s_mov_b64 s[2:3], exec
	s_mov_b32 s15, 0
	s_waitcnt vmcnt(0)
	v_subrev_co_u32_e32 v2, vcc, s12, v2
	s_nop 1
	v_subbrev_co_u32_e32 v3, vcc, 0, v3, vcc
.LBB73_12:
	s_or_b64 exec, exec, s[6:7]
.LBB73_13:
	s_and_saveexec_b64 s[4:5], s[2:3]
	s_cbranch_execnz .LBB73_19
.LBB73_14:
	s_endpgm
.LBB73_15:
                                        ; implicit-def: $vgpr2_vgpr3
                                        ; implicit-def: $sgpr14_sgpr15
	s_cbranch_execz .LBB73_13
; %bb.16:
	s_load_dwordx2 s[4:5], s[0:1], 0x0
                                        ; implicit-def: $vgpr2_vgpr3
	s_waitcnt lgkmcnt(0)
	v_cmp_gt_i64_e32 vcc, s[4:5], v[4:5]
	s_and_saveexec_b64 s[4:5], vcc
                                        ; implicit-def: $sgpr14_sgpr15
; %bb.17:
	s_mov_b32 s15, 0
	s_or_b64 s[2:3], s[2:3], exec
	v_mov_b64_e32 v[2:3], v[4:5]
; %bb.18:
	s_or_b64 exec, exec, s[4:5]
	s_and_saveexec_b64 s[4:5], s[2:3]
	s_cbranch_execz .LBB73_14
.LBB73_19:
	s_load_dwordx8 s[4:11], s[0:1], 0x28
	v_lshlrev_b64 v[4:5], 3, v[2:3]
	v_mov_b32_e32 v10, s15
	v_and_b32_e32 v0, 31, v0
	v_mov_b32_e32 v1, 0
	s_waitcnt lgkmcnt(0)
	v_lshl_add_u64 v[6:7], s[4:5], 0, v[4:5]
	s_cmp_eq_u64 s[6:7], 0
	global_load_dwordx2 v[8:9], v[6:7], off
	v_lshl_add_u64 v[4:5], s[6:7], 0, v[4:5]
	v_lshl_add_u64 v[6:7], v[6:7], 0, 8
	s_cselect_b64 vcc, -1, 0
	v_cndmask_b32_e32 v5, v5, v7, vcc
	v_cndmask_b32_e32 v4, v4, v6, vcc
	global_load_dwordx2 v[6:7], v[4:5], off
	s_load_dword s2, s[0:1], 0x8
	s_load_dwordx2 s[4:5], s[0:1], 0x48
	s_waitcnt lgkmcnt(0)
	s_cmp_eq_u32 s2, 1
	s_waitcnt vmcnt(1)
	v_subrev_co_u32_e32 v4, vcc, s12, v8
	s_nop 1
	v_subb_co_u32_e32 v5, vcc, v9, v10, vcc
	v_lshl_add_u64 v[4:5], v[4:5], 0, v[0:1]
	v_mad_u64_u32 v[8:9], s[2:3], v4, 9, s[10:11]
	s_waitcnt vmcnt(0)
	v_subrev_co_u32_e32 v6, vcc, s12, v6
	s_nop 1
	v_subb_co_u32_e32 v7, vcc, v7, v10, vcc
	v_mov_b32_e32 v10, v9
	v_mad_u64_u32 v[10:11], s[2:3], v5, 9, v[10:11]
	v_mov_b32_e32 v9, v10
	v_cmp_lt_i64_e64 s[2:3], v[4:5], v[6:7]
	s_cbranch_scc1 .LBB73_25
; %bb.20:
	v_mov_b32_e32 v16, v1
	v_mov_b32_e32 v17, v1
	s_and_saveexec_b64 s[6:7], s[2:3]
	s_cbranch_execz .LBB73_24
; %bb.21:
	v_mov_b32_e32 v1, 0
	v_lshl_add_u64 v[10:11], v[4:5], 3, s[8:9]
	s_mov_b64 s[10:11], 0
	v_mov_b32_e32 v18, s15
	s_mov_b32 s14, 0xc0c0401
	s_mov_b32 s21, 0xc0c0201
	;; [unrolled: 1-line block ×6, first 2 shown]
	s_mov_b64 s[16:17], 0x120
	s_mov_b64 s[18:19], 0x100
	v_mov_b64_e32 v[12:13], v[8:9]
	v_mov_b64_e32 v[14:15], v[4:5]
	v_mov_b32_e32 v16, v1
	v_mov_b32_e32 v17, v1
.LBB73_22:                              ; =>This Inner Loop Header: Depth=1
	global_load_dwordx2 v[20:21], v[10:11], off
	global_load_sbyte v19, v[12:13], off offset:8
	global_load_dwordx2 v[22:23], v[12:13], off
	v_lshl_add_u64 v[14:15], v[14:15], 0, 32
	v_lshl_add_u64 v[12:13], v[12:13], 0, s[16:17]
	;; [unrolled: 1-line block ×3, first 2 shown]
	s_waitcnt vmcnt(2)
	v_subrev_co_u32_e32 v20, vcc, s12, v20
	s_nop 1
	v_subb_co_u32_e32 v25, vcc, v21, v18, vcc
	v_mad_u64_u32 v[20:21], s[26:27], v20, 3, s[4:5]
	v_mov_b32_e32 v24, v21
	v_mad_u64_u32 v[24:25], s[26:27], v25, 3, v[24:25]
	v_mov_b32_e32 v21, v24
	global_load_ushort v24, v[20:21], off
	global_load_sbyte v25, v[20:21], off offset:2
	s_waitcnt vmcnt(2)
	v_bfe_i32 v20, v22, 0, 8
	v_perm_b32 v21, v22, v22, s21
	v_perm_b32 v26, v23, v22, s22
	;; [unrolled: 1-line block ×4, first 2 shown]
	v_or_b32_e32 v19, v19, v22
	v_cmp_ge_i64_e32 vcc, v[14:15], v[6:7]
	s_or_b64 s[10:11], vcc, s[10:11]
	s_waitcnt vmcnt(1)
	v_bfe_i32 v22, v24, 0, 8
	s_waitcnt vmcnt(0)
	v_perm_b32 v23, v25, v24, s14
	v_perm_b32 v24, v25, v24, s23
	v_mad_i32_i24 v17, v22, v20, v17
	v_dot4c_i32_i8_e32 v16, v26, v24
	v_dot4c_i32_i8_e32 v1, v19, v24
	;; [unrolled: 1-line block ×3, first 2 shown]
	s_andn2_b64 exec, exec, s[10:11]
	s_cbranch_execnz .LBB73_22
; %bb.23:
	s_or_b64 exec, exec, s[10:11]
.LBB73_24:
	s_or_b64 exec, exec, s[6:7]
	s_cbranch_execz .LBB73_26
	s_branch .LBB73_31
.LBB73_25:
                                        ; implicit-def: $vgpr16
                                        ; implicit-def: $vgpr17
.LBB73_26:
	v_mov_b32_e32 v1, 0
	v_mov_b32_e32 v16, 0
	;; [unrolled: 1-line block ×3, first 2 shown]
	s_and_saveexec_b64 s[6:7], s[2:3]
	s_cbranch_execz .LBB73_30
; %bb.27:
	v_mov_b32_e32 v1, 0
	v_lshl_add_u64 v[10:11], v[4:5], 3, s[8:9]
	s_mov_b64 s[2:3], 0
	v_mov_b32_e32 v12, s15
	s_mov_b32 s14, 0xc0c0401
	s_mov_b32 s15, 0xc0c0603
	;; [unrolled: 1-line block ×5, first 2 shown]
	s_mov_b64 s[8:9], 0x120
	s_mov_b64 s[10:11], 0x100
	v_mov_b32_e32 v16, v1
	v_mov_b32_e32 v17, v1
.LBB73_28:                              ; =>This Inner Loop Header: Depth=1
	global_load_dwordx2 v[14:15], v[10:11], off
	global_load_sbyte v13, v[8:9], off offset:8
	global_load_dwordx2 v[18:19], v[8:9], off
	v_lshl_add_u64 v[4:5], v[4:5], 0, 32
	v_lshl_add_u64 v[8:9], v[8:9], 0, s[8:9]
	;; [unrolled: 1-line block ×3, first 2 shown]
	s_waitcnt vmcnt(2)
	v_subrev_co_u32_e32 v14, vcc, s12, v14
	s_nop 1
	v_subb_co_u32_e32 v21, vcc, v15, v12, vcc
	v_mad_u64_u32 v[14:15], s[22:23], v14, 3, s[4:5]
	v_mov_b32_e32 v20, v15
	v_mad_u64_u32 v[20:21], s[22:23], v21, 3, v[20:21]
	v_mov_b32_e32 v15, v20
	global_load_ushort v20, v[14:15], off
	global_load_sbyte v21, v[14:15], off offset:2
	s_waitcnt vmcnt(2)
	v_bfe_i32 v14, v18, 0, 8
	v_perm_b32 v15, v19, v18, s15
	v_perm_b32 v19, v19, v18, s16
	;; [unrolled: 1-line block ×3, first 2 shown]
	v_cmp_ge_i64_e32 vcc, v[4:5], v[6:7]
	s_or_b64 s[2:3], vcc, s[2:3]
	s_waitcnt vmcnt(1)
	v_bfe_i32 v18, v20, 0, 8
	s_waitcnt vmcnt(0)
	v_perm_b32 v22, v21, v20, s14
	v_perm_b32 v20, v21, v20, s17
	v_mad_i32_i24 v17, v18, v14, v17
	v_dot4c_i32_i8_e32 v16, v19, v20
	v_dot4c_i32_i8_e32 v1, v13, v20
	;; [unrolled: 1-line block ×3, first 2 shown]
	s_andn2_b64 exec, exec, s[2:3]
	s_cbranch_execnz .LBB73_28
; %bb.29:
	s_or_b64 exec, exec, s[2:3]
.LBB73_30:
	s_or_b64 exec, exec, s[6:7]
.LBB73_31:
	v_mov_b32_dpp v4, v17 row_shr:1 row_mask:0xf bank_mask:0xf
	v_mov_b32_dpp v6, v16 row_shr:1 row_mask:0xf bank_mask:0xf
	v_mov_b32_dpp v8, v1 row_shr:1 row_mask:0xf bank_mask:0xf
	v_add_u32_e32 v4, v4, v17
	v_add_u32_e32 v6, v6, v16
	v_add_u32_e32 v1, v8, v1
	v_mov_b32_dpp v5, v4 row_shr:2 row_mask:0xf bank_mask:0xf
	v_mov_b32_dpp v7, v6 row_shr:2 row_mask:0xf bank_mask:0xf
	v_mov_b32_dpp v8, v1 row_shr:2 row_mask:0xf bank_mask:0xf
	v_add_u32_e32 v4, v4, v5
	v_add_u32_e32 v6, v6, v7
	v_add_u32_e32 v1, v1, v8
	;; [unrolled: 6-line block ×4, first 2 shown]
	v_mov_b32_dpp v5, v4 row_bcast:15 row_mask:0xa bank_mask:0xf
	v_mov_b32_dpp v7, v6 row_bcast:15 row_mask:0xa bank_mask:0xf
	v_mov_b32_dpp v8, v1 row_bcast:15 row_mask:0xa bank_mask:0xf
	v_cmp_eq_u32_e32 vcc, 31, v0
	s_and_b64 exec, exec, vcc
	s_cbranch_execz .LBB73_14
; %bb.32:
	s_load_dwordx2 s[0:1], s[0:1], 0x58
	v_add_u32_e32 v0, v4, v5
	v_add_u32_e32 v4, v6, v7
	;; [unrolled: 1-line block ×3, first 2 shown]
	s_cmp_eq_u32 s20, 0
	v_mul_lo_u32 v0, v0, s13
	v_mul_lo_u32 v6, v4, s13
	;; [unrolled: 1-line block ×3, first 2 shown]
	s_cbranch_scc1 .LBB73_34
; %bb.33:
	s_waitcnt lgkmcnt(0)
	v_mad_u64_u32 v[16:17], s[2:3], v2, 12, s[0:1]
	v_mov_b32_e32 v8, v17
	v_mad_u64_u32 v[8:9], s[2:3], v3, 12, v[8:9]
	v_mov_b32_e32 v17, v8
	global_load_dwordx3 v[8:10], v[16:17], off
	s_waitcnt vmcnt(0)
	v_mad_u64_u32 v[12:13], s[2:3], v8, s20, v[0:1]
	v_mad_u64_u32 v[8:9], s[2:3], v9, s20, v[6:7]
	;; [unrolled: 1-line block ×3, first 2 shown]
	v_mov_b32_e32 v13, v8
	v_mov_b32_e32 v14, v10
	global_store_dwordx3 v[16:17], v[12:14], off
	s_cbranch_execnz .LBB73_14
	s_branch .LBB73_35
.LBB73_34:
.LBB73_35:
	s_waitcnt lgkmcnt(0)
	v_mad_u64_u32 v[8:9], s[0:1], v2, 12, s[0:1]
	v_mov_b32_e32 v2, v9
	v_mad_u64_u32 v[2:3], s[0:1], v3, 12, v[2:3]
	v_mov_b32_e32 v9, v2
	v_mov_b32_e32 v1, v6
	;; [unrolled: 1-line block ×3, first 2 shown]
	global_store_dwordx3 v[8:9], v[0:2], off
	s_endpgm
	.section	.rodata,"a",@progbits
	.p2align	6, 0x0
	.amdhsa_kernel _ZN9rocsparseL18bsrxmvn_3x3_kernelILj256ELj32EillaaiEEvT3_20rocsparse_direction_NS_24const_host_device_scalarIT1_EES1_PKS1_PKT2_SA_S7_PKT4_PKT5_S5_PT6_21rocsparse_index_base_b
		.amdhsa_group_segment_fixed_size 0
		.amdhsa_private_segment_fixed_size 0
		.amdhsa_kernarg_size 104
		.amdhsa_user_sgpr_count 2
		.amdhsa_user_sgpr_dispatch_ptr 0
		.amdhsa_user_sgpr_queue_ptr 0
		.amdhsa_user_sgpr_kernarg_segment_ptr 1
		.amdhsa_user_sgpr_dispatch_id 0
		.amdhsa_user_sgpr_kernarg_preload_length 0
		.amdhsa_user_sgpr_kernarg_preload_offset 0
		.amdhsa_user_sgpr_private_segment_size 0
		.amdhsa_uses_dynamic_stack 0
		.amdhsa_enable_private_segment 0
		.amdhsa_system_sgpr_workgroup_id_x 1
		.amdhsa_system_sgpr_workgroup_id_y 0
		.amdhsa_system_sgpr_workgroup_id_z 0
		.amdhsa_system_sgpr_workgroup_info 0
		.amdhsa_system_vgpr_workitem_id 0
		.amdhsa_next_free_vgpr 27
		.amdhsa_next_free_sgpr 28
		.amdhsa_accum_offset 28
		.amdhsa_reserve_vcc 1
		.amdhsa_float_round_mode_32 0
		.amdhsa_float_round_mode_16_64 0
		.amdhsa_float_denorm_mode_32 3
		.amdhsa_float_denorm_mode_16_64 3
		.amdhsa_dx10_clamp 1
		.amdhsa_ieee_mode 1
		.amdhsa_fp16_overflow 0
		.amdhsa_tg_split 0
		.amdhsa_exception_fp_ieee_invalid_op 0
		.amdhsa_exception_fp_denorm_src 0
		.amdhsa_exception_fp_ieee_div_zero 0
		.amdhsa_exception_fp_ieee_overflow 0
		.amdhsa_exception_fp_ieee_underflow 0
		.amdhsa_exception_fp_ieee_inexact 0
		.amdhsa_exception_int_div_zero 0
	.end_amdhsa_kernel
	.section	.text._ZN9rocsparseL18bsrxmvn_3x3_kernelILj256ELj32EillaaiEEvT3_20rocsparse_direction_NS_24const_host_device_scalarIT1_EES1_PKS1_PKT2_SA_S7_PKT4_PKT5_S5_PT6_21rocsparse_index_base_b,"axG",@progbits,_ZN9rocsparseL18bsrxmvn_3x3_kernelILj256ELj32EillaaiEEvT3_20rocsparse_direction_NS_24const_host_device_scalarIT1_EES1_PKS1_PKT2_SA_S7_PKT4_PKT5_S5_PT6_21rocsparse_index_base_b,comdat
.Lfunc_end73:
	.size	_ZN9rocsparseL18bsrxmvn_3x3_kernelILj256ELj32EillaaiEEvT3_20rocsparse_direction_NS_24const_host_device_scalarIT1_EES1_PKS1_PKT2_SA_S7_PKT4_PKT5_S5_PT6_21rocsparse_index_base_b, .Lfunc_end73-_ZN9rocsparseL18bsrxmvn_3x3_kernelILj256ELj32EillaaiEEvT3_20rocsparse_direction_NS_24const_host_device_scalarIT1_EES1_PKS1_PKT2_SA_S7_PKT4_PKT5_S5_PT6_21rocsparse_index_base_b
                                        ; -- End function
	.section	.AMDGPU.csdata,"",@progbits
; Kernel info:
; codeLenInByte = 1552
; NumSgprs: 34
; NumVgprs: 27
; NumAgprs: 0
; TotalNumVgprs: 27
; ScratchSize: 0
; MemoryBound: 0
; FloatMode: 240
; IeeeMode: 1
; LDSByteSize: 0 bytes/workgroup (compile time only)
; SGPRBlocks: 4
; VGPRBlocks: 3
; NumSGPRsForWavesPerEU: 34
; NumVGPRsForWavesPerEU: 27
; AccumOffset: 28
; Occupancy: 8
; WaveLimiterHint : 1
; COMPUTE_PGM_RSRC2:SCRATCH_EN: 0
; COMPUTE_PGM_RSRC2:USER_SGPR: 2
; COMPUTE_PGM_RSRC2:TRAP_HANDLER: 0
; COMPUTE_PGM_RSRC2:TGID_X_EN: 1
; COMPUTE_PGM_RSRC2:TGID_Y_EN: 0
; COMPUTE_PGM_RSRC2:TGID_Z_EN: 0
; COMPUTE_PGM_RSRC2:TIDIG_COMP_CNT: 0
; COMPUTE_PGM_RSRC3_GFX90A:ACCUM_OFFSET: 6
; COMPUTE_PGM_RSRC3_GFX90A:TG_SPLIT: 0
	.section	.text._ZN9rocsparseL18bsrxmvn_3x3_kernelILj256ELj64EillaaiEEvT3_20rocsparse_direction_NS_24const_host_device_scalarIT1_EES1_PKS1_PKT2_SA_S7_PKT4_PKT5_S5_PT6_21rocsparse_index_base_b,"axG",@progbits,_ZN9rocsparseL18bsrxmvn_3x3_kernelILj256ELj64EillaaiEEvT3_20rocsparse_direction_NS_24const_host_device_scalarIT1_EES1_PKS1_PKT2_SA_S7_PKT4_PKT5_S5_PT6_21rocsparse_index_base_b,comdat
	.globl	_ZN9rocsparseL18bsrxmvn_3x3_kernelILj256ELj64EillaaiEEvT3_20rocsparse_direction_NS_24const_host_device_scalarIT1_EES1_PKS1_PKT2_SA_S7_PKT4_PKT5_S5_PT6_21rocsparse_index_base_b ; -- Begin function _ZN9rocsparseL18bsrxmvn_3x3_kernelILj256ELj64EillaaiEEvT3_20rocsparse_direction_NS_24const_host_device_scalarIT1_EES1_PKS1_PKT2_SA_S7_PKT4_PKT5_S5_PT6_21rocsparse_index_base_b
	.p2align	8
	.type	_ZN9rocsparseL18bsrxmvn_3x3_kernelILj256ELj64EillaaiEEvT3_20rocsparse_direction_NS_24const_host_device_scalarIT1_EES1_PKS1_PKT2_SA_S7_PKT4_PKT5_S5_PT6_21rocsparse_index_base_b,@function
_ZN9rocsparseL18bsrxmvn_3x3_kernelILj256ELj64EillaaiEEvT3_20rocsparse_direction_NS_24const_host_device_scalarIT1_EES1_PKS1_PKT2_SA_S7_PKT4_PKT5_S5_PT6_21rocsparse_index_base_b: ; @_ZN9rocsparseL18bsrxmvn_3x3_kernelILj256ELj64EillaaiEEvT3_20rocsparse_direction_NS_24const_host_device_scalarIT1_EES1_PKS1_PKT2_SA_S7_PKT4_PKT5_S5_PT6_21rocsparse_index_base_b
; %bb.0:
	s_load_dwordx2 s[12:13], s[0:1], 0x60
	s_load_dwordx4 s[4:7], s[0:1], 0x10
	s_mov_b64 s[14:15], -1
	s_waitcnt lgkmcnt(0)
	s_bitcmp1_b32 s13, 0
	s_cselect_b64 s[8:9], -1, 0
	s_xor_b64 s[10:11], s[8:9], -1
	s_and_b64 vcc, exec, s[10:11]
                                        ; implicit-def: $sgpr13
	s_cbranch_vccnz .LBB74_4
; %bb.1:
	s_load_dwordx2 s[8:9], s[0:1], 0x50
	s_andn2_b64 vcc, exec, s[14:15]
	s_cbranch_vccz .LBB74_5
.LBB74_2:
	s_and_b64 vcc, exec, s[10:11]
	s_cbranch_vccz .LBB74_6
.LBB74_3:
	s_waitcnt lgkmcnt(0)
	s_load_dword s20, s[8:9], 0x0
	s_cbranch_execz .LBB74_7
	s_branch .LBB74_8
.LBB74_4:
	s_load_dword s13, s[4:5], 0x0
	s_load_dwordx2 s[8:9], s[0:1], 0x50
	s_cbranch_execnz .LBB74_2
.LBB74_5:
	s_waitcnt lgkmcnt(0)
	s_mov_b32 s13, s4
	s_and_b64 vcc, exec, s[10:11]
	s_cbranch_vccnz .LBB74_3
.LBB74_6:
                                        ; implicit-def: $sgpr20
.LBB74_7:
	s_waitcnt lgkmcnt(0)
	s_mov_b32 s20, s8
.LBB74_8:
	s_waitcnt lgkmcnt(0)
	s_cmp_lg_u32 s13, 0
	s_cselect_b64 s[4:5], -1, 0
	s_cmp_lg_u32 s20, 1
	s_cselect_b64 s[8:9], -1, 0
	s_or_b64 s[4:5], s[4:5], s[8:9]
	s_andn2_b64 vcc, exec, s[4:5]
	s_cbranch_vccnz .LBB74_14
; %bb.9:
	s_load_dwordx2 s[4:5], s[0:1], 0x20
	v_lshrrev_b32_e32 v1, 6, v0
	v_lshl_or_b32 v4, s2, 2, v1
	v_mov_b32_e32 v5, 0
	s_mov_b64 s[2:3], 0
	s_waitcnt lgkmcnt(0)
	s_cmp_lg_u64 s[4:5], 0
	s_cbranch_scc0 .LBB74_15
; %bb.10:
	v_cmp_gt_i64_e32 vcc, s[6:7], v[4:5]
                                        ; implicit-def: $vgpr2_vgpr3
	s_and_saveexec_b64 s[6:7], vcc
	s_xor_b64 s[6:7], exec, s[6:7]
                                        ; implicit-def: $sgpr14_sgpr15
	s_cbranch_execz .LBB74_12
; %bb.11:
	v_lshl_add_u64 v[2:3], v[4:5], 3, s[4:5]
	global_load_dwordx2 v[2:3], v[2:3], off
	s_mov_b64 s[2:3], exec
	s_mov_b32 s15, 0
	s_waitcnt vmcnt(0)
	v_subrev_co_u32_e32 v2, vcc, s12, v2
	s_nop 1
	v_subbrev_co_u32_e32 v3, vcc, 0, v3, vcc
.LBB74_12:
	s_or_b64 exec, exec, s[6:7]
.LBB74_13:
	s_and_saveexec_b64 s[4:5], s[2:3]
	s_cbranch_execnz .LBB74_19
.LBB74_14:
	s_endpgm
.LBB74_15:
                                        ; implicit-def: $vgpr2_vgpr3
                                        ; implicit-def: $sgpr14_sgpr15
	s_cbranch_execz .LBB74_13
; %bb.16:
	s_load_dwordx2 s[4:5], s[0:1], 0x0
                                        ; implicit-def: $vgpr2_vgpr3
	s_waitcnt lgkmcnt(0)
	v_cmp_gt_i64_e32 vcc, s[4:5], v[4:5]
	s_and_saveexec_b64 s[4:5], vcc
                                        ; implicit-def: $sgpr14_sgpr15
; %bb.17:
	s_mov_b32 s15, 0
	s_or_b64 s[2:3], s[2:3], exec
	v_mov_b64_e32 v[2:3], v[4:5]
; %bb.18:
	s_or_b64 exec, exec, s[4:5]
	s_and_saveexec_b64 s[4:5], s[2:3]
	s_cbranch_execz .LBB74_14
.LBB74_19:
	s_load_dwordx8 s[4:11], s[0:1], 0x28
	v_lshlrev_b64 v[4:5], 3, v[2:3]
	v_mov_b32_e32 v10, s15
	v_and_b32_e32 v0, 63, v0
	v_mov_b32_e32 v1, 0
	s_waitcnt lgkmcnt(0)
	v_lshl_add_u64 v[6:7], s[4:5], 0, v[4:5]
	s_cmp_eq_u64 s[6:7], 0
	global_load_dwordx2 v[8:9], v[6:7], off
	v_lshl_add_u64 v[4:5], s[6:7], 0, v[4:5]
	v_lshl_add_u64 v[6:7], v[6:7], 0, 8
	s_cselect_b64 vcc, -1, 0
	v_cndmask_b32_e32 v5, v5, v7, vcc
	v_cndmask_b32_e32 v4, v4, v6, vcc
	global_load_dwordx2 v[6:7], v[4:5], off
	s_load_dword s2, s[0:1], 0x8
	s_load_dwordx2 s[4:5], s[0:1], 0x48
	s_waitcnt lgkmcnt(0)
	s_cmp_eq_u32 s2, 1
	s_waitcnt vmcnt(1)
	v_subrev_co_u32_e32 v4, vcc, s12, v8
	s_nop 1
	v_subb_co_u32_e32 v5, vcc, v9, v10, vcc
	v_lshl_add_u64 v[4:5], v[4:5], 0, v[0:1]
	v_mad_u64_u32 v[8:9], s[2:3], v4, 9, s[10:11]
	s_waitcnt vmcnt(0)
	v_subrev_co_u32_e32 v6, vcc, s12, v6
	s_nop 1
	v_subb_co_u32_e32 v7, vcc, v7, v10, vcc
	v_mov_b32_e32 v10, v9
	v_mad_u64_u32 v[10:11], s[2:3], v5, 9, v[10:11]
	v_mov_b32_e32 v9, v10
	v_cmp_lt_i64_e64 s[2:3], v[4:5], v[6:7]
	s_cbranch_scc1 .LBB74_25
; %bb.20:
	v_mov_b32_e32 v17, v1
	v_mov_b32_e32 v16, v1
	s_and_saveexec_b64 s[6:7], s[2:3]
	s_cbranch_execz .LBB74_24
; %bb.21:
	v_mov_b32_e32 v16, 0
	v_lshl_add_u64 v[10:11], v[4:5], 3, s[8:9]
	s_mov_b64 s[10:11], 0
	v_mov_b32_e32 v18, s15
	s_mov_b32 s14, 0xc0c0401
	s_mov_b32 s21, 0xc0c0201
	;; [unrolled: 1-line block ×6, first 2 shown]
	s_mov_b64 s[16:17], 0x240
	s_mov_b64 s[18:19], 0x200
	v_mov_b64_e32 v[12:13], v[8:9]
	v_mov_b64_e32 v[14:15], v[4:5]
	v_mov_b32_e32 v1, v16
	v_mov_b32_e32 v17, 0
.LBB74_22:                              ; =>This Inner Loop Header: Depth=1
	global_load_dwordx2 v[20:21], v[10:11], off
	global_load_sbyte v19, v[12:13], off offset:8
	global_load_dwordx2 v[22:23], v[12:13], off
	v_lshl_add_u64 v[14:15], v[14:15], 0, 64
	v_lshl_add_u64 v[12:13], v[12:13], 0, s[16:17]
	;; [unrolled: 1-line block ×3, first 2 shown]
	s_waitcnt vmcnt(2)
	v_subrev_co_u32_e32 v20, vcc, s12, v20
	s_nop 1
	v_subb_co_u32_e32 v25, vcc, v21, v18, vcc
	v_mad_u64_u32 v[20:21], s[26:27], v20, 3, s[4:5]
	v_mov_b32_e32 v24, v21
	v_mad_u64_u32 v[24:25], s[26:27], v25, 3, v[24:25]
	v_mov_b32_e32 v21, v24
	global_load_ushort v24, v[20:21], off
	global_load_sbyte v25, v[20:21], off offset:2
	s_waitcnt vmcnt(2)
	v_bfe_i32 v20, v22, 0, 8
	v_perm_b32 v21, v22, v22, s21
	v_perm_b32 v26, v23, v22, s22
	;; [unrolled: 1-line block ×4, first 2 shown]
	v_or_b32_e32 v19, v19, v22
	v_cmp_ge_i64_e32 vcc, v[14:15], v[6:7]
	s_or_b64 s[10:11], vcc, s[10:11]
	s_waitcnt vmcnt(1)
	v_bfe_i32 v22, v24, 0, 8
	s_waitcnt vmcnt(0)
	v_perm_b32 v23, v25, v24, s14
	v_perm_b32 v24, v25, v24, s23
	v_mad_i32_i24 v17, v22, v20, v17
	v_dot4c_i32_i8_e32 v1, v26, v24
	v_dot4c_i32_i8_e32 v16, v19, v24
	;; [unrolled: 1-line block ×3, first 2 shown]
	s_andn2_b64 exec, exec, s[10:11]
	s_cbranch_execnz .LBB74_22
; %bb.23:
	s_or_b64 exec, exec, s[10:11]
.LBB74_24:
	s_or_b64 exec, exec, s[6:7]
	s_cbranch_execz .LBB74_26
	s_branch .LBB74_31
.LBB74_25:
                                        ; implicit-def: $vgpr17
                                        ; implicit-def: $vgpr16
.LBB74_26:
	v_mov_b32_e32 v1, 0
	v_mov_b32_e32 v17, 0
	;; [unrolled: 1-line block ×3, first 2 shown]
	s_and_saveexec_b64 s[6:7], s[2:3]
	s_cbranch_execz .LBB74_30
; %bb.27:
	v_mov_b32_e32 v16, 0
	v_lshl_add_u64 v[10:11], v[4:5], 3, s[8:9]
	s_mov_b64 s[2:3], 0
	v_mov_b32_e32 v12, s15
	s_mov_b32 s14, 0xc0c0403
	s_mov_b32 s15, 0xc0c0601
	;; [unrolled: 1-line block ×5, first 2 shown]
	s_mov_b64 s[8:9], 0x240
	s_mov_b64 s[10:11], 0x200
	v_mov_b32_e32 v1, v16
	v_mov_b32_e32 v17, 0
.LBB74_28:                              ; =>This Inner Loop Header: Depth=1
	global_load_dwordx2 v[14:15], v[10:11], off
	global_load_sbyte v13, v[8:9], off offset:8
	global_load_dwordx2 v[18:19], v[8:9], off
	v_lshl_add_u64 v[4:5], v[4:5], 0, 64
	v_lshl_add_u64 v[8:9], v[8:9], 0, s[8:9]
	;; [unrolled: 1-line block ×3, first 2 shown]
	s_waitcnt vmcnt(2)
	v_subrev_co_u32_e32 v14, vcc, s12, v14
	s_nop 1
	v_subb_co_u32_e32 v21, vcc, v15, v12, vcc
	v_mad_u64_u32 v[14:15], s[22:23], v14, 3, s[4:5]
	v_mov_b32_e32 v20, v15
	v_mad_u64_u32 v[20:21], s[22:23], v21, 3, v[20:21]
	v_mov_b32_e32 v15, v20
	global_load_ushort v20, v[14:15], off
	global_load_sbyte v21, v[14:15], off offset:2
	s_waitcnt vmcnt(2)
	v_bfe_i32 v14, v18, 0, 8
	v_cmp_ge_i64_e32 vcc, v[4:5], v[6:7]
	v_perm_b32 v15, v19, v18, s16
	v_perm_b32 v13, v13, v18, s18
	s_or_b64 s[2:3], vcc, s[2:3]
	s_waitcnt vmcnt(1)
	v_bfe_i32 v22, v20, 0, 8
	s_waitcnt vmcnt(0)
	v_perm_b32 v18, v21, v18, s14
	v_perm_b32 v19, v19, v20, s15
	;; [unrolled: 1-line block ×3, first 2 shown]
	v_mad_i32_i24 v17, v22, v14, v17
	v_dot4c_i32_i8_e32 v1, v15, v20
	v_dot4c_i32_i8_e32 v16, v13, v20
	;; [unrolled: 1-line block ×3, first 2 shown]
	s_andn2_b64 exec, exec, s[2:3]
	s_cbranch_execnz .LBB74_28
; %bb.29:
	s_or_b64 exec, exec, s[2:3]
.LBB74_30:
	s_or_b64 exec, exec, s[6:7]
.LBB74_31:
	v_mov_b32_dpp v4, v17 row_shr:1 row_mask:0xf bank_mask:0xf
	v_mov_b32_dpp v5, v1 row_shr:1 row_mask:0xf bank_mask:0xf
	v_mov_b32_dpp v7, v16 row_shr:1 row_mask:0xf bank_mask:0xf
	v_add_u32_e32 v1, v5, v1
	v_add_u32_e32 v4, v4, v17
	v_add_u32_e32 v7, v7, v16
	v_mov_b32_dpp v6, v1 row_shr:2 row_mask:0xf bank_mask:0xf
	v_mov_b32_dpp v5, v4 row_shr:2 row_mask:0xf bank_mask:0xf
	v_mov_b32_dpp v8, v7 row_shr:2 row_mask:0xf bank_mask:0xf
	v_add_u32_e32 v1, v1, v6
	v_add_u32_e32 v4, v4, v5
	v_add_u32_e32 v7, v7, v8
	;; [unrolled: 6-line block ×4, first 2 shown]
	v_mov_b32_dpp v6, v1 row_bcast:15 row_mask:0xa bank_mask:0xf
	v_mov_b32_dpp v5, v4 row_bcast:15 row_mask:0xa bank_mask:0xf
	;; [unrolled: 1-line block ×3, first 2 shown]
	v_add_u32_e32 v1, v1, v6
	v_add_u32_e32 v4, v4, v5
	;; [unrolled: 1-line block ×3, first 2 shown]
	v_mov_b32_dpp v6, v1 row_bcast:31 row_mask:0xc bank_mask:0xf
	v_mov_b32_dpp v5, v4 row_bcast:31 row_mask:0xc bank_mask:0xf
	;; [unrolled: 1-line block ×3, first 2 shown]
	v_cmp_eq_u32_e32 vcc, 63, v0
	s_and_b64 exec, exec, vcc
	s_cbranch_execz .LBB74_14
; %bb.32:
	s_load_dwordx2 s[0:1], s[0:1], 0x58
	v_add_u32_e32 v1, v1, v6
	v_add_u32_e32 v0, v4, v5
	;; [unrolled: 1-line block ×3, first 2 shown]
	s_cmp_eq_u32 s20, 0
	v_mul_lo_u32 v4, v4, s13
	v_mul_lo_u32 v0, v0, s13
	;; [unrolled: 1-line block ×3, first 2 shown]
	s_cbranch_scc1 .LBB74_34
; %bb.33:
	s_waitcnt lgkmcnt(0)
	v_mad_u64_u32 v[12:13], s[2:3], v2, 12, s[0:1]
	v_mov_b32_e32 v8, v13
	v_mad_u64_u32 v[8:9], s[2:3], v3, 12, v[8:9]
	v_mov_b32_e32 v13, v8
	global_load_dwordx3 v[8:10], v[12:13], off
	s_waitcnt vmcnt(0)
	v_mad_u64_u32 v[14:15], s[2:3], v9, s20, v[6:7]
	v_mad_u64_u32 v[8:9], s[2:3], v8, s20, v[0:1]
	;; [unrolled: 1-line block ×3, first 2 shown]
	v_mov_b32_e32 v9, v14
	global_store_dwordx3 v[12:13], v[8:10], off
	s_cbranch_execnz .LBB74_14
	s_branch .LBB74_35
.LBB74_34:
.LBB74_35:
	s_waitcnt lgkmcnt(0)
	v_mad_u64_u32 v[8:9], s[0:1], v2, 12, s[0:1]
	v_mov_b32_e32 v2, v9
	v_mad_u64_u32 v[2:3], s[0:1], v3, 12, v[2:3]
	v_mov_b32_e32 v9, v2
	v_mov_b32_e32 v1, v6
	;; [unrolled: 1-line block ×3, first 2 shown]
	global_store_dwordx3 v[8:9], v[0:2], off
	s_endpgm
	.section	.rodata,"a",@progbits
	.p2align	6, 0x0
	.amdhsa_kernel _ZN9rocsparseL18bsrxmvn_3x3_kernelILj256ELj64EillaaiEEvT3_20rocsparse_direction_NS_24const_host_device_scalarIT1_EES1_PKS1_PKT2_SA_S7_PKT4_PKT5_S5_PT6_21rocsparse_index_base_b
		.amdhsa_group_segment_fixed_size 0
		.amdhsa_private_segment_fixed_size 0
		.amdhsa_kernarg_size 104
		.amdhsa_user_sgpr_count 2
		.amdhsa_user_sgpr_dispatch_ptr 0
		.amdhsa_user_sgpr_queue_ptr 0
		.amdhsa_user_sgpr_kernarg_segment_ptr 1
		.amdhsa_user_sgpr_dispatch_id 0
		.amdhsa_user_sgpr_kernarg_preload_length 0
		.amdhsa_user_sgpr_kernarg_preload_offset 0
		.amdhsa_user_sgpr_private_segment_size 0
		.amdhsa_uses_dynamic_stack 0
		.amdhsa_enable_private_segment 0
		.amdhsa_system_sgpr_workgroup_id_x 1
		.amdhsa_system_sgpr_workgroup_id_y 0
		.amdhsa_system_sgpr_workgroup_id_z 0
		.amdhsa_system_sgpr_workgroup_info 0
		.amdhsa_system_vgpr_workitem_id 0
		.amdhsa_next_free_vgpr 27
		.amdhsa_next_free_sgpr 28
		.amdhsa_accum_offset 28
		.amdhsa_reserve_vcc 1
		.amdhsa_float_round_mode_32 0
		.amdhsa_float_round_mode_16_64 0
		.amdhsa_float_denorm_mode_32 3
		.amdhsa_float_denorm_mode_16_64 3
		.amdhsa_dx10_clamp 1
		.amdhsa_ieee_mode 1
		.amdhsa_fp16_overflow 0
		.amdhsa_tg_split 0
		.amdhsa_exception_fp_ieee_invalid_op 0
		.amdhsa_exception_fp_denorm_src 0
		.amdhsa_exception_fp_ieee_div_zero 0
		.amdhsa_exception_fp_ieee_overflow 0
		.amdhsa_exception_fp_ieee_underflow 0
		.amdhsa_exception_fp_ieee_inexact 0
		.amdhsa_exception_int_div_zero 0
	.end_amdhsa_kernel
	.section	.text._ZN9rocsparseL18bsrxmvn_3x3_kernelILj256ELj64EillaaiEEvT3_20rocsparse_direction_NS_24const_host_device_scalarIT1_EES1_PKS1_PKT2_SA_S7_PKT4_PKT5_S5_PT6_21rocsparse_index_base_b,"axG",@progbits,_ZN9rocsparseL18bsrxmvn_3x3_kernelILj256ELj64EillaaiEEvT3_20rocsparse_direction_NS_24const_host_device_scalarIT1_EES1_PKS1_PKT2_SA_S7_PKT4_PKT5_S5_PT6_21rocsparse_index_base_b,comdat
.Lfunc_end74:
	.size	_ZN9rocsparseL18bsrxmvn_3x3_kernelILj256ELj64EillaaiEEvT3_20rocsparse_direction_NS_24const_host_device_scalarIT1_EES1_PKS1_PKT2_SA_S7_PKT4_PKT5_S5_PT6_21rocsparse_index_base_b, .Lfunc_end74-_ZN9rocsparseL18bsrxmvn_3x3_kernelILj256ELj64EillaaiEEvT3_20rocsparse_direction_NS_24const_host_device_scalarIT1_EES1_PKS1_PKT2_SA_S7_PKT4_PKT5_S5_PT6_21rocsparse_index_base_b
                                        ; -- End function
	.section	.AMDGPU.csdata,"",@progbits
; Kernel info:
; codeLenInByte = 1584
; NumSgprs: 34
; NumVgprs: 27
; NumAgprs: 0
; TotalNumVgprs: 27
; ScratchSize: 0
; MemoryBound: 0
; FloatMode: 240
; IeeeMode: 1
; LDSByteSize: 0 bytes/workgroup (compile time only)
; SGPRBlocks: 4
; VGPRBlocks: 3
; NumSGPRsForWavesPerEU: 34
; NumVGPRsForWavesPerEU: 27
; AccumOffset: 28
; Occupancy: 8
; WaveLimiterHint : 1
; COMPUTE_PGM_RSRC2:SCRATCH_EN: 0
; COMPUTE_PGM_RSRC2:USER_SGPR: 2
; COMPUTE_PGM_RSRC2:TRAP_HANDLER: 0
; COMPUTE_PGM_RSRC2:TGID_X_EN: 1
; COMPUTE_PGM_RSRC2:TGID_Y_EN: 0
; COMPUTE_PGM_RSRC2:TGID_Z_EN: 0
; COMPUTE_PGM_RSRC2:TIDIG_COMP_CNT: 0
; COMPUTE_PGM_RSRC3_GFX90A:ACCUM_OFFSET: 6
; COMPUTE_PGM_RSRC3_GFX90A:TG_SPLIT: 0
	.section	.text._ZN9rocsparseL18bsrxmvn_3x3_kernelILj256ELj4EfiiaafEEvT3_20rocsparse_direction_NS_24const_host_device_scalarIT1_EES1_PKS1_PKT2_SA_S7_PKT4_PKT5_S5_PT6_21rocsparse_index_base_b,"axG",@progbits,_ZN9rocsparseL18bsrxmvn_3x3_kernelILj256ELj4EfiiaafEEvT3_20rocsparse_direction_NS_24const_host_device_scalarIT1_EES1_PKS1_PKT2_SA_S7_PKT4_PKT5_S5_PT6_21rocsparse_index_base_b,comdat
	.globl	_ZN9rocsparseL18bsrxmvn_3x3_kernelILj256ELj4EfiiaafEEvT3_20rocsparse_direction_NS_24const_host_device_scalarIT1_EES1_PKS1_PKT2_SA_S7_PKT4_PKT5_S5_PT6_21rocsparse_index_base_b ; -- Begin function _ZN9rocsparseL18bsrxmvn_3x3_kernelILj256ELj4EfiiaafEEvT3_20rocsparse_direction_NS_24const_host_device_scalarIT1_EES1_PKS1_PKT2_SA_S7_PKT4_PKT5_S5_PT6_21rocsparse_index_base_b
	.p2align	8
	.type	_ZN9rocsparseL18bsrxmvn_3x3_kernelILj256ELj4EfiiaafEEvT3_20rocsparse_direction_NS_24const_host_device_scalarIT1_EES1_PKS1_PKT2_SA_S7_PKT4_PKT5_S5_PT6_21rocsparse_index_base_b,@function
_ZN9rocsparseL18bsrxmvn_3x3_kernelILj256ELj4EfiiaafEEvT3_20rocsparse_direction_NS_24const_host_device_scalarIT1_EES1_PKS1_PKT2_SA_S7_PKT4_PKT5_S5_PT6_21rocsparse_index_base_b: ; @_ZN9rocsparseL18bsrxmvn_3x3_kernelILj256ELj4EfiiaafEEvT3_20rocsparse_direction_NS_24const_host_device_scalarIT1_EES1_PKS1_PKT2_SA_S7_PKT4_PKT5_S5_PT6_21rocsparse_index_base_b
; %bb.0:
	s_load_dwordx2 s[16:17], s[0:1], 0x58
	s_load_dwordx2 s[12:13], s[0:1], 0x8
	;; [unrolled: 1-line block ×3, first 2 shown]
	s_waitcnt lgkmcnt(0)
	s_bitcmp1_b32 s17, 0
	s_cselect_b64 s[6:7], -1, 0
	s_xor_b64 s[4:5], s[6:7], -1
	s_and_b64 vcc, exec, s[6:7]
	s_cbranch_vccnz .LBB75_2
; %bb.1:
	s_load_dword s12, s[12:13], 0x0
.LBB75_2:
	s_andn2_b64 vcc, exec, s[4:5]
	s_cbranch_vccnz .LBB75_4
; %bb.3:
	s_load_dword s14, s[14:15], 0x0
.LBB75_4:
	s_waitcnt lgkmcnt(0)
	v_cmp_neq_f32_e64 s[4:5], s12, 0
	v_cmp_neq_f32_e64 s[6:7], s14, 1.0
	s_or_b64 s[4:5], s[4:5], s[6:7]
	s_andn2_b64 vcc, exec, s[4:5]
	s_cbranch_vccnz .LBB75_10
; %bb.5:
	s_load_dwordx2 s[4:5], s[0:1], 0x18
	s_load_dwordx2 s[18:19], s[0:1], 0x0
	v_lshrrev_b32_e32 v1, 2, v0
	v_lshl_or_b32 v2, s2, 6, v1
	s_mov_b64 s[2:3], 0
	s_waitcnt lgkmcnt(0)
	s_cmp_lg_u64 s[4:5], 0
	s_cbranch_scc0 .LBB75_11
; %bb.6:
	s_load_dword s6, s[0:1], 0x10
                                        ; implicit-def: $vgpr1
	s_waitcnt lgkmcnt(0)
	v_cmp_gt_i32_e32 vcc, s6, v2
	s_and_saveexec_b64 s[6:7], vcc
	s_xor_b64 s[6:7], exec, s[6:7]
	s_cbranch_execz .LBB75_8
; %bb.7:
	v_ashrrev_i32_e32 v3, 31, v2
	v_lshl_add_u64 v[4:5], v[2:3], 2, s[4:5]
	global_load_dword v1, v[4:5], off
	s_mov_b64 s[2:3], exec
	s_waitcnt vmcnt(0)
	v_subrev_u32_e32 v1, s16, v1
.LBB75_8:
	s_or_b64 exec, exec, s[6:7]
	s_branch .LBB75_12
.LBB75_9:
	v_cmp_gt_i32_e32 vcc, s18, v2
	s_andn2_b64 s[2:3], s[2:3], exec
	s_and_b64 s[4:5], vcc, exec
	s_or_b64 s[2:3], s[2:3], s[4:5]
	s_and_saveexec_b64 s[4:5], s[2:3]
	s_cbranch_execnz .LBB75_13
.LBB75_10:
	s_endpgm
.LBB75_11:
                                        ; implicit-def: $vgpr1
	s_cbranch_execnz .LBB75_9
.LBB75_12:
	v_mov_b32_e32 v2, v1
	s_and_saveexec_b64 s[4:5], s[2:3]
	s_cbranch_execz .LBB75_10
.LBB75_13:
	s_load_dwordx8 s[4:11], s[0:1], 0x20
	v_ashrrev_i32_e32 v3, 31, v2
	v_lshlrev_b64 v[4:5], 2, v[2:3]
	v_and_b32_e32 v3, 3, v0
	s_waitcnt lgkmcnt(0)
	v_lshl_add_u64 v[6:7], s[4:5], 0, v[4:5]
	s_cmp_eq_u64 s[6:7], 0
	global_load_dword v1, v[6:7], off
	v_lshl_add_u64 v[6:7], v[6:7], 0, 4
	v_lshl_add_u64 v[4:5], s[6:7], 0, v[4:5]
	s_cselect_b64 vcc, -1, 0
	v_cndmask_b32_e32 v5, v5, v7, vcc
	v_cndmask_b32_e32 v4, v4, v6, vcc
	global_load_dword v4, v[4:5], off
	s_load_dwordx2 s[4:5], s[0:1], 0x40
	s_cmp_eq_u32 s19, 1
	s_waitcnt vmcnt(1)
	v_subrev_u32_e32 v0, s16, v1
	v_add_u32_e32 v0, v0, v3
	s_waitcnt vmcnt(0)
	v_subrev_u32_e32 v13, s16, v4
	v_mad_i64_i32 v[4:5], s[2:3], v0, 9, s[10:11]
	v_cmp_lt_i32_e64 s[2:3], v0, v13
	s_cbranch_scc1 .LBB75_19
; %bb.14:
	v_mov_b32_e32 v7, 0
	v_mov_b32_e32 v6, v7
	v_mov_b32_e32 v12, v7
	s_and_saveexec_b64 s[6:7], s[2:3]
	s_cbranch_execz .LBB75_18
; %bb.15:
	v_mov_b32_e32 v12, 0
	s_mov_b64 s[10:11], 0
	v_mov_b64_e32 v[8:9], v[4:5]
	v_mov_b32_e32 v10, v0
	v_mov_b32_e32 v6, 0
	;; [unrolled: 1-line block ×3, first 2 shown]
.LBB75_16:                              ; =>This Inner Loop Header: Depth=1
	v_ashrrev_i32_e32 v11, 31, v10
	v_lshl_add_u64 v[14:15], v[10:11], 2, s[8:9]
	global_load_dword v1, v[14:15], off
	global_load_dwordx2 v[16:17], v[8:9], off
	global_load_sbyte v11, v[8:9], off offset:8
	v_add_u32_e32 v10, 4, v10
	v_cmp_ge_i32_e32 vcc, v10, v13
	v_lshl_add_u64 v[8:9], v[8:9], 0, 36
	s_or_b64 s[10:11], vcc, s[10:11]
	s_waitcnt vmcnt(2)
	v_subrev_u32_e32 v1, s16, v1
	v_lshl_add_u32 v14, v1, 1, v1
	v_ashrrev_i32_e32 v15, 31, v14
	s_waitcnt lgkmcnt(0)
	v_lshl_add_u64 v[14:15], s[4:5], 0, v[14:15]
	global_load_ushort v1, v[14:15], off
	global_load_sbyte v20, v[14:15], off offset:2
	s_waitcnt vmcnt(3)
	v_lshrrev_b32_e32 v21, 8, v17
	v_lshrrev_b32_e32 v22, 16, v17
	v_bfe_i32 v14, v16, 0, 8
	v_lshrrev_b32_e32 v15, 8, v16
	v_lshrrev_b32_e32 v18, 16, v16
	;; [unrolled: 1-line block ×3, first 2 shown]
	v_bfe_i32 v19, v17, 0, 8
	v_lshrrev_b32_e32 v17, 24, v17
	v_bfe_i32 v21, v21, 0, 8
	v_bfe_i32 v22, v22, 0, 8
	;; [unrolled: 1-line block ×5, first 2 shown]
	v_cvt_f32_i32_sdwa v17, sext(v19) dst_sel:DWORD dst_unused:UNUSED_PAD src0_sel:WORD_0
	v_cvt_f32_i32_sdwa v19, sext(v21) dst_sel:DWORD dst_unused:UNUSED_PAD src0_sel:WORD_0
	;; [unrolled: 1-line block ×7, first 2 shown]
	v_bfe_i32 v18, v18, 0, 8
	s_waitcnt vmcnt(2)
	v_cvt_f32_i32_e32 v11, v11
	v_cvt_f32_i32_sdwa v18, sext(v18) dst_sel:DWORD dst_unused:UNUSED_PAD src0_sel:WORD_0
	s_waitcnt vmcnt(1)
	v_bfe_i32 v22, v1, 0, 8
	v_lshrrev_b32_e32 v1, 8, v1
	v_cvt_f32_i32_sdwa v22, sext(v22) dst_sel:DWORD dst_unused:UNUSED_PAD src0_sel:WORD_0
	v_bfe_i32 v1, v1, 0, 8
	v_cvt_f32_i32_sdwa v24, sext(v1) dst_sel:DWORD dst_unused:UNUSED_PAD src0_sel:WORD_0
	s_waitcnt vmcnt(0)
	v_cvt_f32_i32_e32 v20, v20
	v_pk_fma_f32 v[6:7], v[14:15], v[22:23], v[6:7] op_sel_hi:[1,0,1]
	v_fmac_f32_e32 v12, v21, v22
	v_pk_fma_f32 v[6:7], v[16:17], v[24:25], v[6:7] op_sel_hi:[1,0,1]
	v_fmac_f32_e32 v12, v23, v24
	;; [unrolled: 2-line block ×3, first 2 shown]
	s_andn2_b64 exec, exec, s[10:11]
	s_cbranch_execnz .LBB75_16
; %bb.17:
	s_or_b64 exec, exec, s[10:11]
.LBB75_18:
	s_or_b64 exec, exec, s[6:7]
	s_cbranch_execz .LBB75_20
	s_branch .LBB75_25
.LBB75_19:
                                        ; implicit-def: $vgpr7
                                        ; implicit-def: $vgpr12
.LBB75_20:
	v_mov_b32_e32 v7, 0
	v_mov_b32_e32 v6, v7
	;; [unrolled: 1-line block ×3, first 2 shown]
	s_and_saveexec_b64 s[6:7], s[2:3]
	s_cbranch_execz .LBB75_24
; %bb.21:
	v_mov_b32_e32 v12, 0
	s_mov_b64 s[2:3], 0
	v_mov_b32_e32 v6, 0
	v_mov_b32_e32 v7, v12
.LBB75_22:                              ; =>This Inner Loop Header: Depth=1
	v_ashrrev_i32_e32 v1, 31, v0
	v_lshl_add_u64 v[8:9], v[0:1], 2, s[8:9]
	global_load_dword v1, v[8:9], off
	global_load_dwordx2 v[10:11], v[4:5], off
	global_load_sbyte v14, v[4:5], off offset:8
	v_add_u32_e32 v0, 4, v0
	v_cmp_ge_i32_e32 vcc, v0, v13
	v_lshl_add_u64 v[4:5], v[4:5], 0, 36
	s_or_b64 s[2:3], vcc, s[2:3]
	s_waitcnt vmcnt(2)
	v_subrev_u32_e32 v1, s16, v1
	v_lshl_add_u32 v8, v1, 1, v1
	v_ashrrev_i32_e32 v9, 31, v8
	s_waitcnt lgkmcnt(0)
	v_lshl_add_u64 v[8:9], s[4:5], 0, v[8:9]
	global_load_ushort v1, v[8:9], off
	global_load_sbyte v16, v[8:9], off offset:2
	s_waitcnt vmcnt(3)
	v_lshrrev_b32_e32 v18, 8, v11
	v_lshrrev_b32_e32 v8, 8, v10
	;; [unrolled: 1-line block ×3, first 2 shown]
	v_bfe_i32 v18, v18, 0, 8
	v_bfe_i32 v9, v10, 0, 8
	v_lshrrev_b32_e32 v10, 24, v10
	v_bfe_i32 v17, v11, 0, 8
	v_lshrrev_b32_e32 v19, 16, v11
	v_lshrrev_b32_e32 v11, 24, v11
	s_waitcnt vmcnt(2)
	v_cvt_f32_i32_e32 v21, v14
	v_bfe_i32 v14, v8, 0, 8
	v_bfe_i32 v15, v15, 0, 8
	v_cvt_f32_i32_sdwa v22, sext(v18) dst_sel:DWORD dst_unused:UNUSED_PAD src0_sel:WORD_0
	v_bfe_i32 v10, v10, 0, 8
	v_bfe_i32 v20, v11, 0, 8
	v_cvt_f32_i32_sdwa v8, sext(v9) dst_sel:DWORD dst_unused:UNUSED_PAD src0_sel:WORD_0
	v_cvt_f32_i32_sdwa v11, sext(v17) dst_sel:DWORD dst_unused:UNUSED_PAD src0_sel:WORD_0
	;; [unrolled: 1-line block ×4, first 2 shown]
	v_bfe_i32 v19, v19, 0, 8
	v_cvt_f32_i32_sdwa v10, sext(v10) dst_sel:DWORD dst_unused:UNUSED_PAD src0_sel:WORD_0
	v_cvt_f32_i32_sdwa v15, sext(v20) dst_sel:DWORD dst_unused:UNUSED_PAD src0_sel:WORD_0
	;; [unrolled: 1-line block ×3, first 2 shown]
	s_waitcnt vmcnt(1)
	v_bfe_i32 v18, v1, 0, 8
	v_lshrrev_b32_e32 v1, 8, v1
	v_cvt_f32_i32_sdwa v18, sext(v18) dst_sel:DWORD dst_unused:UNUSED_PAD src0_sel:WORD_0
	v_bfe_i32 v1, v1, 0, 8
	v_cvt_f32_i32_sdwa v20, sext(v1) dst_sel:DWORD dst_unused:UNUSED_PAD src0_sel:WORD_0
	s_waitcnt vmcnt(0)
	v_cvt_f32_i32_e32 v16, v16
	v_fmac_f32_e32 v12, v17, v18
	v_pk_fma_f32 v[6:7], v[8:9], v[18:19], v[6:7] op_sel_hi:[1,0,1]
	v_fmac_f32_e32 v12, v22, v20
	v_pk_fma_f32 v[6:7], v[10:11], v[20:21], v[6:7] op_sel_hi:[1,0,1]
	;; [unrolled: 2-line block ×3, first 2 shown]
	s_andn2_b64 exec, exec, s[2:3]
	s_cbranch_execnz .LBB75_22
; %bb.23:
	s_or_b64 exec, exec, s[2:3]
.LBB75_24:
	s_or_b64 exec, exec, s[6:7]
.LBB75_25:
	v_mov_b32_dpp v0, v6 row_shr:1 row_mask:0xf bank_mask:0xf
	v_mov_b32_dpp v1, v7 row_shr:1 row_mask:0xf bank_mask:0xf
	v_pk_add_f32 v[0:1], v[6:7], v[0:1]
	v_mov_b32_dpp v6, v12 row_shr:1 row_mask:0xf bank_mask:0xf
	v_add_f32_e32 v6, v12, v6
	v_mov_b32_dpp v4, v0 row_shr:2 row_mask:0xf bank_mask:0xf
	v_mov_b32_dpp v5, v1 row_shr:2 row_mask:0xf bank_mask:0xf
	;; [unrolled: 1-line block ×3, first 2 shown]
	v_cmp_eq_u32_e32 vcc, 3, v3
	s_and_b64 exec, exec, vcc
	s_cbranch_execz .LBB75_10
; %bb.26:
	s_load_dwordx2 s[0:1], s[0:1], 0x50
	v_pk_add_f32 v[4:5], v[0:1], v[4:5]
	v_add_f32_e32 v0, v6, v7
	v_cmp_eq_f32_e64 s[2:3], s14, 0
	v_lshl_add_u32 v6, v2, 1, v2
	s_and_b64 vcc, exec, s[2:3]
	v_mul_f32_e32 v2, s12, v0
	v_ashrrev_i32_e32 v7, 31, v6
	s_cbranch_vccz .LBB75_28
; %bb.27:
	s_waitcnt lgkmcnt(0)
	v_lshl_add_u64 v[8:9], v[6:7], 2, s[0:1]
	v_pk_mul_f32 v[0:1], s[12:13], v[4:5] op_sel_hi:[0,1]
	global_store_dwordx3 v[8:9], v[0:2], off
	s_cbranch_execnz .LBB75_10
	s_branch .LBB75_29
.LBB75_28:
.LBB75_29:
	s_waitcnt lgkmcnt(0)
	v_lshl_add_u64 v[10:11], v[6:7], 2, s[0:1]
	global_load_dwordx3 v[6:8], v[10:11], off
	v_pk_mul_f32 v[0:1], s[12:13], v[4:5] op_sel_hi:[0,1]
	s_waitcnt vmcnt(0)
	v_pk_fma_f32 v[0:1], s[14:15], v[6:7], v[0:1] op_sel_hi:[0,1,1]
	v_fmac_f32_e32 v2, s14, v8
	global_store_dwordx3 v[10:11], v[0:2], off
	s_endpgm
	.section	.rodata,"a",@progbits
	.p2align	6, 0x0
	.amdhsa_kernel _ZN9rocsparseL18bsrxmvn_3x3_kernelILj256ELj4EfiiaafEEvT3_20rocsparse_direction_NS_24const_host_device_scalarIT1_EES1_PKS1_PKT2_SA_S7_PKT4_PKT5_S5_PT6_21rocsparse_index_base_b
		.amdhsa_group_segment_fixed_size 0
		.amdhsa_private_segment_fixed_size 0
		.amdhsa_kernarg_size 96
		.amdhsa_user_sgpr_count 2
		.amdhsa_user_sgpr_dispatch_ptr 0
		.amdhsa_user_sgpr_queue_ptr 0
		.amdhsa_user_sgpr_kernarg_segment_ptr 1
		.amdhsa_user_sgpr_dispatch_id 0
		.amdhsa_user_sgpr_kernarg_preload_length 0
		.amdhsa_user_sgpr_kernarg_preload_offset 0
		.amdhsa_user_sgpr_private_segment_size 0
		.amdhsa_uses_dynamic_stack 0
		.amdhsa_enable_private_segment 0
		.amdhsa_system_sgpr_workgroup_id_x 1
		.amdhsa_system_sgpr_workgroup_id_y 0
		.amdhsa_system_sgpr_workgroup_id_z 0
		.amdhsa_system_sgpr_workgroup_info 0
		.amdhsa_system_vgpr_workitem_id 0
		.amdhsa_next_free_vgpr 26
		.amdhsa_next_free_sgpr 20
		.amdhsa_accum_offset 28
		.amdhsa_reserve_vcc 1
		.amdhsa_float_round_mode_32 0
		.amdhsa_float_round_mode_16_64 0
		.amdhsa_float_denorm_mode_32 3
		.amdhsa_float_denorm_mode_16_64 3
		.amdhsa_dx10_clamp 1
		.amdhsa_ieee_mode 1
		.amdhsa_fp16_overflow 0
		.amdhsa_tg_split 0
		.amdhsa_exception_fp_ieee_invalid_op 0
		.amdhsa_exception_fp_denorm_src 0
		.amdhsa_exception_fp_ieee_div_zero 0
		.amdhsa_exception_fp_ieee_overflow 0
		.amdhsa_exception_fp_ieee_underflow 0
		.amdhsa_exception_fp_ieee_inexact 0
		.amdhsa_exception_int_div_zero 0
	.end_amdhsa_kernel
	.section	.text._ZN9rocsparseL18bsrxmvn_3x3_kernelILj256ELj4EfiiaafEEvT3_20rocsparse_direction_NS_24const_host_device_scalarIT1_EES1_PKS1_PKT2_SA_S7_PKT4_PKT5_S5_PT6_21rocsparse_index_base_b,"axG",@progbits,_ZN9rocsparseL18bsrxmvn_3x3_kernelILj256ELj4EfiiaafEEvT3_20rocsparse_direction_NS_24const_host_device_scalarIT1_EES1_PKS1_PKT2_SA_S7_PKT4_PKT5_S5_PT6_21rocsparse_index_base_b,comdat
.Lfunc_end75:
	.size	_ZN9rocsparseL18bsrxmvn_3x3_kernelILj256ELj4EfiiaafEEvT3_20rocsparse_direction_NS_24const_host_device_scalarIT1_EES1_PKS1_PKT2_SA_S7_PKT4_PKT5_S5_PT6_21rocsparse_index_base_b, .Lfunc_end75-_ZN9rocsparseL18bsrxmvn_3x3_kernelILj256ELj4EfiiaafEEvT3_20rocsparse_direction_NS_24const_host_device_scalarIT1_EES1_PKS1_PKT2_SA_S7_PKT4_PKT5_S5_PT6_21rocsparse_index_base_b
                                        ; -- End function
	.section	.AMDGPU.csdata,"",@progbits
; Kernel info:
; codeLenInByte = 1436
; NumSgprs: 26
; NumVgprs: 26
; NumAgprs: 0
; TotalNumVgprs: 26
; ScratchSize: 0
; MemoryBound: 0
; FloatMode: 240
; IeeeMode: 1
; LDSByteSize: 0 bytes/workgroup (compile time only)
; SGPRBlocks: 3
; VGPRBlocks: 3
; NumSGPRsForWavesPerEU: 26
; NumVGPRsForWavesPerEU: 26
; AccumOffset: 28
; Occupancy: 8
; WaveLimiterHint : 1
; COMPUTE_PGM_RSRC2:SCRATCH_EN: 0
; COMPUTE_PGM_RSRC2:USER_SGPR: 2
; COMPUTE_PGM_RSRC2:TRAP_HANDLER: 0
; COMPUTE_PGM_RSRC2:TGID_X_EN: 1
; COMPUTE_PGM_RSRC2:TGID_Y_EN: 0
; COMPUTE_PGM_RSRC2:TGID_Z_EN: 0
; COMPUTE_PGM_RSRC2:TIDIG_COMP_CNT: 0
; COMPUTE_PGM_RSRC3_GFX90A:ACCUM_OFFSET: 6
; COMPUTE_PGM_RSRC3_GFX90A:TG_SPLIT: 0
	.section	.text._ZN9rocsparseL18bsrxmvn_3x3_kernelILj256ELj8EfiiaafEEvT3_20rocsparse_direction_NS_24const_host_device_scalarIT1_EES1_PKS1_PKT2_SA_S7_PKT4_PKT5_S5_PT6_21rocsparse_index_base_b,"axG",@progbits,_ZN9rocsparseL18bsrxmvn_3x3_kernelILj256ELj8EfiiaafEEvT3_20rocsparse_direction_NS_24const_host_device_scalarIT1_EES1_PKS1_PKT2_SA_S7_PKT4_PKT5_S5_PT6_21rocsparse_index_base_b,comdat
	.globl	_ZN9rocsparseL18bsrxmvn_3x3_kernelILj256ELj8EfiiaafEEvT3_20rocsparse_direction_NS_24const_host_device_scalarIT1_EES1_PKS1_PKT2_SA_S7_PKT4_PKT5_S5_PT6_21rocsparse_index_base_b ; -- Begin function _ZN9rocsparseL18bsrxmvn_3x3_kernelILj256ELj8EfiiaafEEvT3_20rocsparse_direction_NS_24const_host_device_scalarIT1_EES1_PKS1_PKT2_SA_S7_PKT4_PKT5_S5_PT6_21rocsparse_index_base_b
	.p2align	8
	.type	_ZN9rocsparseL18bsrxmvn_3x3_kernelILj256ELj8EfiiaafEEvT3_20rocsparse_direction_NS_24const_host_device_scalarIT1_EES1_PKS1_PKT2_SA_S7_PKT4_PKT5_S5_PT6_21rocsparse_index_base_b,@function
_ZN9rocsparseL18bsrxmvn_3x3_kernelILj256ELj8EfiiaafEEvT3_20rocsparse_direction_NS_24const_host_device_scalarIT1_EES1_PKS1_PKT2_SA_S7_PKT4_PKT5_S5_PT6_21rocsparse_index_base_b: ; @_ZN9rocsparseL18bsrxmvn_3x3_kernelILj256ELj8EfiiaafEEvT3_20rocsparse_direction_NS_24const_host_device_scalarIT1_EES1_PKS1_PKT2_SA_S7_PKT4_PKT5_S5_PT6_21rocsparse_index_base_b
; %bb.0:
	s_load_dwordx2 s[16:17], s[0:1], 0x58
	s_load_dwordx2 s[12:13], s[0:1], 0x8
	;; [unrolled: 1-line block ×3, first 2 shown]
	s_waitcnt lgkmcnt(0)
	s_bitcmp1_b32 s17, 0
	s_cselect_b64 s[6:7], -1, 0
	s_xor_b64 s[4:5], s[6:7], -1
	s_and_b64 vcc, exec, s[6:7]
	s_cbranch_vccnz .LBB76_2
; %bb.1:
	s_load_dword s12, s[12:13], 0x0
.LBB76_2:
	s_andn2_b64 vcc, exec, s[4:5]
	s_cbranch_vccnz .LBB76_4
; %bb.3:
	s_load_dword s14, s[14:15], 0x0
.LBB76_4:
	s_waitcnt lgkmcnt(0)
	v_cmp_neq_f32_e64 s[4:5], s12, 0
	v_cmp_neq_f32_e64 s[6:7], s14, 1.0
	s_or_b64 s[4:5], s[4:5], s[6:7]
	s_andn2_b64 vcc, exec, s[4:5]
	s_cbranch_vccnz .LBB76_10
; %bb.5:
	s_load_dwordx2 s[4:5], s[0:1], 0x18
	s_load_dwordx2 s[18:19], s[0:1], 0x0
	v_lshrrev_b32_e32 v1, 3, v0
	v_lshl_or_b32 v2, s2, 5, v1
	s_mov_b64 s[2:3], 0
	s_waitcnt lgkmcnt(0)
	s_cmp_lg_u64 s[4:5], 0
	s_cbranch_scc0 .LBB76_11
; %bb.6:
	s_load_dword s6, s[0:1], 0x10
                                        ; implicit-def: $vgpr1
	s_waitcnt lgkmcnt(0)
	v_cmp_gt_i32_e32 vcc, s6, v2
	s_and_saveexec_b64 s[6:7], vcc
	s_xor_b64 s[6:7], exec, s[6:7]
	s_cbranch_execz .LBB76_8
; %bb.7:
	v_ashrrev_i32_e32 v3, 31, v2
	v_lshl_add_u64 v[4:5], v[2:3], 2, s[4:5]
	global_load_dword v1, v[4:5], off
	s_mov_b64 s[2:3], exec
	s_waitcnt vmcnt(0)
	v_subrev_u32_e32 v1, s16, v1
.LBB76_8:
	s_or_b64 exec, exec, s[6:7]
	s_branch .LBB76_12
.LBB76_9:
	v_cmp_gt_i32_e32 vcc, s18, v2
	s_andn2_b64 s[2:3], s[2:3], exec
	s_and_b64 s[4:5], vcc, exec
	s_or_b64 s[2:3], s[2:3], s[4:5]
	s_and_saveexec_b64 s[4:5], s[2:3]
	s_cbranch_execnz .LBB76_13
.LBB76_10:
	s_endpgm
.LBB76_11:
                                        ; implicit-def: $vgpr1
	s_cbranch_execnz .LBB76_9
.LBB76_12:
	v_mov_b32_e32 v2, v1
	s_and_saveexec_b64 s[4:5], s[2:3]
	s_cbranch_execz .LBB76_10
.LBB76_13:
	s_load_dwordx8 s[4:11], s[0:1], 0x20
	v_ashrrev_i32_e32 v3, 31, v2
	v_lshlrev_b64 v[4:5], 2, v[2:3]
	v_and_b32_e32 v3, 7, v0
	s_waitcnt lgkmcnt(0)
	v_lshl_add_u64 v[6:7], s[4:5], 0, v[4:5]
	s_cmp_eq_u64 s[6:7], 0
	global_load_dword v1, v[6:7], off
	v_lshl_add_u64 v[6:7], v[6:7], 0, 4
	v_lshl_add_u64 v[4:5], s[6:7], 0, v[4:5]
	s_cselect_b64 vcc, -1, 0
	v_cndmask_b32_e32 v5, v5, v7, vcc
	v_cndmask_b32_e32 v4, v4, v6, vcc
	global_load_dword v4, v[4:5], off
	s_load_dwordx2 s[4:5], s[0:1], 0x40
	s_cmp_eq_u32 s19, 1
	s_waitcnt vmcnt(1)
	v_subrev_u32_e32 v0, s16, v1
	v_add_u32_e32 v0, v0, v3
	s_waitcnt vmcnt(0)
	v_subrev_u32_e32 v13, s16, v4
	v_mad_i64_i32 v[4:5], s[2:3], v0, 9, s[10:11]
	v_cmp_lt_i32_e64 s[2:3], v0, v13
	s_cbranch_scc1 .LBB76_19
; %bb.14:
	v_mov_b32_e32 v7, 0
	v_mov_b32_e32 v6, v7
	;; [unrolled: 1-line block ×3, first 2 shown]
	s_and_saveexec_b64 s[6:7], s[2:3]
	s_cbranch_execz .LBB76_18
; %bb.15:
	v_mov_b32_e32 v12, 0
	s_mov_b64 s[10:11], 0
	s_mov_b64 s[18:19], 0x48
	v_mov_b64_e32 v[8:9], v[4:5]
	v_mov_b32_e32 v10, v0
	v_mov_b32_e32 v6, 0
	;; [unrolled: 1-line block ×3, first 2 shown]
.LBB76_16:                              ; =>This Inner Loop Header: Depth=1
	v_ashrrev_i32_e32 v11, 31, v10
	v_lshl_add_u64 v[14:15], v[10:11], 2, s[8:9]
	global_load_dword v1, v[14:15], off
	global_load_dwordx2 v[16:17], v[8:9], off
	global_load_sbyte v11, v[8:9], off offset:8
	v_add_u32_e32 v10, 8, v10
	v_cmp_ge_i32_e32 vcc, v10, v13
	v_lshl_add_u64 v[8:9], v[8:9], 0, s[18:19]
	s_or_b64 s[10:11], vcc, s[10:11]
	s_waitcnt vmcnt(2)
	v_subrev_u32_e32 v1, s16, v1
	v_lshl_add_u32 v14, v1, 1, v1
	v_ashrrev_i32_e32 v15, 31, v14
	s_waitcnt lgkmcnt(0)
	v_lshl_add_u64 v[14:15], s[4:5], 0, v[14:15]
	global_load_ushort v1, v[14:15], off
	global_load_sbyte v20, v[14:15], off offset:2
	s_waitcnt vmcnt(3)
	v_lshrrev_b32_e32 v21, 8, v17
	v_lshrrev_b32_e32 v22, 16, v17
	v_bfe_i32 v14, v16, 0, 8
	v_lshrrev_b32_e32 v15, 8, v16
	v_lshrrev_b32_e32 v18, 16, v16
	;; [unrolled: 1-line block ×3, first 2 shown]
	v_bfe_i32 v19, v17, 0, 8
	v_lshrrev_b32_e32 v17, 24, v17
	v_bfe_i32 v21, v21, 0, 8
	v_bfe_i32 v22, v22, 0, 8
	;; [unrolled: 1-line block ×5, first 2 shown]
	v_cvt_f32_i32_sdwa v17, sext(v19) dst_sel:DWORD dst_unused:UNUSED_PAD src0_sel:WORD_0
	v_cvt_f32_i32_sdwa v19, sext(v21) dst_sel:DWORD dst_unused:UNUSED_PAD src0_sel:WORD_0
	;; [unrolled: 1-line block ×7, first 2 shown]
	v_bfe_i32 v18, v18, 0, 8
	s_waitcnt vmcnt(2)
	v_cvt_f32_i32_e32 v11, v11
	v_cvt_f32_i32_sdwa v18, sext(v18) dst_sel:DWORD dst_unused:UNUSED_PAD src0_sel:WORD_0
	s_waitcnt vmcnt(1)
	v_bfe_i32 v22, v1, 0, 8
	v_lshrrev_b32_e32 v1, 8, v1
	v_cvt_f32_i32_sdwa v22, sext(v22) dst_sel:DWORD dst_unused:UNUSED_PAD src0_sel:WORD_0
	v_bfe_i32 v1, v1, 0, 8
	v_cvt_f32_i32_sdwa v24, sext(v1) dst_sel:DWORD dst_unused:UNUSED_PAD src0_sel:WORD_0
	s_waitcnt vmcnt(0)
	v_cvt_f32_i32_e32 v20, v20
	v_pk_fma_f32 v[6:7], v[14:15], v[22:23], v[6:7] op_sel_hi:[1,0,1]
	v_fmac_f32_e32 v12, v21, v22
	v_pk_fma_f32 v[6:7], v[16:17], v[24:25], v[6:7] op_sel_hi:[1,0,1]
	v_fmac_f32_e32 v12, v23, v24
	;; [unrolled: 2-line block ×3, first 2 shown]
	s_andn2_b64 exec, exec, s[10:11]
	s_cbranch_execnz .LBB76_16
; %bb.17:
	s_or_b64 exec, exec, s[10:11]
.LBB76_18:
	s_or_b64 exec, exec, s[6:7]
	s_cbranch_execz .LBB76_20
	s_branch .LBB76_25
.LBB76_19:
                                        ; implicit-def: $vgpr7
                                        ; implicit-def: $vgpr12
.LBB76_20:
	v_mov_b32_e32 v7, 0
	v_mov_b32_e32 v6, v7
	;; [unrolled: 1-line block ×3, first 2 shown]
	s_and_saveexec_b64 s[6:7], s[2:3]
	s_cbranch_execz .LBB76_24
; %bb.21:
	v_mov_b32_e32 v12, 0
	s_mov_b64 s[2:3], 0
	s_mov_b64 s[10:11], 0x48
	v_mov_b32_e32 v6, 0
	v_mov_b32_e32 v7, v12
.LBB76_22:                              ; =>This Inner Loop Header: Depth=1
	v_ashrrev_i32_e32 v1, 31, v0
	v_lshl_add_u64 v[8:9], v[0:1], 2, s[8:9]
	global_load_dword v1, v[8:9], off
	global_load_dwordx2 v[10:11], v[4:5], off
	global_load_sbyte v14, v[4:5], off offset:8
	v_add_u32_e32 v0, 8, v0
	v_cmp_ge_i32_e32 vcc, v0, v13
	v_lshl_add_u64 v[4:5], v[4:5], 0, s[10:11]
	s_or_b64 s[2:3], vcc, s[2:3]
	s_waitcnt vmcnt(2)
	v_subrev_u32_e32 v1, s16, v1
	v_lshl_add_u32 v8, v1, 1, v1
	v_ashrrev_i32_e32 v9, 31, v8
	s_waitcnt lgkmcnt(0)
	v_lshl_add_u64 v[8:9], s[4:5], 0, v[8:9]
	global_load_ushort v1, v[8:9], off
	global_load_sbyte v16, v[8:9], off offset:2
	s_waitcnt vmcnt(3)
	v_lshrrev_b32_e32 v18, 8, v11
	v_lshrrev_b32_e32 v8, 8, v10
	;; [unrolled: 1-line block ×3, first 2 shown]
	v_bfe_i32 v18, v18, 0, 8
	v_bfe_i32 v9, v10, 0, 8
	v_lshrrev_b32_e32 v10, 24, v10
	v_bfe_i32 v17, v11, 0, 8
	v_lshrrev_b32_e32 v19, 16, v11
	v_lshrrev_b32_e32 v11, 24, v11
	s_waitcnt vmcnt(2)
	v_cvt_f32_i32_e32 v21, v14
	v_bfe_i32 v14, v8, 0, 8
	v_bfe_i32 v15, v15, 0, 8
	v_cvt_f32_i32_sdwa v22, sext(v18) dst_sel:DWORD dst_unused:UNUSED_PAD src0_sel:WORD_0
	v_bfe_i32 v10, v10, 0, 8
	v_bfe_i32 v20, v11, 0, 8
	v_cvt_f32_i32_sdwa v8, sext(v9) dst_sel:DWORD dst_unused:UNUSED_PAD src0_sel:WORD_0
	v_cvt_f32_i32_sdwa v11, sext(v17) dst_sel:DWORD dst_unused:UNUSED_PAD src0_sel:WORD_0
	;; [unrolled: 1-line block ×4, first 2 shown]
	v_bfe_i32 v19, v19, 0, 8
	v_cvt_f32_i32_sdwa v10, sext(v10) dst_sel:DWORD dst_unused:UNUSED_PAD src0_sel:WORD_0
	v_cvt_f32_i32_sdwa v15, sext(v20) dst_sel:DWORD dst_unused:UNUSED_PAD src0_sel:WORD_0
	;; [unrolled: 1-line block ×3, first 2 shown]
	s_waitcnt vmcnt(1)
	v_bfe_i32 v18, v1, 0, 8
	v_lshrrev_b32_e32 v1, 8, v1
	v_cvt_f32_i32_sdwa v18, sext(v18) dst_sel:DWORD dst_unused:UNUSED_PAD src0_sel:WORD_0
	v_bfe_i32 v1, v1, 0, 8
	v_cvt_f32_i32_sdwa v20, sext(v1) dst_sel:DWORD dst_unused:UNUSED_PAD src0_sel:WORD_0
	s_waitcnt vmcnt(0)
	v_cvt_f32_i32_e32 v16, v16
	v_fmac_f32_e32 v12, v17, v18
	v_pk_fma_f32 v[6:7], v[8:9], v[18:19], v[6:7] op_sel_hi:[1,0,1]
	v_fmac_f32_e32 v12, v22, v20
	v_pk_fma_f32 v[6:7], v[10:11], v[20:21], v[6:7] op_sel_hi:[1,0,1]
	;; [unrolled: 2-line block ×3, first 2 shown]
	s_andn2_b64 exec, exec, s[2:3]
	s_cbranch_execnz .LBB76_22
; %bb.23:
	s_or_b64 exec, exec, s[2:3]
.LBB76_24:
	s_or_b64 exec, exec, s[6:7]
.LBB76_25:
	v_mov_b32_dpp v0, v6 row_shr:1 row_mask:0xf bank_mask:0xf
	v_mov_b32_dpp v1, v7 row_shr:1 row_mask:0xf bank_mask:0xf
	v_pk_add_f32 v[0:1], v[6:7], v[0:1]
	v_mov_b32_dpp v6, v12 row_shr:1 row_mask:0xf bank_mask:0xf
	v_add_f32_e32 v6, v12, v6
	v_mov_b32_dpp v4, v0 row_shr:2 row_mask:0xf bank_mask:0xf
	v_mov_b32_dpp v5, v1 row_shr:2 row_mask:0xf bank_mask:0xf
	;; [unrolled: 1-line block ×3, first 2 shown]
	v_pk_add_f32 v[0:1], v[0:1], v[4:5]
	v_add_f32_e32 v6, v6, v7
	v_cmp_eq_u32_e32 vcc, 7, v3
	v_mov_b32_dpp v4, v0 row_shr:4 row_mask:0xf bank_mask:0xe
	v_mov_b32_dpp v5, v1 row_shr:4 row_mask:0xf bank_mask:0xe
	;; [unrolled: 1-line block ×3, first 2 shown]
	s_and_b64 exec, exec, vcc
	s_cbranch_execz .LBB76_10
; %bb.26:
	s_load_dwordx2 s[0:1], s[0:1], 0x50
	v_pk_add_f32 v[4:5], v[0:1], v[4:5]
	v_add_f32_e32 v0, v6, v7
	v_cmp_eq_f32_e64 s[2:3], s14, 0
	v_lshl_add_u32 v6, v2, 1, v2
	s_and_b64 vcc, exec, s[2:3]
	v_mul_f32_e32 v2, s12, v0
	v_ashrrev_i32_e32 v7, 31, v6
	s_cbranch_vccz .LBB76_28
; %bb.27:
	s_waitcnt lgkmcnt(0)
	v_lshl_add_u64 v[8:9], v[6:7], 2, s[0:1]
	v_pk_mul_f32 v[0:1], s[12:13], v[4:5] op_sel_hi:[0,1]
	global_store_dwordx3 v[8:9], v[0:2], off
	s_cbranch_execnz .LBB76_10
	s_branch .LBB76_29
.LBB76_28:
.LBB76_29:
	s_waitcnt lgkmcnt(0)
	v_lshl_add_u64 v[10:11], v[6:7], 2, s[0:1]
	global_load_dwordx3 v[6:8], v[10:11], off
	v_pk_mul_f32 v[0:1], s[12:13], v[4:5] op_sel_hi:[0,1]
	s_waitcnt vmcnt(0)
	v_pk_fma_f32 v[0:1], s[14:15], v[6:7], v[0:1] op_sel_hi:[0,1,1]
	v_fmac_f32_e32 v2, s14, v8
	global_store_dwordx3 v[10:11], v[0:2], off
	s_endpgm
	.section	.rodata,"a",@progbits
	.p2align	6, 0x0
	.amdhsa_kernel _ZN9rocsparseL18bsrxmvn_3x3_kernelILj256ELj8EfiiaafEEvT3_20rocsparse_direction_NS_24const_host_device_scalarIT1_EES1_PKS1_PKT2_SA_S7_PKT4_PKT5_S5_PT6_21rocsparse_index_base_b
		.amdhsa_group_segment_fixed_size 0
		.amdhsa_private_segment_fixed_size 0
		.amdhsa_kernarg_size 96
		.amdhsa_user_sgpr_count 2
		.amdhsa_user_sgpr_dispatch_ptr 0
		.amdhsa_user_sgpr_queue_ptr 0
		.amdhsa_user_sgpr_kernarg_segment_ptr 1
		.amdhsa_user_sgpr_dispatch_id 0
		.amdhsa_user_sgpr_kernarg_preload_length 0
		.amdhsa_user_sgpr_kernarg_preload_offset 0
		.amdhsa_user_sgpr_private_segment_size 0
		.amdhsa_uses_dynamic_stack 0
		.amdhsa_enable_private_segment 0
		.amdhsa_system_sgpr_workgroup_id_x 1
		.amdhsa_system_sgpr_workgroup_id_y 0
		.amdhsa_system_sgpr_workgroup_id_z 0
		.amdhsa_system_sgpr_workgroup_info 0
		.amdhsa_system_vgpr_workitem_id 0
		.amdhsa_next_free_vgpr 26
		.amdhsa_next_free_sgpr 20
		.amdhsa_accum_offset 28
		.amdhsa_reserve_vcc 1
		.amdhsa_float_round_mode_32 0
		.amdhsa_float_round_mode_16_64 0
		.amdhsa_float_denorm_mode_32 3
		.amdhsa_float_denorm_mode_16_64 3
		.amdhsa_dx10_clamp 1
		.amdhsa_ieee_mode 1
		.amdhsa_fp16_overflow 0
		.amdhsa_tg_split 0
		.amdhsa_exception_fp_ieee_invalid_op 0
		.amdhsa_exception_fp_denorm_src 0
		.amdhsa_exception_fp_ieee_div_zero 0
		.amdhsa_exception_fp_ieee_overflow 0
		.amdhsa_exception_fp_ieee_underflow 0
		.amdhsa_exception_fp_ieee_inexact 0
		.amdhsa_exception_int_div_zero 0
	.end_amdhsa_kernel
	.section	.text._ZN9rocsparseL18bsrxmvn_3x3_kernelILj256ELj8EfiiaafEEvT3_20rocsparse_direction_NS_24const_host_device_scalarIT1_EES1_PKS1_PKT2_SA_S7_PKT4_PKT5_S5_PT6_21rocsparse_index_base_b,"axG",@progbits,_ZN9rocsparseL18bsrxmvn_3x3_kernelILj256ELj8EfiiaafEEvT3_20rocsparse_direction_NS_24const_host_device_scalarIT1_EES1_PKS1_PKT2_SA_S7_PKT4_PKT5_S5_PT6_21rocsparse_index_base_b,comdat
.Lfunc_end76:
	.size	_ZN9rocsparseL18bsrxmvn_3x3_kernelILj256ELj8EfiiaafEEvT3_20rocsparse_direction_NS_24const_host_device_scalarIT1_EES1_PKS1_PKT2_SA_S7_PKT4_PKT5_S5_PT6_21rocsparse_index_base_b, .Lfunc_end76-_ZN9rocsparseL18bsrxmvn_3x3_kernelILj256ELj8EfiiaafEEvT3_20rocsparse_direction_NS_24const_host_device_scalarIT1_EES1_PKS1_PKT2_SA_S7_PKT4_PKT5_S5_PT6_21rocsparse_index_base_b
                                        ; -- End function
	.section	.AMDGPU.csdata,"",@progbits
; Kernel info:
; codeLenInByte = 1488
; NumSgprs: 26
; NumVgprs: 26
; NumAgprs: 0
; TotalNumVgprs: 26
; ScratchSize: 0
; MemoryBound: 0
; FloatMode: 240
; IeeeMode: 1
; LDSByteSize: 0 bytes/workgroup (compile time only)
; SGPRBlocks: 3
; VGPRBlocks: 3
; NumSGPRsForWavesPerEU: 26
; NumVGPRsForWavesPerEU: 26
; AccumOffset: 28
; Occupancy: 8
; WaveLimiterHint : 1
; COMPUTE_PGM_RSRC2:SCRATCH_EN: 0
; COMPUTE_PGM_RSRC2:USER_SGPR: 2
; COMPUTE_PGM_RSRC2:TRAP_HANDLER: 0
; COMPUTE_PGM_RSRC2:TGID_X_EN: 1
; COMPUTE_PGM_RSRC2:TGID_Y_EN: 0
; COMPUTE_PGM_RSRC2:TGID_Z_EN: 0
; COMPUTE_PGM_RSRC2:TIDIG_COMP_CNT: 0
; COMPUTE_PGM_RSRC3_GFX90A:ACCUM_OFFSET: 6
; COMPUTE_PGM_RSRC3_GFX90A:TG_SPLIT: 0
	.section	.text._ZN9rocsparseL18bsrxmvn_3x3_kernelILj256ELj16EfiiaafEEvT3_20rocsparse_direction_NS_24const_host_device_scalarIT1_EES1_PKS1_PKT2_SA_S7_PKT4_PKT5_S5_PT6_21rocsparse_index_base_b,"axG",@progbits,_ZN9rocsparseL18bsrxmvn_3x3_kernelILj256ELj16EfiiaafEEvT3_20rocsparse_direction_NS_24const_host_device_scalarIT1_EES1_PKS1_PKT2_SA_S7_PKT4_PKT5_S5_PT6_21rocsparse_index_base_b,comdat
	.globl	_ZN9rocsparseL18bsrxmvn_3x3_kernelILj256ELj16EfiiaafEEvT3_20rocsparse_direction_NS_24const_host_device_scalarIT1_EES1_PKS1_PKT2_SA_S7_PKT4_PKT5_S5_PT6_21rocsparse_index_base_b ; -- Begin function _ZN9rocsparseL18bsrxmvn_3x3_kernelILj256ELj16EfiiaafEEvT3_20rocsparse_direction_NS_24const_host_device_scalarIT1_EES1_PKS1_PKT2_SA_S7_PKT4_PKT5_S5_PT6_21rocsparse_index_base_b
	.p2align	8
	.type	_ZN9rocsparseL18bsrxmvn_3x3_kernelILj256ELj16EfiiaafEEvT3_20rocsparse_direction_NS_24const_host_device_scalarIT1_EES1_PKS1_PKT2_SA_S7_PKT4_PKT5_S5_PT6_21rocsparse_index_base_b,@function
_ZN9rocsparseL18bsrxmvn_3x3_kernelILj256ELj16EfiiaafEEvT3_20rocsparse_direction_NS_24const_host_device_scalarIT1_EES1_PKS1_PKT2_SA_S7_PKT4_PKT5_S5_PT6_21rocsparse_index_base_b: ; @_ZN9rocsparseL18bsrxmvn_3x3_kernelILj256ELj16EfiiaafEEvT3_20rocsparse_direction_NS_24const_host_device_scalarIT1_EES1_PKS1_PKT2_SA_S7_PKT4_PKT5_S5_PT6_21rocsparse_index_base_b
; %bb.0:
	s_load_dwordx2 s[16:17], s[0:1], 0x58
	s_load_dwordx2 s[12:13], s[0:1], 0x8
	;; [unrolled: 1-line block ×3, first 2 shown]
	s_waitcnt lgkmcnt(0)
	s_bitcmp1_b32 s17, 0
	s_cselect_b64 s[6:7], -1, 0
	s_xor_b64 s[4:5], s[6:7], -1
	s_and_b64 vcc, exec, s[6:7]
	s_cbranch_vccnz .LBB77_2
; %bb.1:
	s_load_dword s12, s[12:13], 0x0
.LBB77_2:
	s_andn2_b64 vcc, exec, s[4:5]
	s_cbranch_vccnz .LBB77_4
; %bb.3:
	s_load_dword s14, s[14:15], 0x0
.LBB77_4:
	s_waitcnt lgkmcnt(0)
	v_cmp_neq_f32_e64 s[4:5], s12, 0
	v_cmp_neq_f32_e64 s[6:7], s14, 1.0
	s_or_b64 s[4:5], s[4:5], s[6:7]
	s_andn2_b64 vcc, exec, s[4:5]
	s_cbranch_vccnz .LBB77_10
; %bb.5:
	s_load_dwordx2 s[4:5], s[0:1], 0x18
	s_load_dwordx2 s[18:19], s[0:1], 0x0
	v_lshrrev_b32_e32 v1, 4, v0
	v_lshl_or_b32 v2, s2, 4, v1
	s_mov_b64 s[2:3], 0
	s_waitcnt lgkmcnt(0)
	s_cmp_lg_u64 s[4:5], 0
	s_cbranch_scc0 .LBB77_11
; %bb.6:
	s_load_dword s6, s[0:1], 0x10
                                        ; implicit-def: $vgpr1
	s_waitcnt lgkmcnt(0)
	v_cmp_gt_i32_e32 vcc, s6, v2
	s_and_saveexec_b64 s[6:7], vcc
	s_xor_b64 s[6:7], exec, s[6:7]
	s_cbranch_execz .LBB77_8
; %bb.7:
	v_ashrrev_i32_e32 v3, 31, v2
	v_lshl_add_u64 v[4:5], v[2:3], 2, s[4:5]
	global_load_dword v1, v[4:5], off
	s_mov_b64 s[2:3], exec
	s_waitcnt vmcnt(0)
	v_subrev_u32_e32 v1, s16, v1
.LBB77_8:
	s_or_b64 exec, exec, s[6:7]
	s_branch .LBB77_12
.LBB77_9:
	v_cmp_gt_i32_e32 vcc, s18, v2
	s_andn2_b64 s[2:3], s[2:3], exec
	s_and_b64 s[4:5], vcc, exec
	s_or_b64 s[2:3], s[2:3], s[4:5]
	s_and_saveexec_b64 s[4:5], s[2:3]
	s_cbranch_execnz .LBB77_13
.LBB77_10:
	s_endpgm
.LBB77_11:
                                        ; implicit-def: $vgpr1
	s_cbranch_execnz .LBB77_9
.LBB77_12:
	v_mov_b32_e32 v2, v1
	s_and_saveexec_b64 s[4:5], s[2:3]
	s_cbranch_execz .LBB77_10
.LBB77_13:
	s_load_dwordx8 s[4:11], s[0:1], 0x20
	v_ashrrev_i32_e32 v3, 31, v2
	v_lshlrev_b64 v[4:5], 2, v[2:3]
	v_and_b32_e32 v3, 15, v0
	s_waitcnt lgkmcnt(0)
	v_lshl_add_u64 v[6:7], s[4:5], 0, v[4:5]
	s_cmp_eq_u64 s[6:7], 0
	global_load_dword v1, v[6:7], off
	v_lshl_add_u64 v[6:7], v[6:7], 0, 4
	v_lshl_add_u64 v[4:5], s[6:7], 0, v[4:5]
	s_cselect_b64 vcc, -1, 0
	v_cndmask_b32_e32 v5, v5, v7, vcc
	v_cndmask_b32_e32 v4, v4, v6, vcc
	global_load_dword v4, v[4:5], off
	s_load_dwordx2 s[4:5], s[0:1], 0x40
	s_cmp_eq_u32 s19, 1
	s_waitcnt vmcnt(1)
	v_subrev_u32_e32 v0, s16, v1
	v_add_u32_e32 v0, v0, v3
	s_waitcnt vmcnt(0)
	v_subrev_u32_e32 v13, s16, v4
	v_mad_i64_i32 v[4:5], s[2:3], v0, 9, s[10:11]
	v_cmp_lt_i32_e64 s[2:3], v0, v13
	s_cbranch_scc1 .LBB77_19
; %bb.14:
	v_mov_b32_e32 v7, 0
	v_mov_b32_e32 v6, v7
	;; [unrolled: 1-line block ×3, first 2 shown]
	s_and_saveexec_b64 s[6:7], s[2:3]
	s_cbranch_execz .LBB77_18
; %bb.15:
	v_mov_b32_e32 v12, 0
	s_mov_b64 s[10:11], 0
	s_mov_b64 s[18:19], 0x90
	v_mov_b64_e32 v[8:9], v[4:5]
	v_mov_b32_e32 v10, v0
	v_mov_b32_e32 v6, 0
	;; [unrolled: 1-line block ×3, first 2 shown]
.LBB77_16:                              ; =>This Inner Loop Header: Depth=1
	v_ashrrev_i32_e32 v11, 31, v10
	v_lshl_add_u64 v[14:15], v[10:11], 2, s[8:9]
	global_load_dword v1, v[14:15], off
	global_load_dwordx2 v[16:17], v[8:9], off
	global_load_sbyte v11, v[8:9], off offset:8
	v_add_u32_e32 v10, 16, v10
	v_cmp_ge_i32_e32 vcc, v10, v13
	v_lshl_add_u64 v[8:9], v[8:9], 0, s[18:19]
	s_or_b64 s[10:11], vcc, s[10:11]
	s_waitcnt vmcnt(2)
	v_subrev_u32_e32 v1, s16, v1
	v_lshl_add_u32 v14, v1, 1, v1
	v_ashrrev_i32_e32 v15, 31, v14
	s_waitcnt lgkmcnt(0)
	v_lshl_add_u64 v[14:15], s[4:5], 0, v[14:15]
	global_load_ushort v1, v[14:15], off
	global_load_sbyte v20, v[14:15], off offset:2
	s_waitcnt vmcnt(3)
	v_lshrrev_b32_e32 v21, 8, v17
	v_lshrrev_b32_e32 v22, 16, v17
	v_bfe_i32 v14, v16, 0, 8
	v_lshrrev_b32_e32 v15, 8, v16
	v_lshrrev_b32_e32 v18, 16, v16
	;; [unrolled: 1-line block ×3, first 2 shown]
	v_bfe_i32 v19, v17, 0, 8
	v_lshrrev_b32_e32 v17, 24, v17
	v_bfe_i32 v21, v21, 0, 8
	v_bfe_i32 v22, v22, 0, 8
	;; [unrolled: 1-line block ×5, first 2 shown]
	v_cvt_f32_i32_sdwa v17, sext(v19) dst_sel:DWORD dst_unused:UNUSED_PAD src0_sel:WORD_0
	v_cvt_f32_i32_sdwa v19, sext(v21) dst_sel:DWORD dst_unused:UNUSED_PAD src0_sel:WORD_0
	;; [unrolled: 1-line block ×7, first 2 shown]
	v_bfe_i32 v18, v18, 0, 8
	s_waitcnt vmcnt(2)
	v_cvt_f32_i32_e32 v11, v11
	v_cvt_f32_i32_sdwa v18, sext(v18) dst_sel:DWORD dst_unused:UNUSED_PAD src0_sel:WORD_0
	s_waitcnt vmcnt(1)
	v_bfe_i32 v22, v1, 0, 8
	v_lshrrev_b32_e32 v1, 8, v1
	v_cvt_f32_i32_sdwa v22, sext(v22) dst_sel:DWORD dst_unused:UNUSED_PAD src0_sel:WORD_0
	v_bfe_i32 v1, v1, 0, 8
	v_cvt_f32_i32_sdwa v24, sext(v1) dst_sel:DWORD dst_unused:UNUSED_PAD src0_sel:WORD_0
	s_waitcnt vmcnt(0)
	v_cvt_f32_i32_e32 v20, v20
	v_pk_fma_f32 v[6:7], v[14:15], v[22:23], v[6:7] op_sel_hi:[1,0,1]
	v_fmac_f32_e32 v12, v21, v22
	v_pk_fma_f32 v[6:7], v[16:17], v[24:25], v[6:7] op_sel_hi:[1,0,1]
	v_fmac_f32_e32 v12, v23, v24
	;; [unrolled: 2-line block ×3, first 2 shown]
	s_andn2_b64 exec, exec, s[10:11]
	s_cbranch_execnz .LBB77_16
; %bb.17:
	s_or_b64 exec, exec, s[10:11]
.LBB77_18:
	s_or_b64 exec, exec, s[6:7]
	s_cbranch_execz .LBB77_20
	s_branch .LBB77_25
.LBB77_19:
                                        ; implicit-def: $vgpr7
                                        ; implicit-def: $vgpr12
.LBB77_20:
	v_mov_b32_e32 v7, 0
	v_mov_b32_e32 v6, v7
	;; [unrolled: 1-line block ×3, first 2 shown]
	s_and_saveexec_b64 s[6:7], s[2:3]
	s_cbranch_execz .LBB77_24
; %bb.21:
	v_mov_b32_e32 v12, 0
	s_mov_b64 s[2:3], 0
	s_mov_b64 s[10:11], 0x90
	v_mov_b32_e32 v6, 0
	v_mov_b32_e32 v7, v12
.LBB77_22:                              ; =>This Inner Loop Header: Depth=1
	v_ashrrev_i32_e32 v1, 31, v0
	v_lshl_add_u64 v[8:9], v[0:1], 2, s[8:9]
	global_load_dword v1, v[8:9], off
	global_load_dwordx2 v[10:11], v[4:5], off
	global_load_sbyte v14, v[4:5], off offset:8
	v_add_u32_e32 v0, 16, v0
	v_cmp_ge_i32_e32 vcc, v0, v13
	v_lshl_add_u64 v[4:5], v[4:5], 0, s[10:11]
	s_or_b64 s[2:3], vcc, s[2:3]
	s_waitcnt vmcnt(2)
	v_subrev_u32_e32 v1, s16, v1
	v_lshl_add_u32 v8, v1, 1, v1
	v_ashrrev_i32_e32 v9, 31, v8
	s_waitcnt lgkmcnt(0)
	v_lshl_add_u64 v[8:9], s[4:5], 0, v[8:9]
	global_load_ushort v1, v[8:9], off
	global_load_sbyte v16, v[8:9], off offset:2
	s_waitcnt vmcnt(3)
	v_lshrrev_b32_e32 v8, 16, v10
	v_lshrrev_b32_e32 v9, 24, v10
	;; [unrolled: 1-line block ×4, first 2 shown]
	v_bfe_i32 v15, v11, 0, 8
	v_lshrrev_b32_e32 v11, 24, v11
	v_lshrrev_b32_e32 v19, 8, v10
	s_waitcnt vmcnt(2)
	v_cvt_f32_i32_e32 v21, v14
	v_bfe_i32 v14, v8, 0, 8
	v_bfe_i32 v20, v9, 0, 8
	;; [unrolled: 1-line block ×7, first 2 shown]
	v_cvt_f32_i32_sdwa v22, sext(v14) dst_sel:DWORD dst_unused:UNUSED_PAD src0_sel:WORD_0
	v_cvt_f32_i32_sdwa v14, sext(v17) dst_sel:DWORD dst_unused:UNUSED_PAD src0_sel:WORD_0
	;; [unrolled: 1-line block ×8, first 2 shown]
	s_waitcnt vmcnt(1)
	v_bfe_i32 v17, v1, 0, 8
	v_lshrrev_b32_e32 v1, 8, v1
	v_cvt_f32_i32_sdwa v18, sext(v17) dst_sel:DWORD dst_unused:UNUSED_PAD src0_sel:WORD_0
	v_bfe_i32 v1, v1, 0, 8
	v_cvt_f32_i32_sdwa v20, sext(v1) dst_sel:DWORD dst_unused:UNUSED_PAD src0_sel:WORD_0
	s_waitcnt vmcnt(0)
	v_cvt_f32_i32_e32 v16, v16
	v_fmac_f32_e32 v12, v22, v18
	v_pk_fma_f32 v[6:7], v[8:9], v[18:19], v[6:7] op_sel_hi:[1,0,1]
	v_fmac_f32_e32 v12, v23, v20
	v_pk_fma_f32 v[6:7], v[10:11], v[20:21], v[6:7] op_sel_hi:[1,0,1]
	;; [unrolled: 2-line block ×3, first 2 shown]
	s_andn2_b64 exec, exec, s[2:3]
	s_cbranch_execnz .LBB77_22
; %bb.23:
	s_or_b64 exec, exec, s[2:3]
.LBB77_24:
	s_or_b64 exec, exec, s[6:7]
.LBB77_25:
	v_mov_b32_dpp v0, v6 row_shr:1 row_mask:0xf bank_mask:0xf
	v_mov_b32_dpp v1, v7 row_shr:1 row_mask:0xf bank_mask:0xf
	v_pk_add_f32 v[0:1], v[6:7], v[0:1]
	v_mov_b32_dpp v6, v12 row_shr:1 row_mask:0xf bank_mask:0xf
	v_add_f32_e32 v6, v12, v6
	v_mov_b32_dpp v4, v0 row_shr:2 row_mask:0xf bank_mask:0xf
	v_mov_b32_dpp v5, v1 row_shr:2 row_mask:0xf bank_mask:0xf
	;; [unrolled: 1-line block ×3, first 2 shown]
	v_pk_add_f32 v[0:1], v[0:1], v[4:5]
	v_add_f32_e32 v6, v6, v7
	v_cmp_eq_u32_e32 vcc, 15, v3
	v_mov_b32_dpp v4, v0 row_shr:4 row_mask:0xf bank_mask:0xe
	v_mov_b32_dpp v5, v1 row_shr:4 row_mask:0xf bank_mask:0xe
	;; [unrolled: 1-line block ×3, first 2 shown]
	v_pk_add_f32 v[0:1], v[0:1], v[4:5]
	v_add_f32_e32 v6, v6, v7
	s_nop 0
	v_mov_b32_dpp v4, v0 row_shr:8 row_mask:0xf bank_mask:0xc
	v_mov_b32_dpp v5, v1 row_shr:8 row_mask:0xf bank_mask:0xc
	;; [unrolled: 1-line block ×3, first 2 shown]
	s_and_b64 exec, exec, vcc
	s_cbranch_execz .LBB77_10
; %bb.26:
	s_load_dwordx2 s[0:1], s[0:1], 0x50
	v_pk_add_f32 v[4:5], v[0:1], v[4:5]
	v_add_f32_e32 v0, v6, v7
	v_cmp_eq_f32_e64 s[2:3], s14, 0
	v_lshl_add_u32 v6, v2, 1, v2
	s_and_b64 vcc, exec, s[2:3]
	v_mul_f32_e32 v2, s12, v0
	v_ashrrev_i32_e32 v7, 31, v6
	s_cbranch_vccz .LBB77_28
; %bb.27:
	s_waitcnt lgkmcnt(0)
	v_lshl_add_u64 v[8:9], v[6:7], 2, s[0:1]
	v_pk_mul_f32 v[0:1], s[12:13], v[4:5] op_sel_hi:[0,1]
	global_store_dwordx3 v[8:9], v[0:2], off
	s_cbranch_execnz .LBB77_10
	s_branch .LBB77_29
.LBB77_28:
.LBB77_29:
	s_waitcnt lgkmcnt(0)
	v_lshl_add_u64 v[10:11], v[6:7], 2, s[0:1]
	global_load_dwordx3 v[6:8], v[10:11], off
	v_pk_mul_f32 v[0:1], s[12:13], v[4:5] op_sel_hi:[0,1]
	s_waitcnt vmcnt(0)
	v_pk_fma_f32 v[0:1], s[14:15], v[6:7], v[0:1] op_sel_hi:[0,1,1]
	v_fmac_f32_e32 v2, s14, v8
	global_store_dwordx3 v[10:11], v[0:2], off
	s_endpgm
	.section	.rodata,"a",@progbits
	.p2align	6, 0x0
	.amdhsa_kernel _ZN9rocsparseL18bsrxmvn_3x3_kernelILj256ELj16EfiiaafEEvT3_20rocsparse_direction_NS_24const_host_device_scalarIT1_EES1_PKS1_PKT2_SA_S7_PKT4_PKT5_S5_PT6_21rocsparse_index_base_b
		.amdhsa_group_segment_fixed_size 0
		.amdhsa_private_segment_fixed_size 0
		.amdhsa_kernarg_size 96
		.amdhsa_user_sgpr_count 2
		.amdhsa_user_sgpr_dispatch_ptr 0
		.amdhsa_user_sgpr_queue_ptr 0
		.amdhsa_user_sgpr_kernarg_segment_ptr 1
		.amdhsa_user_sgpr_dispatch_id 0
		.amdhsa_user_sgpr_kernarg_preload_length 0
		.amdhsa_user_sgpr_kernarg_preload_offset 0
		.amdhsa_user_sgpr_private_segment_size 0
		.amdhsa_uses_dynamic_stack 0
		.amdhsa_enable_private_segment 0
		.amdhsa_system_sgpr_workgroup_id_x 1
		.amdhsa_system_sgpr_workgroup_id_y 0
		.amdhsa_system_sgpr_workgroup_id_z 0
		.amdhsa_system_sgpr_workgroup_info 0
		.amdhsa_system_vgpr_workitem_id 0
		.amdhsa_next_free_vgpr 26
		.amdhsa_next_free_sgpr 20
		.amdhsa_accum_offset 28
		.amdhsa_reserve_vcc 1
		.amdhsa_float_round_mode_32 0
		.amdhsa_float_round_mode_16_64 0
		.amdhsa_float_denorm_mode_32 3
		.amdhsa_float_denorm_mode_16_64 3
		.amdhsa_dx10_clamp 1
		.amdhsa_ieee_mode 1
		.amdhsa_fp16_overflow 0
		.amdhsa_tg_split 0
		.amdhsa_exception_fp_ieee_invalid_op 0
		.amdhsa_exception_fp_denorm_src 0
		.amdhsa_exception_fp_ieee_div_zero 0
		.amdhsa_exception_fp_ieee_overflow 0
		.amdhsa_exception_fp_ieee_underflow 0
		.amdhsa_exception_fp_ieee_inexact 0
		.amdhsa_exception_int_div_zero 0
	.end_amdhsa_kernel
	.section	.text._ZN9rocsparseL18bsrxmvn_3x3_kernelILj256ELj16EfiiaafEEvT3_20rocsparse_direction_NS_24const_host_device_scalarIT1_EES1_PKS1_PKT2_SA_S7_PKT4_PKT5_S5_PT6_21rocsparse_index_base_b,"axG",@progbits,_ZN9rocsparseL18bsrxmvn_3x3_kernelILj256ELj16EfiiaafEEvT3_20rocsparse_direction_NS_24const_host_device_scalarIT1_EES1_PKS1_PKT2_SA_S7_PKT4_PKT5_S5_PT6_21rocsparse_index_base_b,comdat
.Lfunc_end77:
	.size	_ZN9rocsparseL18bsrxmvn_3x3_kernelILj256ELj16EfiiaafEEvT3_20rocsparse_direction_NS_24const_host_device_scalarIT1_EES1_PKS1_PKT2_SA_S7_PKT4_PKT5_S5_PT6_21rocsparse_index_base_b, .Lfunc_end77-_ZN9rocsparseL18bsrxmvn_3x3_kernelILj256ELj16EfiiaafEEvT3_20rocsparse_direction_NS_24const_host_device_scalarIT1_EES1_PKS1_PKT2_SA_S7_PKT4_PKT5_S5_PT6_21rocsparse_index_base_b
                                        ; -- End function
	.section	.AMDGPU.csdata,"",@progbits
; Kernel info:
; codeLenInByte = 1528
; NumSgprs: 26
; NumVgprs: 26
; NumAgprs: 0
; TotalNumVgprs: 26
; ScratchSize: 0
; MemoryBound: 0
; FloatMode: 240
; IeeeMode: 1
; LDSByteSize: 0 bytes/workgroup (compile time only)
; SGPRBlocks: 3
; VGPRBlocks: 3
; NumSGPRsForWavesPerEU: 26
; NumVGPRsForWavesPerEU: 26
; AccumOffset: 28
; Occupancy: 8
; WaveLimiterHint : 1
; COMPUTE_PGM_RSRC2:SCRATCH_EN: 0
; COMPUTE_PGM_RSRC2:USER_SGPR: 2
; COMPUTE_PGM_RSRC2:TRAP_HANDLER: 0
; COMPUTE_PGM_RSRC2:TGID_X_EN: 1
; COMPUTE_PGM_RSRC2:TGID_Y_EN: 0
; COMPUTE_PGM_RSRC2:TGID_Z_EN: 0
; COMPUTE_PGM_RSRC2:TIDIG_COMP_CNT: 0
; COMPUTE_PGM_RSRC3_GFX90A:ACCUM_OFFSET: 6
; COMPUTE_PGM_RSRC3_GFX90A:TG_SPLIT: 0
	.section	.text._ZN9rocsparseL18bsrxmvn_3x3_kernelILj256ELj32EfiiaafEEvT3_20rocsparse_direction_NS_24const_host_device_scalarIT1_EES1_PKS1_PKT2_SA_S7_PKT4_PKT5_S5_PT6_21rocsparse_index_base_b,"axG",@progbits,_ZN9rocsparseL18bsrxmvn_3x3_kernelILj256ELj32EfiiaafEEvT3_20rocsparse_direction_NS_24const_host_device_scalarIT1_EES1_PKS1_PKT2_SA_S7_PKT4_PKT5_S5_PT6_21rocsparse_index_base_b,comdat
	.globl	_ZN9rocsparseL18bsrxmvn_3x3_kernelILj256ELj32EfiiaafEEvT3_20rocsparse_direction_NS_24const_host_device_scalarIT1_EES1_PKS1_PKT2_SA_S7_PKT4_PKT5_S5_PT6_21rocsparse_index_base_b ; -- Begin function _ZN9rocsparseL18bsrxmvn_3x3_kernelILj256ELj32EfiiaafEEvT3_20rocsparse_direction_NS_24const_host_device_scalarIT1_EES1_PKS1_PKT2_SA_S7_PKT4_PKT5_S5_PT6_21rocsparse_index_base_b
	.p2align	8
	.type	_ZN9rocsparseL18bsrxmvn_3x3_kernelILj256ELj32EfiiaafEEvT3_20rocsparse_direction_NS_24const_host_device_scalarIT1_EES1_PKS1_PKT2_SA_S7_PKT4_PKT5_S5_PT6_21rocsparse_index_base_b,@function
_ZN9rocsparseL18bsrxmvn_3x3_kernelILj256ELj32EfiiaafEEvT3_20rocsparse_direction_NS_24const_host_device_scalarIT1_EES1_PKS1_PKT2_SA_S7_PKT4_PKT5_S5_PT6_21rocsparse_index_base_b: ; @_ZN9rocsparseL18bsrxmvn_3x3_kernelILj256ELj32EfiiaafEEvT3_20rocsparse_direction_NS_24const_host_device_scalarIT1_EES1_PKS1_PKT2_SA_S7_PKT4_PKT5_S5_PT6_21rocsparse_index_base_b
; %bb.0:
	s_load_dwordx2 s[16:17], s[0:1], 0x58
	s_load_dwordx2 s[12:13], s[0:1], 0x8
	;; [unrolled: 1-line block ×3, first 2 shown]
	s_waitcnt lgkmcnt(0)
	s_bitcmp1_b32 s17, 0
	s_cselect_b64 s[6:7], -1, 0
	s_xor_b64 s[4:5], s[6:7], -1
	s_and_b64 vcc, exec, s[6:7]
	s_cbranch_vccnz .LBB78_2
; %bb.1:
	s_load_dword s12, s[12:13], 0x0
.LBB78_2:
	s_andn2_b64 vcc, exec, s[4:5]
	s_cbranch_vccnz .LBB78_4
; %bb.3:
	s_load_dword s14, s[14:15], 0x0
.LBB78_4:
	s_waitcnt lgkmcnt(0)
	v_cmp_neq_f32_e64 s[4:5], s12, 0
	v_cmp_neq_f32_e64 s[6:7], s14, 1.0
	s_or_b64 s[4:5], s[4:5], s[6:7]
	s_andn2_b64 vcc, exec, s[4:5]
	s_cbranch_vccnz .LBB78_10
; %bb.5:
	s_load_dwordx2 s[4:5], s[0:1], 0x18
	s_load_dwordx2 s[18:19], s[0:1], 0x0
	v_lshrrev_b32_e32 v1, 5, v0
	v_lshl_or_b32 v2, s2, 3, v1
	s_mov_b64 s[2:3], 0
	s_waitcnt lgkmcnt(0)
	s_cmp_lg_u64 s[4:5], 0
	s_cbranch_scc0 .LBB78_11
; %bb.6:
	s_load_dword s6, s[0:1], 0x10
                                        ; implicit-def: $vgpr1
	s_waitcnt lgkmcnt(0)
	v_cmp_gt_i32_e32 vcc, s6, v2
	s_and_saveexec_b64 s[6:7], vcc
	s_xor_b64 s[6:7], exec, s[6:7]
	s_cbranch_execz .LBB78_8
; %bb.7:
	v_ashrrev_i32_e32 v3, 31, v2
	v_lshl_add_u64 v[4:5], v[2:3], 2, s[4:5]
	global_load_dword v1, v[4:5], off
	s_mov_b64 s[2:3], exec
	s_waitcnt vmcnt(0)
	v_subrev_u32_e32 v1, s16, v1
.LBB78_8:
	s_or_b64 exec, exec, s[6:7]
	s_branch .LBB78_12
.LBB78_9:
	v_cmp_gt_i32_e32 vcc, s18, v2
	s_andn2_b64 s[2:3], s[2:3], exec
	s_and_b64 s[4:5], vcc, exec
	s_or_b64 s[2:3], s[2:3], s[4:5]
	s_and_saveexec_b64 s[4:5], s[2:3]
	s_cbranch_execnz .LBB78_13
.LBB78_10:
	s_endpgm
.LBB78_11:
                                        ; implicit-def: $vgpr1
	s_cbranch_execnz .LBB78_9
.LBB78_12:
	v_mov_b32_e32 v2, v1
	s_and_saveexec_b64 s[4:5], s[2:3]
	s_cbranch_execz .LBB78_10
.LBB78_13:
	s_load_dwordx8 s[4:11], s[0:1], 0x20
	v_ashrrev_i32_e32 v3, 31, v2
	v_lshlrev_b64 v[4:5], 2, v[2:3]
	v_and_b32_e32 v3, 31, v0
	s_waitcnt lgkmcnt(0)
	v_lshl_add_u64 v[6:7], s[4:5], 0, v[4:5]
	s_cmp_eq_u64 s[6:7], 0
	global_load_dword v1, v[6:7], off
	v_lshl_add_u64 v[6:7], v[6:7], 0, 4
	v_lshl_add_u64 v[4:5], s[6:7], 0, v[4:5]
	s_cselect_b64 vcc, -1, 0
	v_cndmask_b32_e32 v5, v5, v7, vcc
	v_cndmask_b32_e32 v4, v4, v6, vcc
	global_load_dword v4, v[4:5], off
	s_load_dwordx2 s[4:5], s[0:1], 0x40
	s_cmp_eq_u32 s19, 1
	s_waitcnt vmcnt(1)
	v_subrev_u32_e32 v0, s16, v1
	v_add_u32_e32 v0, v0, v3
	s_waitcnt vmcnt(0)
	v_subrev_u32_e32 v13, s16, v4
	v_mad_i64_i32 v[4:5], s[2:3], v0, 9, s[10:11]
	v_cmp_lt_i32_e64 s[2:3], v0, v13
	s_cbranch_scc1 .LBB78_19
; %bb.14:
	v_mov_b32_e32 v7, 0
	v_mov_b32_e32 v6, v7
	;; [unrolled: 1-line block ×3, first 2 shown]
	s_and_saveexec_b64 s[6:7], s[2:3]
	s_cbranch_execz .LBB78_18
; %bb.15:
	v_mov_b32_e32 v12, 0
	s_mov_b64 s[10:11], 0
	s_mov_b64 s[18:19], 0x120
	v_mov_b64_e32 v[8:9], v[4:5]
	v_mov_b32_e32 v10, v0
	v_mov_b32_e32 v7, 0
	;; [unrolled: 1-line block ×3, first 2 shown]
.LBB78_16:                              ; =>This Inner Loop Header: Depth=1
	v_ashrrev_i32_e32 v11, 31, v10
	v_lshl_add_u64 v[14:15], v[10:11], 2, s[8:9]
	global_load_dword v1, v[14:15], off
	global_load_dwordx2 v[16:17], v[8:9], off
	global_load_sbyte v11, v[8:9], off offset:8
	v_add_u32_e32 v10, 32, v10
	v_cmp_ge_i32_e32 vcc, v10, v13
	v_lshl_add_u64 v[8:9], v[8:9], 0, s[18:19]
	s_or_b64 s[10:11], vcc, s[10:11]
	s_waitcnt vmcnt(2)
	v_subrev_u32_e32 v1, s16, v1
	v_lshl_add_u32 v14, v1, 1, v1
	v_ashrrev_i32_e32 v15, 31, v14
	s_waitcnt lgkmcnt(0)
	v_lshl_add_u64 v[14:15], s[4:5], 0, v[14:15]
	global_load_ushort v1, v[14:15], off
	global_load_sbyte v20, v[14:15], off offset:2
	s_waitcnt vmcnt(3)
	v_lshrrev_b32_e32 v21, 8, v17
	v_lshrrev_b32_e32 v22, 16, v17
	v_bfe_i32 v14, v16, 0, 8
	v_lshrrev_b32_e32 v15, 8, v16
	v_lshrrev_b32_e32 v18, 16, v16
	;; [unrolled: 1-line block ×3, first 2 shown]
	v_bfe_i32 v19, v17, 0, 8
	v_lshrrev_b32_e32 v17, 24, v17
	v_bfe_i32 v21, v21, 0, 8
	v_bfe_i32 v22, v22, 0, 8
	;; [unrolled: 1-line block ×5, first 2 shown]
	v_cvt_f32_i32_sdwa v17, sext(v19) dst_sel:DWORD dst_unused:UNUSED_PAD src0_sel:WORD_0
	v_cvt_f32_i32_sdwa v19, sext(v21) dst_sel:DWORD dst_unused:UNUSED_PAD src0_sel:WORD_0
	;; [unrolled: 1-line block ×7, first 2 shown]
	v_bfe_i32 v18, v18, 0, 8
	s_waitcnt vmcnt(2)
	v_cvt_f32_i32_e32 v11, v11
	v_cvt_f32_i32_sdwa v18, sext(v18) dst_sel:DWORD dst_unused:UNUSED_PAD src0_sel:WORD_0
	s_waitcnt vmcnt(1)
	v_bfe_i32 v22, v1, 0, 8
	v_lshrrev_b32_e32 v1, 8, v1
	v_cvt_f32_i32_sdwa v22, sext(v22) dst_sel:DWORD dst_unused:UNUSED_PAD src0_sel:WORD_0
	v_bfe_i32 v1, v1, 0, 8
	v_cvt_f32_i32_sdwa v24, sext(v1) dst_sel:DWORD dst_unused:UNUSED_PAD src0_sel:WORD_0
	s_waitcnt vmcnt(0)
	v_cvt_f32_i32_e32 v20, v20
	v_pk_fma_f32 v[6:7], v[14:15], v[22:23], v[6:7] op_sel_hi:[1,0,1]
	v_fmac_f32_e32 v12, v21, v22
	v_pk_fma_f32 v[6:7], v[16:17], v[24:25], v[6:7] op_sel_hi:[1,0,1]
	v_fmac_f32_e32 v12, v23, v24
	;; [unrolled: 2-line block ×3, first 2 shown]
	s_andn2_b64 exec, exec, s[10:11]
	s_cbranch_execnz .LBB78_16
; %bb.17:
	s_or_b64 exec, exec, s[10:11]
.LBB78_18:
	s_or_b64 exec, exec, s[6:7]
	s_cbranch_execz .LBB78_20
	s_branch .LBB78_25
.LBB78_19:
                                        ; implicit-def: $vgpr7
                                        ; implicit-def: $vgpr12
.LBB78_20:
	v_mov_b32_e32 v7, 0
	v_mov_b32_e32 v6, v7
	;; [unrolled: 1-line block ×3, first 2 shown]
	s_and_saveexec_b64 s[6:7], s[2:3]
	s_cbranch_execz .LBB78_24
; %bb.21:
	v_mov_b32_e32 v12, 0
	s_mov_b64 s[2:3], 0
	s_mov_b64 s[10:11], 0x120
	v_mov_b32_e32 v7, 0
	v_mov_b32_e32 v6, v12
.LBB78_22:                              ; =>This Inner Loop Header: Depth=1
	v_ashrrev_i32_e32 v1, 31, v0
	v_lshl_add_u64 v[8:9], v[0:1], 2, s[8:9]
	global_load_dword v1, v[8:9], off
	global_load_dwordx2 v[10:11], v[4:5], off
	global_load_sbyte v14, v[4:5], off offset:8
	v_add_u32_e32 v0, 32, v0
	v_cmp_ge_i32_e32 vcc, v0, v13
	v_lshl_add_u64 v[4:5], v[4:5], 0, s[10:11]
	s_or_b64 s[2:3], vcc, s[2:3]
	s_waitcnt vmcnt(2)
	v_subrev_u32_e32 v1, s16, v1
	v_lshl_add_u32 v8, v1, 1, v1
	v_ashrrev_i32_e32 v9, 31, v8
	s_waitcnt lgkmcnt(0)
	v_lshl_add_u64 v[8:9], s[4:5], 0, v[8:9]
	global_load_ushort v1, v[8:9], off
	global_load_sbyte v16, v[8:9], off offset:2
	s_waitcnt vmcnt(3)
	v_lshrrev_b32_e32 v15, 16, v10
	v_lshrrev_b32_e32 v18, 8, v11
	;; [unrolled: 1-line block ×4, first 2 shown]
	v_bfe_i32 v17, v11, 0, 8
	v_lshrrev_b32_e32 v11, 24, v11
	s_waitcnt vmcnt(2)
	v_cvt_f32_i32_e32 v21, v14
	v_bfe_i32 v14, v15, 0, 8
	v_bfe_i32 v15, v18, 0, 8
	;; [unrolled: 1-line block ×4, first 2 shown]
	v_lshrrev_b32_e32 v10, 24, v10
	v_bfe_i32 v9, v9, 0, 8
	v_bfe_i32 v19, v11, 0, 8
	v_cvt_f32_i32_sdwa v11, sext(v17) dst_sel:DWORD dst_unused:UNUSED_PAD src0_sel:WORD_0
	v_cvt_f32_i32_sdwa v17, sext(v14) dst_sel:DWORD dst_unused:UNUSED_PAD src0_sel:WORD_0
	;; [unrolled: 1-line block ×3, first 2 shown]
	v_bfe_i32 v10, v10, 0, 8
	v_cvt_f32_i32_sdwa v8, sext(v8) dst_sel:DWORD dst_unused:UNUSED_PAD src0_sel:WORD_0
	v_cvt_f32_i32_sdwa v9, sext(v9) dst_sel:DWORD dst_unused:UNUSED_PAD src0_sel:WORD_0
	;; [unrolled: 1-line block ×5, first 2 shown]
	s_waitcnt vmcnt(1)
	v_bfe_i32 v18, v1, 0, 8
	v_lshrrev_b32_e32 v1, 8, v1
	v_cvt_f32_i32_sdwa v18, sext(v18) dst_sel:DWORD dst_unused:UNUSED_PAD src0_sel:WORD_0
	v_bfe_i32 v1, v1, 0, 8
	v_cvt_f32_i32_sdwa v20, sext(v1) dst_sel:DWORD dst_unused:UNUSED_PAD src0_sel:WORD_0
	s_waitcnt vmcnt(0)
	v_cvt_f32_i32_e32 v16, v16
	v_fmac_f32_e32 v12, v17, v18
	v_pk_fma_f32 v[6:7], v[8:9], v[18:19], v[6:7] op_sel_hi:[1,0,1]
	v_fmac_f32_e32 v12, v22, v20
	v_pk_fma_f32 v[6:7], v[10:11], v[20:21], v[6:7] op_sel_hi:[1,0,1]
	;; [unrolled: 2-line block ×3, first 2 shown]
	s_andn2_b64 exec, exec, s[2:3]
	s_cbranch_execnz .LBB78_22
; %bb.23:
	s_or_b64 exec, exec, s[2:3]
.LBB78_24:
	s_or_b64 exec, exec, s[6:7]
.LBB78_25:
	v_mov_b32_dpp v0, v6 row_shr:1 row_mask:0xf bank_mask:0xf
	v_mov_b32_dpp v1, v7 row_shr:1 row_mask:0xf bank_mask:0xf
	v_pk_add_f32 v[0:1], v[6:7], v[0:1]
	v_mov_b32_dpp v6, v12 row_shr:1 row_mask:0xf bank_mask:0xf
	v_add_f32_e32 v6, v12, v6
	v_mov_b32_dpp v4, v0 row_shr:2 row_mask:0xf bank_mask:0xf
	v_mov_b32_dpp v5, v1 row_shr:2 row_mask:0xf bank_mask:0xf
	;; [unrolled: 1-line block ×3, first 2 shown]
	v_pk_add_f32 v[0:1], v[0:1], v[4:5]
	v_add_f32_e32 v6, v6, v7
	v_cmp_eq_u32_e32 vcc, 31, v3
	v_mov_b32_dpp v4, v0 row_shr:4 row_mask:0xf bank_mask:0xe
	v_mov_b32_dpp v5, v1 row_shr:4 row_mask:0xf bank_mask:0xe
	;; [unrolled: 1-line block ×3, first 2 shown]
	v_pk_add_f32 v[0:1], v[0:1], v[4:5]
	v_add_f32_e32 v6, v6, v7
	s_nop 0
	v_mov_b32_dpp v4, v0 row_shr:8 row_mask:0xf bank_mask:0xc
	v_mov_b32_dpp v5, v1 row_shr:8 row_mask:0xf bank_mask:0xc
	;; [unrolled: 1-line block ×3, first 2 shown]
	v_pk_add_f32 v[0:1], v[0:1], v[4:5]
	v_add_f32_e32 v6, v6, v7
	s_nop 0
	v_mov_b32_dpp v4, v0 row_bcast:15 row_mask:0xa bank_mask:0xf
	v_mov_b32_dpp v5, v1 row_bcast:15 row_mask:0xa bank_mask:0xf
	;; [unrolled: 1-line block ×3, first 2 shown]
	s_and_b64 exec, exec, vcc
	s_cbranch_execz .LBB78_10
; %bb.26:
	s_load_dwordx2 s[0:1], s[0:1], 0x50
	v_pk_add_f32 v[4:5], v[0:1], v[4:5]
	v_add_f32_e32 v0, v6, v7
	v_cmp_eq_f32_e64 s[2:3], s14, 0
	v_lshl_add_u32 v6, v2, 1, v2
	s_and_b64 vcc, exec, s[2:3]
	v_mul_f32_e32 v2, s12, v0
	v_ashrrev_i32_e32 v7, 31, v6
	s_cbranch_vccz .LBB78_28
; %bb.27:
	s_waitcnt lgkmcnt(0)
	v_lshl_add_u64 v[8:9], v[6:7], 2, s[0:1]
	v_pk_mul_f32 v[0:1], s[12:13], v[4:5] op_sel_hi:[0,1]
	global_store_dwordx3 v[8:9], v[0:2], off
	s_cbranch_execnz .LBB78_10
	s_branch .LBB78_29
.LBB78_28:
.LBB78_29:
	s_waitcnt lgkmcnt(0)
	v_lshl_add_u64 v[10:11], v[6:7], 2, s[0:1]
	global_load_dwordx3 v[6:8], v[10:11], off
	v_pk_mul_f32 v[0:1], s[12:13], v[4:5] op_sel_hi:[0,1]
	s_waitcnt vmcnt(0)
	v_pk_fma_f32 v[0:1], s[14:15], v[6:7], v[0:1] op_sel_hi:[0,1,1]
	v_fmac_f32_e32 v2, s14, v8
	global_store_dwordx3 v[10:11], v[0:2], off
	s_endpgm
	.section	.rodata,"a",@progbits
	.p2align	6, 0x0
	.amdhsa_kernel _ZN9rocsparseL18bsrxmvn_3x3_kernelILj256ELj32EfiiaafEEvT3_20rocsparse_direction_NS_24const_host_device_scalarIT1_EES1_PKS1_PKT2_SA_S7_PKT4_PKT5_S5_PT6_21rocsparse_index_base_b
		.amdhsa_group_segment_fixed_size 0
		.amdhsa_private_segment_fixed_size 0
		.amdhsa_kernarg_size 96
		.amdhsa_user_sgpr_count 2
		.amdhsa_user_sgpr_dispatch_ptr 0
		.amdhsa_user_sgpr_queue_ptr 0
		.amdhsa_user_sgpr_kernarg_segment_ptr 1
		.amdhsa_user_sgpr_dispatch_id 0
		.amdhsa_user_sgpr_kernarg_preload_length 0
		.amdhsa_user_sgpr_kernarg_preload_offset 0
		.amdhsa_user_sgpr_private_segment_size 0
		.amdhsa_uses_dynamic_stack 0
		.amdhsa_enable_private_segment 0
		.amdhsa_system_sgpr_workgroup_id_x 1
		.amdhsa_system_sgpr_workgroup_id_y 0
		.amdhsa_system_sgpr_workgroup_id_z 0
		.amdhsa_system_sgpr_workgroup_info 0
		.amdhsa_system_vgpr_workitem_id 0
		.amdhsa_next_free_vgpr 26
		.amdhsa_next_free_sgpr 20
		.amdhsa_accum_offset 28
		.amdhsa_reserve_vcc 1
		.amdhsa_float_round_mode_32 0
		.amdhsa_float_round_mode_16_64 0
		.amdhsa_float_denorm_mode_32 3
		.amdhsa_float_denorm_mode_16_64 3
		.amdhsa_dx10_clamp 1
		.amdhsa_ieee_mode 1
		.amdhsa_fp16_overflow 0
		.amdhsa_tg_split 0
		.amdhsa_exception_fp_ieee_invalid_op 0
		.amdhsa_exception_fp_denorm_src 0
		.amdhsa_exception_fp_ieee_div_zero 0
		.amdhsa_exception_fp_ieee_overflow 0
		.amdhsa_exception_fp_ieee_underflow 0
		.amdhsa_exception_fp_ieee_inexact 0
		.amdhsa_exception_int_div_zero 0
	.end_amdhsa_kernel
	.section	.text._ZN9rocsparseL18bsrxmvn_3x3_kernelILj256ELj32EfiiaafEEvT3_20rocsparse_direction_NS_24const_host_device_scalarIT1_EES1_PKS1_PKT2_SA_S7_PKT4_PKT5_S5_PT6_21rocsparse_index_base_b,"axG",@progbits,_ZN9rocsparseL18bsrxmvn_3x3_kernelILj256ELj32EfiiaafEEvT3_20rocsparse_direction_NS_24const_host_device_scalarIT1_EES1_PKS1_PKT2_SA_S7_PKT4_PKT5_S5_PT6_21rocsparse_index_base_b,comdat
.Lfunc_end78:
	.size	_ZN9rocsparseL18bsrxmvn_3x3_kernelILj256ELj32EfiiaafEEvT3_20rocsparse_direction_NS_24const_host_device_scalarIT1_EES1_PKS1_PKT2_SA_S7_PKT4_PKT5_S5_PT6_21rocsparse_index_base_b, .Lfunc_end78-_ZN9rocsparseL18bsrxmvn_3x3_kernelILj256ELj32EfiiaafEEvT3_20rocsparse_direction_NS_24const_host_device_scalarIT1_EES1_PKS1_PKT2_SA_S7_PKT4_PKT5_S5_PT6_21rocsparse_index_base_b
                                        ; -- End function
	.section	.AMDGPU.csdata,"",@progbits
; Kernel info:
; codeLenInByte = 1568
; NumSgprs: 26
; NumVgprs: 26
; NumAgprs: 0
; TotalNumVgprs: 26
; ScratchSize: 0
; MemoryBound: 0
; FloatMode: 240
; IeeeMode: 1
; LDSByteSize: 0 bytes/workgroup (compile time only)
; SGPRBlocks: 3
; VGPRBlocks: 3
; NumSGPRsForWavesPerEU: 26
; NumVGPRsForWavesPerEU: 26
; AccumOffset: 28
; Occupancy: 8
; WaveLimiterHint : 1
; COMPUTE_PGM_RSRC2:SCRATCH_EN: 0
; COMPUTE_PGM_RSRC2:USER_SGPR: 2
; COMPUTE_PGM_RSRC2:TRAP_HANDLER: 0
; COMPUTE_PGM_RSRC2:TGID_X_EN: 1
; COMPUTE_PGM_RSRC2:TGID_Y_EN: 0
; COMPUTE_PGM_RSRC2:TGID_Z_EN: 0
; COMPUTE_PGM_RSRC2:TIDIG_COMP_CNT: 0
; COMPUTE_PGM_RSRC3_GFX90A:ACCUM_OFFSET: 6
; COMPUTE_PGM_RSRC3_GFX90A:TG_SPLIT: 0
	.section	.text._ZN9rocsparseL18bsrxmvn_3x3_kernelILj256ELj64EfiiaafEEvT3_20rocsparse_direction_NS_24const_host_device_scalarIT1_EES1_PKS1_PKT2_SA_S7_PKT4_PKT5_S5_PT6_21rocsparse_index_base_b,"axG",@progbits,_ZN9rocsparseL18bsrxmvn_3x3_kernelILj256ELj64EfiiaafEEvT3_20rocsparse_direction_NS_24const_host_device_scalarIT1_EES1_PKS1_PKT2_SA_S7_PKT4_PKT5_S5_PT6_21rocsparse_index_base_b,comdat
	.globl	_ZN9rocsparseL18bsrxmvn_3x3_kernelILj256ELj64EfiiaafEEvT3_20rocsparse_direction_NS_24const_host_device_scalarIT1_EES1_PKS1_PKT2_SA_S7_PKT4_PKT5_S5_PT6_21rocsparse_index_base_b ; -- Begin function _ZN9rocsparseL18bsrxmvn_3x3_kernelILj256ELj64EfiiaafEEvT3_20rocsparse_direction_NS_24const_host_device_scalarIT1_EES1_PKS1_PKT2_SA_S7_PKT4_PKT5_S5_PT6_21rocsparse_index_base_b
	.p2align	8
	.type	_ZN9rocsparseL18bsrxmvn_3x3_kernelILj256ELj64EfiiaafEEvT3_20rocsparse_direction_NS_24const_host_device_scalarIT1_EES1_PKS1_PKT2_SA_S7_PKT4_PKT5_S5_PT6_21rocsparse_index_base_b,@function
_ZN9rocsparseL18bsrxmvn_3x3_kernelILj256ELj64EfiiaafEEvT3_20rocsparse_direction_NS_24const_host_device_scalarIT1_EES1_PKS1_PKT2_SA_S7_PKT4_PKT5_S5_PT6_21rocsparse_index_base_b: ; @_ZN9rocsparseL18bsrxmvn_3x3_kernelILj256ELj64EfiiaafEEvT3_20rocsparse_direction_NS_24const_host_device_scalarIT1_EES1_PKS1_PKT2_SA_S7_PKT4_PKT5_S5_PT6_21rocsparse_index_base_b
; %bb.0:
	s_load_dwordx2 s[16:17], s[0:1], 0x58
	s_load_dwordx2 s[12:13], s[0:1], 0x8
	s_load_dwordx2 s[14:15], s[0:1], 0x48
	s_waitcnt lgkmcnt(0)
	s_bitcmp1_b32 s17, 0
	s_cselect_b64 s[6:7], -1, 0
	s_xor_b64 s[4:5], s[6:7], -1
	s_and_b64 vcc, exec, s[6:7]
	s_cbranch_vccnz .LBB79_2
; %bb.1:
	s_load_dword s12, s[12:13], 0x0
.LBB79_2:
	s_andn2_b64 vcc, exec, s[4:5]
	s_cbranch_vccnz .LBB79_4
; %bb.3:
	s_load_dword s14, s[14:15], 0x0
.LBB79_4:
	s_waitcnt lgkmcnt(0)
	v_cmp_neq_f32_e64 s[4:5], s12, 0
	v_cmp_neq_f32_e64 s[6:7], s14, 1.0
	s_or_b64 s[4:5], s[4:5], s[6:7]
	s_andn2_b64 vcc, exec, s[4:5]
	s_cbranch_vccnz .LBB79_10
; %bb.5:
	s_load_dwordx2 s[4:5], s[0:1], 0x18
	s_load_dwordx2 s[18:19], s[0:1], 0x0
	v_lshrrev_b32_e32 v1, 6, v0
	v_lshl_or_b32 v2, s2, 2, v1
	s_mov_b64 s[2:3], 0
	s_waitcnt lgkmcnt(0)
	s_cmp_lg_u64 s[4:5], 0
	s_cbranch_scc0 .LBB79_11
; %bb.6:
	s_load_dword s6, s[0:1], 0x10
                                        ; implicit-def: $vgpr1
	s_waitcnt lgkmcnt(0)
	v_cmp_gt_i32_e32 vcc, s6, v2
	s_and_saveexec_b64 s[6:7], vcc
	s_xor_b64 s[6:7], exec, s[6:7]
	s_cbranch_execz .LBB79_8
; %bb.7:
	v_ashrrev_i32_e32 v3, 31, v2
	v_lshl_add_u64 v[4:5], v[2:3], 2, s[4:5]
	global_load_dword v1, v[4:5], off
	s_mov_b64 s[2:3], exec
	s_waitcnt vmcnt(0)
	v_subrev_u32_e32 v1, s16, v1
.LBB79_8:
	s_or_b64 exec, exec, s[6:7]
	s_branch .LBB79_12
.LBB79_9:
	v_cmp_gt_i32_e32 vcc, s18, v2
	s_andn2_b64 s[2:3], s[2:3], exec
	s_and_b64 s[4:5], vcc, exec
	s_or_b64 s[2:3], s[2:3], s[4:5]
	s_and_saveexec_b64 s[4:5], s[2:3]
	s_cbranch_execnz .LBB79_13
.LBB79_10:
	s_endpgm
.LBB79_11:
                                        ; implicit-def: $vgpr1
	s_cbranch_execnz .LBB79_9
.LBB79_12:
	v_mov_b32_e32 v2, v1
	s_and_saveexec_b64 s[4:5], s[2:3]
	s_cbranch_execz .LBB79_10
.LBB79_13:
	s_load_dwordx8 s[4:11], s[0:1], 0x20
	v_ashrrev_i32_e32 v3, 31, v2
	v_lshlrev_b64 v[4:5], 2, v[2:3]
	v_and_b32_e32 v3, 63, v0
	s_waitcnt lgkmcnt(0)
	v_lshl_add_u64 v[6:7], s[4:5], 0, v[4:5]
	s_cmp_eq_u64 s[6:7], 0
	global_load_dword v1, v[6:7], off
	v_lshl_add_u64 v[6:7], v[6:7], 0, 4
	v_lshl_add_u64 v[4:5], s[6:7], 0, v[4:5]
	s_cselect_b64 vcc, -1, 0
	v_cndmask_b32_e32 v5, v5, v7, vcc
	v_cndmask_b32_e32 v4, v4, v6, vcc
	global_load_dword v4, v[4:5], off
	s_load_dwordx2 s[4:5], s[0:1], 0x40
	s_cmp_eq_u32 s19, 1
	s_waitcnt vmcnt(1)
	v_subrev_u32_e32 v0, s16, v1
	v_add_u32_e32 v0, v0, v3
	s_waitcnt vmcnt(0)
	v_subrev_u32_e32 v13, s16, v4
	v_mad_i64_i32 v[4:5], s[2:3], v0, 9, s[10:11]
	v_cmp_lt_i32_e64 s[2:3], v0, v13
	s_cbranch_scc1 .LBB79_19
; %bb.14:
	v_mov_b32_e32 v7, 0
	v_mov_b32_e32 v6, v7
	;; [unrolled: 1-line block ×3, first 2 shown]
	s_and_saveexec_b64 s[6:7], s[2:3]
	s_cbranch_execz .LBB79_18
; %bb.15:
	v_mov_b32_e32 v12, 0
	s_mov_b64 s[10:11], 0
	s_mov_b64 s[18:19], 0x240
	v_mov_b64_e32 v[8:9], v[4:5]
	v_mov_b32_e32 v10, v0
	v_mov_b32_e32 v7, 0
	;; [unrolled: 1-line block ×3, first 2 shown]
.LBB79_16:                              ; =>This Inner Loop Header: Depth=1
	v_ashrrev_i32_e32 v11, 31, v10
	v_lshl_add_u64 v[14:15], v[10:11], 2, s[8:9]
	global_load_dword v1, v[14:15], off
	global_load_dwordx2 v[16:17], v[8:9], off
	global_load_sbyte v11, v[8:9], off offset:8
	v_add_u32_e32 v10, 64, v10
	v_cmp_ge_i32_e32 vcc, v10, v13
	v_lshl_add_u64 v[8:9], v[8:9], 0, s[18:19]
	s_or_b64 s[10:11], vcc, s[10:11]
	s_waitcnt vmcnt(2)
	v_subrev_u32_e32 v1, s16, v1
	v_lshl_add_u32 v14, v1, 1, v1
	v_ashrrev_i32_e32 v15, 31, v14
	s_waitcnt lgkmcnt(0)
	v_lshl_add_u64 v[14:15], s[4:5], 0, v[14:15]
	global_load_ushort v1, v[14:15], off
	global_load_sbyte v18, v[14:15], off offset:2
	s_waitcnt vmcnt(3)
	v_bfe_i32 v14, v16, 0, 8
	v_lshrrev_b32_e32 v15, 8, v16
	v_lshrrev_b32_e32 v19, 16, v16
	;; [unrolled: 1-line block ×3, first 2 shown]
	v_bfe_i32 v20, v17, 0, 8
	v_lshrrev_b32_e32 v22, 16, v17
	v_lshrrev_b32_e32 v21, 8, v17
	;; [unrolled: 1-line block ×3, first 2 shown]
	v_bfe_i32 v23, v15, 0, 8
	v_bfe_i32 v19, v19, 0, 8
	;; [unrolled: 1-line block ×4, first 2 shown]
	v_cvt_f32_i32_sdwa v15, sext(v20) dst_sel:DWORD dst_unused:UNUSED_PAD src0_sel:WORD_0
	v_bfe_i32 v21, v21, 0, 8
	v_bfe_i32 v24, v17, 0, 8
	v_cvt_f32_i32_sdwa v25, sext(v14) dst_sel:DWORD dst_unused:UNUSED_PAD src0_sel:WORD_0
	v_cvt_f32_i32_sdwa v14, sext(v23) dst_sel:DWORD dst_unused:UNUSED_PAD src0_sel:WORD_0
	;; [unrolled: 1-line block ×7, first 2 shown]
	s_waitcnt vmcnt(2)
	v_cvt_f32_i32_e32 v11, v11
	s_waitcnt vmcnt(1)
	v_bfe_i32 v20, v1, 0, 8
	v_lshrrev_b32_e32 v1, 8, v1
	v_cvt_f32_i32_sdwa v22, sext(v20) dst_sel:DWORD dst_unused:UNUSED_PAD src0_sel:WORD_0
	v_bfe_i32 v1, v1, 0, 8
	v_cvt_f32_i32_sdwa v20, sext(v1) dst_sel:DWORD dst_unused:UNUSED_PAD src0_sel:WORD_0
	s_waitcnt vmcnt(0)
	v_cvt_f32_i32_e32 v18, v18
	v_fmac_f32_e32 v6, v25, v22
	v_fmac_f32_e32 v7, v23, v22
	;; [unrolled: 1-line block ×3, first 2 shown]
	v_pk_fma_f32 v[6:7], v[14:15], v[20:21], v[6:7] op_sel_hi:[1,0,1]
	v_fmac_f32_e32 v12, v21, v20
	v_pk_fma_f32 v[6:7], v[16:17], v[18:19], v[6:7] op_sel_hi:[1,0,1]
	v_fmac_f32_e32 v12, v11, v18
	s_andn2_b64 exec, exec, s[10:11]
	s_cbranch_execnz .LBB79_16
; %bb.17:
	s_or_b64 exec, exec, s[10:11]
.LBB79_18:
	s_or_b64 exec, exec, s[6:7]
	s_cbranch_execz .LBB79_20
	s_branch .LBB79_25
.LBB79_19:
                                        ; implicit-def: $vgpr7
                                        ; implicit-def: $vgpr12
.LBB79_20:
	v_mov_b32_e32 v7, 0
	v_mov_b32_e32 v6, v7
	;; [unrolled: 1-line block ×3, first 2 shown]
	s_and_saveexec_b64 s[6:7], s[2:3]
	s_cbranch_execz .LBB79_24
; %bb.21:
	v_mov_b32_e32 v12, 0
	s_mov_b64 s[2:3], 0
	s_mov_b64 s[10:11], 0x240
	v_mov_b32_e32 v6, 0
	v_mov_b32_e32 v7, v12
.LBB79_22:                              ; =>This Inner Loop Header: Depth=1
	v_ashrrev_i32_e32 v1, 31, v0
	v_lshl_add_u64 v[8:9], v[0:1], 2, s[8:9]
	global_load_dword v1, v[8:9], off
	global_load_dwordx2 v[10:11], v[4:5], off
	global_load_sbyte v14, v[4:5], off offset:8
	v_add_u32_e32 v0, 64, v0
	v_cmp_ge_i32_e32 vcc, v0, v13
	v_lshl_add_u64 v[4:5], v[4:5], 0, s[10:11]
	s_or_b64 s[2:3], vcc, s[2:3]
	s_waitcnt vmcnt(2)
	v_subrev_u32_e32 v1, s16, v1
	v_lshl_add_u32 v8, v1, 1, v1
	v_ashrrev_i32_e32 v9, 31, v8
	s_waitcnt lgkmcnt(0)
	v_lshl_add_u64 v[8:9], s[4:5], 0, v[8:9]
	global_load_ushort v1, v[8:9], off
	global_load_sbyte v16, v[8:9], off offset:2
	s_waitcnt vmcnt(3)
	v_lshrrev_b32_e32 v8, 8, v10
	v_bfe_i32 v17, v11, 0, 8
	v_lshrrev_b32_e32 v19, 16, v11
	v_bfe_i32 v9, v10, 0, 8
	v_lshrrev_b32_e32 v15, 16, v10
	v_lshrrev_b32_e32 v18, 8, v11
	;; [unrolled: 1-line block ×3, first 2 shown]
	s_waitcnt vmcnt(2)
	v_cvt_f32_i32_e32 v21, v14
	v_bfe_i32 v14, v8, 0, 8
	v_cvt_f32_i32_sdwa v11, sext(v17) dst_sel:DWORD dst_unused:UNUSED_PAD src0_sel:WORD_0
	v_bfe_i32 v17, v19, 0, 8
	v_lshrrev_b32_e32 v10, 24, v10
	v_bfe_i32 v15, v15, 0, 8
	v_bfe_i32 v18, v18, 0, 8
	v_cvt_f32_i32_sdwa v8, sext(v9) dst_sel:DWORD dst_unused:UNUSED_PAD src0_sel:WORD_0
	v_cvt_f32_i32_sdwa v9, sext(v14) dst_sel:DWORD dst_unused:UNUSED_PAD src0_sel:WORD_0
	;; [unrolled: 1-line block ×3, first 2 shown]
	v_bfe_i32 v10, v10, 0, 8
	v_cvt_f32_i32_sdwa v22, sext(v15) dst_sel:DWORD dst_unused:UNUSED_PAD src0_sel:WORD_0
	v_cvt_f32_i32_sdwa v23, sext(v18) dst_sel:DWORD dst_unused:UNUSED_PAD src0_sel:WORD_0
	v_bfe_i32 v19, v20, 0, 8
	v_cvt_f32_i32_sdwa v10, sext(v10) dst_sel:DWORD dst_unused:UNUSED_PAD src0_sel:WORD_0
	v_cvt_f32_i32_sdwa v15, sext(v19) dst_sel:DWORD dst_unused:UNUSED_PAD src0_sel:WORD_0
	s_waitcnt vmcnt(1)
	v_bfe_i32 v17, v1, 0, 8
	v_lshrrev_b32_e32 v1, 8, v1
	v_cvt_f32_i32_sdwa v18, sext(v17) dst_sel:DWORD dst_unused:UNUSED_PAD src0_sel:WORD_0
	v_bfe_i32 v1, v1, 0, 8
	v_cvt_f32_i32_sdwa v20, sext(v1) dst_sel:DWORD dst_unused:UNUSED_PAD src0_sel:WORD_0
	s_waitcnt vmcnt(0)
	v_cvt_f32_i32_e32 v16, v16
	v_pk_fma_f32 v[6:7], v[8:9], v[18:19], v[6:7] op_sel_hi:[1,0,1]
	v_fmac_f32_e32 v12, v22, v18
	v_fmac_f32_e32 v12, v23, v20
	v_pk_fma_f32 v[6:7], v[10:11], v[20:21], v[6:7] op_sel_hi:[1,0,1]
	v_fmac_f32_e32 v12, v21, v16
	v_pk_fma_f32 v[6:7], v[14:15], v[16:17], v[6:7] op_sel_hi:[1,0,1]
	s_andn2_b64 exec, exec, s[2:3]
	s_cbranch_execnz .LBB79_22
; %bb.23:
	s_or_b64 exec, exec, s[2:3]
.LBB79_24:
	s_or_b64 exec, exec, s[6:7]
.LBB79_25:
	v_mov_b32_dpp v0, v6 row_shr:1 row_mask:0xf bank_mask:0xf
	v_mov_b32_dpp v1, v7 row_shr:1 row_mask:0xf bank_mask:0xf
	v_pk_add_f32 v[0:1], v[6:7], v[0:1]
	v_mov_b32_dpp v6, v12 row_shr:1 row_mask:0xf bank_mask:0xf
	v_add_f32_e32 v6, v12, v6
	v_mov_b32_dpp v4, v0 row_shr:2 row_mask:0xf bank_mask:0xf
	v_mov_b32_dpp v5, v1 row_shr:2 row_mask:0xf bank_mask:0xf
	;; [unrolled: 1-line block ×3, first 2 shown]
	v_pk_add_f32 v[0:1], v[0:1], v[4:5]
	v_add_f32_e32 v6, v6, v7
	v_cmp_eq_u32_e32 vcc, 63, v3
	v_mov_b32_dpp v4, v0 row_shr:4 row_mask:0xf bank_mask:0xe
	v_mov_b32_dpp v5, v1 row_shr:4 row_mask:0xf bank_mask:0xe
	;; [unrolled: 1-line block ×3, first 2 shown]
	v_pk_add_f32 v[0:1], v[0:1], v[4:5]
	v_add_f32_e32 v6, v6, v7
	s_nop 0
	v_mov_b32_dpp v4, v0 row_shr:8 row_mask:0xf bank_mask:0xc
	v_mov_b32_dpp v5, v1 row_shr:8 row_mask:0xf bank_mask:0xc
	;; [unrolled: 1-line block ×3, first 2 shown]
	v_pk_add_f32 v[0:1], v[0:1], v[4:5]
	v_add_f32_e32 v6, v6, v7
	s_nop 0
	v_mov_b32_dpp v4, v0 row_bcast:15 row_mask:0xa bank_mask:0xf
	v_mov_b32_dpp v5, v1 row_bcast:15 row_mask:0xa bank_mask:0xf
	v_mov_b32_dpp v7, v6 row_bcast:15 row_mask:0xa bank_mask:0xf
	v_pk_add_f32 v[0:1], v[0:1], v[4:5]
	v_add_f32_e32 v6, v6, v7
	s_nop 0
	v_mov_b32_dpp v4, v0 row_bcast:31 row_mask:0xc bank_mask:0xf
	v_mov_b32_dpp v5, v1 row_bcast:31 row_mask:0xc bank_mask:0xf
	;; [unrolled: 1-line block ×3, first 2 shown]
	s_and_b64 exec, exec, vcc
	s_cbranch_execz .LBB79_10
; %bb.26:
	s_load_dwordx2 s[0:1], s[0:1], 0x50
	v_pk_add_f32 v[4:5], v[0:1], v[4:5]
	v_add_f32_e32 v0, v6, v7
	v_cmp_eq_f32_e64 s[2:3], s14, 0
	v_lshl_add_u32 v6, v2, 1, v2
	s_and_b64 vcc, exec, s[2:3]
	v_mul_f32_e32 v2, s12, v0
	v_ashrrev_i32_e32 v7, 31, v6
	s_cbranch_vccz .LBB79_28
; %bb.27:
	s_waitcnt lgkmcnt(0)
	v_lshl_add_u64 v[8:9], v[6:7], 2, s[0:1]
	v_pk_mul_f32 v[0:1], s[12:13], v[4:5] op_sel_hi:[0,1]
	global_store_dwordx3 v[8:9], v[0:2], off
	s_cbranch_execnz .LBB79_10
	s_branch .LBB79_29
.LBB79_28:
.LBB79_29:
	s_waitcnt lgkmcnt(0)
	v_lshl_add_u64 v[10:11], v[6:7], 2, s[0:1]
	global_load_dwordx3 v[6:8], v[10:11], off
	v_pk_mul_f32 v[0:1], s[12:13], v[4:5] op_sel_hi:[0,1]
	s_waitcnt vmcnt(0)
	v_pk_fma_f32 v[0:1], s[14:15], v[6:7], v[0:1] op_sel_hi:[0,1,1]
	v_fmac_f32_e32 v2, s14, v8
	global_store_dwordx3 v[10:11], v[0:2], off
	s_endpgm
	.section	.rodata,"a",@progbits
	.p2align	6, 0x0
	.amdhsa_kernel _ZN9rocsparseL18bsrxmvn_3x3_kernelILj256ELj64EfiiaafEEvT3_20rocsparse_direction_NS_24const_host_device_scalarIT1_EES1_PKS1_PKT2_SA_S7_PKT4_PKT5_S5_PT6_21rocsparse_index_base_b
		.amdhsa_group_segment_fixed_size 0
		.amdhsa_private_segment_fixed_size 0
		.amdhsa_kernarg_size 96
		.amdhsa_user_sgpr_count 2
		.amdhsa_user_sgpr_dispatch_ptr 0
		.amdhsa_user_sgpr_queue_ptr 0
		.amdhsa_user_sgpr_kernarg_segment_ptr 1
		.amdhsa_user_sgpr_dispatch_id 0
		.amdhsa_user_sgpr_kernarg_preload_length 0
		.amdhsa_user_sgpr_kernarg_preload_offset 0
		.amdhsa_user_sgpr_private_segment_size 0
		.amdhsa_uses_dynamic_stack 0
		.amdhsa_enable_private_segment 0
		.amdhsa_system_sgpr_workgroup_id_x 1
		.amdhsa_system_sgpr_workgroup_id_y 0
		.amdhsa_system_sgpr_workgroup_id_z 0
		.amdhsa_system_sgpr_workgroup_info 0
		.amdhsa_system_vgpr_workitem_id 0
		.amdhsa_next_free_vgpr 26
		.amdhsa_next_free_sgpr 20
		.amdhsa_accum_offset 28
		.amdhsa_reserve_vcc 1
		.amdhsa_float_round_mode_32 0
		.amdhsa_float_round_mode_16_64 0
		.amdhsa_float_denorm_mode_32 3
		.amdhsa_float_denorm_mode_16_64 3
		.amdhsa_dx10_clamp 1
		.amdhsa_ieee_mode 1
		.amdhsa_fp16_overflow 0
		.amdhsa_tg_split 0
		.amdhsa_exception_fp_ieee_invalid_op 0
		.amdhsa_exception_fp_denorm_src 0
		.amdhsa_exception_fp_ieee_div_zero 0
		.amdhsa_exception_fp_ieee_overflow 0
		.amdhsa_exception_fp_ieee_underflow 0
		.amdhsa_exception_fp_ieee_inexact 0
		.amdhsa_exception_int_div_zero 0
	.end_amdhsa_kernel
	.section	.text._ZN9rocsparseL18bsrxmvn_3x3_kernelILj256ELj64EfiiaafEEvT3_20rocsparse_direction_NS_24const_host_device_scalarIT1_EES1_PKS1_PKT2_SA_S7_PKT4_PKT5_S5_PT6_21rocsparse_index_base_b,"axG",@progbits,_ZN9rocsparseL18bsrxmvn_3x3_kernelILj256ELj64EfiiaafEEvT3_20rocsparse_direction_NS_24const_host_device_scalarIT1_EES1_PKS1_PKT2_SA_S7_PKT4_PKT5_S5_PT6_21rocsparse_index_base_b,comdat
.Lfunc_end79:
	.size	_ZN9rocsparseL18bsrxmvn_3x3_kernelILj256ELj64EfiiaafEEvT3_20rocsparse_direction_NS_24const_host_device_scalarIT1_EES1_PKS1_PKT2_SA_S7_PKT4_PKT5_S5_PT6_21rocsparse_index_base_b, .Lfunc_end79-_ZN9rocsparseL18bsrxmvn_3x3_kernelILj256ELj64EfiiaafEEvT3_20rocsparse_direction_NS_24const_host_device_scalarIT1_EES1_PKS1_PKT2_SA_S7_PKT4_PKT5_S5_PT6_21rocsparse_index_base_b
                                        ; -- End function
	.section	.AMDGPU.csdata,"",@progbits
; Kernel info:
; codeLenInByte = 1608
; NumSgprs: 26
; NumVgprs: 26
; NumAgprs: 0
; TotalNumVgprs: 26
; ScratchSize: 0
; MemoryBound: 0
; FloatMode: 240
; IeeeMode: 1
; LDSByteSize: 0 bytes/workgroup (compile time only)
; SGPRBlocks: 3
; VGPRBlocks: 3
; NumSGPRsForWavesPerEU: 26
; NumVGPRsForWavesPerEU: 26
; AccumOffset: 28
; Occupancy: 8
; WaveLimiterHint : 1
; COMPUTE_PGM_RSRC2:SCRATCH_EN: 0
; COMPUTE_PGM_RSRC2:USER_SGPR: 2
; COMPUTE_PGM_RSRC2:TRAP_HANDLER: 0
; COMPUTE_PGM_RSRC2:TGID_X_EN: 1
; COMPUTE_PGM_RSRC2:TGID_Y_EN: 0
; COMPUTE_PGM_RSRC2:TGID_Z_EN: 0
; COMPUTE_PGM_RSRC2:TIDIG_COMP_CNT: 0
; COMPUTE_PGM_RSRC3_GFX90A:ACCUM_OFFSET: 6
; COMPUTE_PGM_RSRC3_GFX90A:TG_SPLIT: 0
	.section	.text._ZN9rocsparseL18bsrxmvn_3x3_kernelILj256ELj4EfliaafEEvT3_20rocsparse_direction_NS_24const_host_device_scalarIT1_EES1_PKS1_PKT2_SA_S7_PKT4_PKT5_S5_PT6_21rocsparse_index_base_b,"axG",@progbits,_ZN9rocsparseL18bsrxmvn_3x3_kernelILj256ELj4EfliaafEEvT3_20rocsparse_direction_NS_24const_host_device_scalarIT1_EES1_PKS1_PKT2_SA_S7_PKT4_PKT5_S5_PT6_21rocsparse_index_base_b,comdat
	.globl	_ZN9rocsparseL18bsrxmvn_3x3_kernelILj256ELj4EfliaafEEvT3_20rocsparse_direction_NS_24const_host_device_scalarIT1_EES1_PKS1_PKT2_SA_S7_PKT4_PKT5_S5_PT6_21rocsparse_index_base_b ; -- Begin function _ZN9rocsparseL18bsrxmvn_3x3_kernelILj256ELj4EfliaafEEvT3_20rocsparse_direction_NS_24const_host_device_scalarIT1_EES1_PKS1_PKT2_SA_S7_PKT4_PKT5_S5_PT6_21rocsparse_index_base_b
	.p2align	8
	.type	_ZN9rocsparseL18bsrxmvn_3x3_kernelILj256ELj4EfliaafEEvT3_20rocsparse_direction_NS_24const_host_device_scalarIT1_EES1_PKS1_PKT2_SA_S7_PKT4_PKT5_S5_PT6_21rocsparse_index_base_b,@function
_ZN9rocsparseL18bsrxmvn_3x3_kernelILj256ELj4EfliaafEEvT3_20rocsparse_direction_NS_24const_host_device_scalarIT1_EES1_PKS1_PKT2_SA_S7_PKT4_PKT5_S5_PT6_21rocsparse_index_base_b: ; @_ZN9rocsparseL18bsrxmvn_3x3_kernelILj256ELj4EfliaafEEvT3_20rocsparse_direction_NS_24const_host_device_scalarIT1_EES1_PKS1_PKT2_SA_S7_PKT4_PKT5_S5_PT6_21rocsparse_index_base_b
; %bb.0:
	s_load_dwordx2 s[16:17], s[0:1], 0x58
	s_load_dwordx2 s[12:13], s[0:1], 0x8
	;; [unrolled: 1-line block ×3, first 2 shown]
	s_waitcnt lgkmcnt(0)
	s_bitcmp1_b32 s17, 0
	s_cselect_b64 s[6:7], -1, 0
	s_xor_b64 s[4:5], s[6:7], -1
	s_and_b64 vcc, exec, s[6:7]
	s_cbranch_vccnz .LBB80_2
; %bb.1:
	s_load_dword s12, s[12:13], 0x0
.LBB80_2:
	s_andn2_b64 vcc, exec, s[4:5]
	s_cbranch_vccnz .LBB80_4
; %bb.3:
	s_load_dword s14, s[14:15], 0x0
.LBB80_4:
	s_waitcnt lgkmcnt(0)
	v_cmp_neq_f32_e64 s[4:5], s12, 0
	v_cmp_neq_f32_e64 s[6:7], s14, 1.0
	s_or_b64 s[4:5], s[4:5], s[6:7]
	s_andn2_b64 vcc, exec, s[4:5]
	s_cbranch_vccnz .LBB80_10
; %bb.5:
	s_load_dwordx2 s[4:5], s[0:1], 0x18
	s_load_dwordx2 s[18:19], s[0:1], 0x0
	v_lshrrev_b32_e32 v1, 2, v0
	v_lshl_or_b32 v2, s2, 6, v1
	s_mov_b64 s[2:3], 0
	s_waitcnt lgkmcnt(0)
	s_cmp_lg_u64 s[4:5], 0
	s_cbranch_scc0 .LBB80_11
; %bb.6:
	s_load_dword s6, s[0:1], 0x10
                                        ; implicit-def: $vgpr1
	s_waitcnt lgkmcnt(0)
	v_cmp_gt_i32_e32 vcc, s6, v2
	s_and_saveexec_b64 s[6:7], vcc
	s_xor_b64 s[6:7], exec, s[6:7]
	s_cbranch_execz .LBB80_8
; %bb.7:
	v_ashrrev_i32_e32 v3, 31, v2
	v_lshl_add_u64 v[4:5], v[2:3], 2, s[4:5]
	global_load_dword v1, v[4:5], off
	s_mov_b64 s[2:3], exec
	s_waitcnt vmcnt(0)
	v_subrev_u32_e32 v1, s16, v1
.LBB80_8:
	s_or_b64 exec, exec, s[6:7]
	s_branch .LBB80_12
.LBB80_9:
	v_cmp_gt_i32_e32 vcc, s18, v2
	s_andn2_b64 s[2:3], s[2:3], exec
	s_and_b64 s[4:5], vcc, exec
	s_or_b64 s[2:3], s[2:3], s[4:5]
	s_and_saveexec_b64 s[4:5], s[2:3]
	s_cbranch_execnz .LBB80_13
.LBB80_10:
	s_endpgm
.LBB80_11:
                                        ; implicit-def: $vgpr1
	s_cbranch_execnz .LBB80_9
.LBB80_12:
	v_mov_b32_e32 v2, v1
	s_and_saveexec_b64 s[4:5], s[2:3]
	s_cbranch_execz .LBB80_10
.LBB80_13:
	s_load_dwordx8 s[4:11], s[0:1], 0x20
	v_ashrrev_i32_e32 v3, 31, v2
	v_lshlrev_b64 v[4:5], 3, v[2:3]
	v_and_b32_e32 v0, 3, v0
	s_waitcnt lgkmcnt(0)
	v_lshl_add_u64 v[6:7], s[4:5], 0, v[4:5]
	s_cmp_eq_u64 s[6:7], 0
	v_lshl_add_u64 v[4:5], s[6:7], 0, v[4:5]
	global_load_dwordx2 v[8:9], v[6:7], off
	v_lshl_add_u64 v[6:7], v[6:7], 0, 8
	s_cselect_b64 vcc, -1, 0
	v_cndmask_b32_e32 v5, v5, v7, vcc
	v_cndmask_b32_e32 v4, v4, v6, vcc
	global_load_dwordx2 v[10:11], v[4:5], off
	v_mov_b32_e32 v5, 0
	v_mov_b32_e32 v1, v5
	s_load_dwordx2 s[4:5], s[0:1], 0x40
	s_cmp_eq_u32 s19, 1
	s_waitcnt vmcnt(1)
	v_subrev_co_u32_e32 v6, vcc, s16, v8
	s_nop 1
	v_subbrev_co_u32_e32 v7, vcc, 0, v9, vcc
	v_lshl_add_u64 v[6:7], v[6:7], 0, v[0:1]
	s_waitcnt vmcnt(0)
	v_subrev_co_u32_e32 v8, vcc, s16, v10
	s_nop 1
	v_subbrev_co_u32_e32 v9, vcc, 0, v11, vcc
	v_mad_u64_u32 v[10:11], s[2:3], v6, 9, 0
	v_mov_b32_e32 v4, v11
	v_mad_u64_u32 v[12:13], s[2:3], v7, 9, v[4:5]
	v_mov_b32_e32 v11, v12
	v_cmp_lt_i64_e64 s[2:3], v[6:7], v[8:9]
	s_cbranch_scc1 .LBB80_19
; %bb.14:
	v_mov_b32_e32 v4, 0
	v_mov_b32_e32 v1, 0
	s_and_saveexec_b64 s[6:7], s[2:3]
	s_cbranch_execz .LBB80_18
; %bb.15:
	v_mov_b32_e32 v1, 0
	v_lshl_add_u64 v[12:13], s[10:11], 0, v[10:11]
	v_lshl_add_u64 v[14:15], v[6:7], 2, s[8:9]
	s_mov_b64 s[18:19], 0
	v_mov_b64_e32 v[16:17], v[6:7]
	v_mov_b32_e32 v4, 0
	v_mov_b32_e32 v5, v1
.LBB80_16:                              ; =>This Inner Loop Header: Depth=1
	global_load_dword v3, v[14:15], off
	global_load_dwordx2 v[18:19], v[12:13], off
	global_load_sbyte v22, v[12:13], off offset:8
	v_lshl_add_u64 v[16:17], v[16:17], 0, 4
	v_cmp_ge_i64_e32 vcc, v[16:17], v[8:9]
	v_lshl_add_u64 v[12:13], v[12:13], 0, 36
	v_lshl_add_u64 v[14:15], v[14:15], 0, 16
	s_or_b64 s[18:19], vcc, s[18:19]
	s_waitcnt vmcnt(2)
	v_subrev_u32_e32 v3, s16, v3
	v_lshl_add_u32 v20, v3, 1, v3
	v_ashrrev_i32_e32 v21, 31, v20
	s_waitcnt lgkmcnt(0)
	v_lshl_add_u64 v[20:21], s[4:5], 0, v[20:21]
	global_load_ushort v3, v[20:21], off
	global_load_sbyte v24, v[20:21], off offset:2
	s_waitcnt vmcnt(3)
	v_bfe_i32 v20, v18, 0, 8
	v_lshrrev_b32_e32 v21, 8, v18
	v_lshrrev_b32_e32 v23, 16, v18
	;; [unrolled: 1-line block ×4, first 2 shown]
	v_bfe_i32 v25, v19, 0, 8
	v_lshrrev_b32_e32 v27, 16, v19
	v_lshrrev_b32_e32 v19, 24, v19
	v_bfe_i32 v28, v23, 0, 8
	v_bfe_i32 v23, v18, 0, 8
	;; [unrolled: 1-line block ×5, first 2 shown]
	v_cvt_f32_i32_sdwa v19, sext(v23) dst_sel:DWORD dst_unused:UNUSED_PAD src0_sel:WORD_0
	v_cvt_f32_i32_sdwa v23, sext(v26) dst_sel:DWORD dst_unused:UNUSED_PAD src0_sel:WORD_0
	s_waitcnt vmcnt(2)
	v_cvt_f32_i32_e32 v29, v22
	v_bfe_i32 v22, v21, 0, 8
	v_cvt_f32_i32_sdwa v18, sext(v20) dst_sel:DWORD dst_unused:UNUSED_PAD src0_sel:WORD_0
	v_cvt_f32_i32_sdwa v21, sext(v25) dst_sel:DWORD dst_unused:UNUSED_PAD src0_sel:WORD_0
	;; [unrolled: 1-line block ×6, first 2 shown]
	s_waitcnt vmcnt(1)
	v_bfe_i32 v26, v3, 0, 8
	v_lshrrev_b32_e32 v3, 8, v3
	v_cvt_f32_i32_sdwa v26, sext(v26) dst_sel:DWORD dst_unused:UNUSED_PAD src0_sel:WORD_0
	v_bfe_i32 v3, v3, 0, 8
	v_cvt_f32_i32_sdwa v28, sext(v3) dst_sel:DWORD dst_unused:UNUSED_PAD src0_sel:WORD_0
	s_waitcnt vmcnt(0)
	v_cvt_f32_i32_e32 v24, v24
	v_pk_fma_f32 v[4:5], v[18:19], v[26:27], v[4:5] op_sel_hi:[1,0,1]
	v_fmac_f32_e32 v1, v25, v26
	v_pk_fma_f32 v[4:5], v[20:21], v[28:29], v[4:5] op_sel_hi:[1,0,1]
	v_fmac_f32_e32 v1, v27, v28
	;; [unrolled: 2-line block ×3, first 2 shown]
	s_andn2_b64 exec, exec, s[18:19]
	s_cbranch_execnz .LBB80_16
; %bb.17:
	s_or_b64 exec, exec, s[18:19]
.LBB80_18:
	s_or_b64 exec, exec, s[6:7]
	s_cbranch_execz .LBB80_20
	s_branch .LBB80_25
.LBB80_19:
                                        ; implicit-def: $vgpr5
                                        ; implicit-def: $vgpr1
.LBB80_20:
	v_mov_b32_e32 v5, 0
	v_mov_b32_e32 v4, v5
	;; [unrolled: 1-line block ×3, first 2 shown]
	s_and_saveexec_b64 s[6:7], s[2:3]
	s_cbranch_execz .LBB80_24
; %bb.21:
	v_lshl_add_u64 v[4:5], v[10:11], 0, s[10:11]
	v_mov_b32_e32 v1, 0
	v_lshl_add_u64 v[10:11], v[4:5], 0, 5
	v_lshl_add_u64 v[12:13], v[6:7], 2, s[8:9]
	s_mov_b64 s[2:3], 0
	v_mov_b32_e32 v4, 0
	v_mov_b32_e32 v5, v1
.LBB80_22:                              ; =>This Inner Loop Header: Depth=1
	global_load_dword v3, v[12:13], off
	global_load_dwordx2 v[14:15], v[10:11], off offset:-5
	global_load_sbyte v18, v[10:11], off offset:3
	v_lshl_add_u64 v[6:7], v[6:7], 0, 4
	v_cmp_ge_i64_e32 vcc, v[6:7], v[8:9]
	v_lshl_add_u64 v[10:11], v[10:11], 0, 36
	v_lshl_add_u64 v[12:13], v[12:13], 0, 16
	s_or_b64 s[2:3], vcc, s[2:3]
	s_waitcnt vmcnt(2)
	v_subrev_u32_e32 v3, s16, v3
	v_lshl_add_u32 v16, v3, 1, v3
	v_ashrrev_i32_e32 v17, 31, v16
	s_waitcnt lgkmcnt(0)
	v_lshl_add_u64 v[16:17], s[4:5], 0, v[16:17]
	global_load_ushort v3, v[16:17], off
	global_load_sbyte v20, v[16:17], off offset:2
	s_waitcnt vmcnt(3)
	v_lshrrev_b32_e32 v22, 8, v15
	v_lshrrev_b32_e32 v16, 8, v14
	;; [unrolled: 1-line block ×3, first 2 shown]
	v_bfe_i32 v22, v22, 0, 8
	v_bfe_i32 v17, v14, 0, 8
	v_lshrrev_b32_e32 v14, 24, v14
	v_bfe_i32 v21, v15, 0, 8
	v_lshrrev_b32_e32 v23, 16, v15
	v_lshrrev_b32_e32 v15, 24, v15
	s_waitcnt vmcnt(2)
	v_cvt_f32_i32_e32 v25, v18
	v_bfe_i32 v16, v16, 0, 8
	v_bfe_i32 v18, v19, 0, 8
	v_cvt_f32_i32_sdwa v26, sext(v22) dst_sel:DWORD dst_unused:UNUSED_PAD src0_sel:WORD_0
	v_bfe_i32 v19, v14, 0, 8
	v_bfe_i32 v24, v15, 0, 8
	v_cvt_f32_i32_sdwa v14, sext(v17) dst_sel:DWORD dst_unused:UNUSED_PAD src0_sel:WORD_0
	v_cvt_f32_i32_sdwa v17, sext(v21) dst_sel:DWORD dst_unused:UNUSED_PAD src0_sel:WORD_0
	v_cvt_f32_i32_sdwa v21, sext(v18) dst_sel:DWORD dst_unused:UNUSED_PAD src0_sel:WORD_0
	v_cvt_f32_i32_sdwa v15, sext(v16) dst_sel:DWORD dst_unused:UNUSED_PAD src0_sel:WORD_0
	v_bfe_i32 v23, v23, 0, 8
	v_cvt_f32_i32_sdwa v16, sext(v19) dst_sel:DWORD dst_unused:UNUSED_PAD src0_sel:WORD_0
	v_cvt_f32_i32_sdwa v19, sext(v24) dst_sel:DWORD dst_unused:UNUSED_PAD src0_sel:WORD_0
	;; [unrolled: 1-line block ×3, first 2 shown]
	s_waitcnt vmcnt(1)
	v_bfe_i32 v22, v3, 0, 8
	v_lshrrev_b32_e32 v3, 8, v3
	v_cvt_f32_i32_sdwa v22, sext(v22) dst_sel:DWORD dst_unused:UNUSED_PAD src0_sel:WORD_0
	v_bfe_i32 v3, v3, 0, 8
	v_cvt_f32_i32_sdwa v24, sext(v3) dst_sel:DWORD dst_unused:UNUSED_PAD src0_sel:WORD_0
	s_waitcnt vmcnt(0)
	v_cvt_f32_i32_e32 v20, v20
	v_fmac_f32_e32 v1, v21, v22
	v_pk_fma_f32 v[4:5], v[14:15], v[22:23], v[4:5] op_sel_hi:[1,0,1]
	v_fmac_f32_e32 v1, v26, v24
	v_pk_fma_f32 v[4:5], v[16:17], v[24:25], v[4:5] op_sel_hi:[1,0,1]
	;; [unrolled: 2-line block ×3, first 2 shown]
	s_andn2_b64 exec, exec, s[2:3]
	s_cbranch_execnz .LBB80_22
; %bb.23:
	s_or_b64 exec, exec, s[2:3]
.LBB80_24:
	s_or_b64 exec, exec, s[6:7]
.LBB80_25:
	v_mov_b32_dpp v6, v4 row_shr:1 row_mask:0xf bank_mask:0xf
	v_mov_b32_dpp v7, v5 row_shr:1 row_mask:0xf bank_mask:0xf
	;; [unrolled: 1-line block ×3, first 2 shown]
	v_pk_add_f32 v[4:5], v[4:5], v[6:7]
	v_add_f32_e32 v1, v1, v3
	v_cmp_eq_u32_e32 vcc, 3, v0
	v_mov_b32_dpp v6, v4 row_shr:2 row_mask:0xf bank_mask:0xf
	v_mov_b32_dpp v7, v5 row_shr:2 row_mask:0xf bank_mask:0xf
	;; [unrolled: 1-line block ×3, first 2 shown]
	s_and_b64 exec, exec, vcc
	s_cbranch_execz .LBB80_10
; %bb.26:
	s_load_dwordx2 s[0:1], s[0:1], 0x50
	v_pk_add_f32 v[4:5], v[4:5], v[6:7]
	v_add_f32_e32 v0, v1, v3
	v_cmp_eq_f32_e64 s[2:3], s14, 0
	v_lshl_add_u32 v6, v2, 1, v2
	s_and_b64 vcc, exec, s[2:3]
	v_mul_f32_e32 v2, s12, v0
	v_ashrrev_i32_e32 v7, 31, v6
	s_cbranch_vccz .LBB80_28
; %bb.27:
	s_waitcnt lgkmcnt(0)
	v_lshl_add_u64 v[8:9], v[6:7], 2, s[0:1]
	v_pk_mul_f32 v[0:1], s[12:13], v[4:5] op_sel_hi:[0,1]
	global_store_dwordx3 v[8:9], v[0:2], off
	s_cbranch_execnz .LBB80_10
	s_branch .LBB80_29
.LBB80_28:
.LBB80_29:
	s_waitcnt lgkmcnt(0)
	v_lshl_add_u64 v[10:11], v[6:7], 2, s[0:1]
	global_load_dwordx3 v[6:8], v[10:11], off
	v_pk_mul_f32 v[0:1], s[12:13], v[4:5] op_sel_hi:[0,1]
	s_waitcnt vmcnt(0)
	v_pk_fma_f32 v[0:1], s[14:15], v[6:7], v[0:1] op_sel_hi:[0,1,1]
	v_fmac_f32_e32 v2, s14, v8
	global_store_dwordx3 v[10:11], v[0:2], off
	s_endpgm
	.section	.rodata,"a",@progbits
	.p2align	6, 0x0
	.amdhsa_kernel _ZN9rocsparseL18bsrxmvn_3x3_kernelILj256ELj4EfliaafEEvT3_20rocsparse_direction_NS_24const_host_device_scalarIT1_EES1_PKS1_PKT2_SA_S7_PKT4_PKT5_S5_PT6_21rocsparse_index_base_b
		.amdhsa_group_segment_fixed_size 0
		.amdhsa_private_segment_fixed_size 0
		.amdhsa_kernarg_size 96
		.amdhsa_user_sgpr_count 2
		.amdhsa_user_sgpr_dispatch_ptr 0
		.amdhsa_user_sgpr_queue_ptr 0
		.amdhsa_user_sgpr_kernarg_segment_ptr 1
		.amdhsa_user_sgpr_dispatch_id 0
		.amdhsa_user_sgpr_kernarg_preload_length 0
		.amdhsa_user_sgpr_kernarg_preload_offset 0
		.amdhsa_user_sgpr_private_segment_size 0
		.amdhsa_uses_dynamic_stack 0
		.amdhsa_enable_private_segment 0
		.amdhsa_system_sgpr_workgroup_id_x 1
		.amdhsa_system_sgpr_workgroup_id_y 0
		.amdhsa_system_sgpr_workgroup_id_z 0
		.amdhsa_system_sgpr_workgroup_info 0
		.amdhsa_system_vgpr_workitem_id 0
		.amdhsa_next_free_vgpr 31
		.amdhsa_next_free_sgpr 20
		.amdhsa_accum_offset 32
		.amdhsa_reserve_vcc 1
		.amdhsa_float_round_mode_32 0
		.amdhsa_float_round_mode_16_64 0
		.amdhsa_float_denorm_mode_32 3
		.amdhsa_float_denorm_mode_16_64 3
		.amdhsa_dx10_clamp 1
		.amdhsa_ieee_mode 1
		.amdhsa_fp16_overflow 0
		.amdhsa_tg_split 0
		.amdhsa_exception_fp_ieee_invalid_op 0
		.amdhsa_exception_fp_denorm_src 0
		.amdhsa_exception_fp_ieee_div_zero 0
		.amdhsa_exception_fp_ieee_overflow 0
		.amdhsa_exception_fp_ieee_underflow 0
		.amdhsa_exception_fp_ieee_inexact 0
		.amdhsa_exception_int_div_zero 0
	.end_amdhsa_kernel
	.section	.text._ZN9rocsparseL18bsrxmvn_3x3_kernelILj256ELj4EfliaafEEvT3_20rocsparse_direction_NS_24const_host_device_scalarIT1_EES1_PKS1_PKT2_SA_S7_PKT4_PKT5_S5_PT6_21rocsparse_index_base_b,"axG",@progbits,_ZN9rocsparseL18bsrxmvn_3x3_kernelILj256ELj4EfliaafEEvT3_20rocsparse_direction_NS_24const_host_device_scalarIT1_EES1_PKS1_PKT2_SA_S7_PKT4_PKT5_S5_PT6_21rocsparse_index_base_b,comdat
.Lfunc_end80:
	.size	_ZN9rocsparseL18bsrxmvn_3x3_kernelILj256ELj4EfliaafEEvT3_20rocsparse_direction_NS_24const_host_device_scalarIT1_EES1_PKS1_PKT2_SA_S7_PKT4_PKT5_S5_PT6_21rocsparse_index_base_b, .Lfunc_end80-_ZN9rocsparseL18bsrxmvn_3x3_kernelILj256ELj4EfliaafEEvT3_20rocsparse_direction_NS_24const_host_device_scalarIT1_EES1_PKS1_PKT2_SA_S7_PKT4_PKT5_S5_PT6_21rocsparse_index_base_b
                                        ; -- End function
	.section	.AMDGPU.csdata,"",@progbits
; Kernel info:
; codeLenInByte = 1512
; NumSgprs: 26
; NumVgprs: 31
; NumAgprs: 0
; TotalNumVgprs: 31
; ScratchSize: 0
; MemoryBound: 0
; FloatMode: 240
; IeeeMode: 1
; LDSByteSize: 0 bytes/workgroup (compile time only)
; SGPRBlocks: 3
; VGPRBlocks: 3
; NumSGPRsForWavesPerEU: 26
; NumVGPRsForWavesPerEU: 31
; AccumOffset: 32
; Occupancy: 8
; WaveLimiterHint : 1
; COMPUTE_PGM_RSRC2:SCRATCH_EN: 0
; COMPUTE_PGM_RSRC2:USER_SGPR: 2
; COMPUTE_PGM_RSRC2:TRAP_HANDLER: 0
; COMPUTE_PGM_RSRC2:TGID_X_EN: 1
; COMPUTE_PGM_RSRC2:TGID_Y_EN: 0
; COMPUTE_PGM_RSRC2:TGID_Z_EN: 0
; COMPUTE_PGM_RSRC2:TIDIG_COMP_CNT: 0
; COMPUTE_PGM_RSRC3_GFX90A:ACCUM_OFFSET: 7
; COMPUTE_PGM_RSRC3_GFX90A:TG_SPLIT: 0
	.section	.text._ZN9rocsparseL18bsrxmvn_3x3_kernelILj256ELj8EfliaafEEvT3_20rocsparse_direction_NS_24const_host_device_scalarIT1_EES1_PKS1_PKT2_SA_S7_PKT4_PKT5_S5_PT6_21rocsparse_index_base_b,"axG",@progbits,_ZN9rocsparseL18bsrxmvn_3x3_kernelILj256ELj8EfliaafEEvT3_20rocsparse_direction_NS_24const_host_device_scalarIT1_EES1_PKS1_PKT2_SA_S7_PKT4_PKT5_S5_PT6_21rocsparse_index_base_b,comdat
	.globl	_ZN9rocsparseL18bsrxmvn_3x3_kernelILj256ELj8EfliaafEEvT3_20rocsparse_direction_NS_24const_host_device_scalarIT1_EES1_PKS1_PKT2_SA_S7_PKT4_PKT5_S5_PT6_21rocsparse_index_base_b ; -- Begin function _ZN9rocsparseL18bsrxmvn_3x3_kernelILj256ELj8EfliaafEEvT3_20rocsparse_direction_NS_24const_host_device_scalarIT1_EES1_PKS1_PKT2_SA_S7_PKT4_PKT5_S5_PT6_21rocsparse_index_base_b
	.p2align	8
	.type	_ZN9rocsparseL18bsrxmvn_3x3_kernelILj256ELj8EfliaafEEvT3_20rocsparse_direction_NS_24const_host_device_scalarIT1_EES1_PKS1_PKT2_SA_S7_PKT4_PKT5_S5_PT6_21rocsparse_index_base_b,@function
_ZN9rocsparseL18bsrxmvn_3x3_kernelILj256ELj8EfliaafEEvT3_20rocsparse_direction_NS_24const_host_device_scalarIT1_EES1_PKS1_PKT2_SA_S7_PKT4_PKT5_S5_PT6_21rocsparse_index_base_b: ; @_ZN9rocsparseL18bsrxmvn_3x3_kernelILj256ELj8EfliaafEEvT3_20rocsparse_direction_NS_24const_host_device_scalarIT1_EES1_PKS1_PKT2_SA_S7_PKT4_PKT5_S5_PT6_21rocsparse_index_base_b
; %bb.0:
	s_load_dwordx2 s[16:17], s[0:1], 0x58
	s_load_dwordx2 s[12:13], s[0:1], 0x8
	;; [unrolled: 1-line block ×3, first 2 shown]
	s_waitcnt lgkmcnt(0)
	s_bitcmp1_b32 s17, 0
	s_cselect_b64 s[6:7], -1, 0
	s_xor_b64 s[4:5], s[6:7], -1
	s_and_b64 vcc, exec, s[6:7]
	s_cbranch_vccnz .LBB81_2
; %bb.1:
	s_load_dword s12, s[12:13], 0x0
.LBB81_2:
	s_andn2_b64 vcc, exec, s[4:5]
	s_cbranch_vccnz .LBB81_4
; %bb.3:
	s_load_dword s14, s[14:15], 0x0
.LBB81_4:
	s_waitcnt lgkmcnt(0)
	v_cmp_neq_f32_e64 s[4:5], s12, 0
	v_cmp_neq_f32_e64 s[6:7], s14, 1.0
	s_or_b64 s[4:5], s[4:5], s[6:7]
	s_andn2_b64 vcc, exec, s[4:5]
	s_cbranch_vccnz .LBB81_10
; %bb.5:
	s_load_dwordx2 s[4:5], s[0:1], 0x18
	s_load_dwordx2 s[18:19], s[0:1], 0x0
	v_lshrrev_b32_e32 v1, 3, v0
	v_lshl_or_b32 v2, s2, 5, v1
	s_mov_b64 s[2:3], 0
	s_waitcnt lgkmcnt(0)
	s_cmp_lg_u64 s[4:5], 0
	s_cbranch_scc0 .LBB81_11
; %bb.6:
	s_load_dword s6, s[0:1], 0x10
                                        ; implicit-def: $vgpr1
	s_waitcnt lgkmcnt(0)
	v_cmp_gt_i32_e32 vcc, s6, v2
	s_and_saveexec_b64 s[6:7], vcc
	s_xor_b64 s[6:7], exec, s[6:7]
	s_cbranch_execz .LBB81_8
; %bb.7:
	v_ashrrev_i32_e32 v3, 31, v2
	v_lshl_add_u64 v[4:5], v[2:3], 2, s[4:5]
	global_load_dword v1, v[4:5], off
	s_mov_b64 s[2:3], exec
	s_waitcnt vmcnt(0)
	v_subrev_u32_e32 v1, s16, v1
.LBB81_8:
	s_or_b64 exec, exec, s[6:7]
	s_branch .LBB81_12
.LBB81_9:
	v_cmp_gt_i32_e32 vcc, s18, v2
	s_andn2_b64 s[2:3], s[2:3], exec
	s_and_b64 s[4:5], vcc, exec
	s_or_b64 s[2:3], s[2:3], s[4:5]
	s_and_saveexec_b64 s[4:5], s[2:3]
	s_cbranch_execnz .LBB81_13
.LBB81_10:
	s_endpgm
.LBB81_11:
                                        ; implicit-def: $vgpr1
	s_cbranch_execnz .LBB81_9
.LBB81_12:
	v_mov_b32_e32 v2, v1
	s_and_saveexec_b64 s[4:5], s[2:3]
	s_cbranch_execz .LBB81_10
.LBB81_13:
	s_load_dwordx8 s[4:11], s[0:1], 0x20
	v_ashrrev_i32_e32 v3, 31, v2
	v_lshlrev_b64 v[4:5], 3, v[2:3]
	v_and_b32_e32 v0, 7, v0
	s_waitcnt lgkmcnt(0)
	v_lshl_add_u64 v[6:7], s[4:5], 0, v[4:5]
	s_cmp_eq_u64 s[6:7], 0
	v_lshl_add_u64 v[4:5], s[6:7], 0, v[4:5]
	global_load_dwordx2 v[8:9], v[6:7], off
	v_lshl_add_u64 v[6:7], v[6:7], 0, 8
	s_cselect_b64 vcc, -1, 0
	v_cndmask_b32_e32 v5, v5, v7, vcc
	v_cndmask_b32_e32 v4, v4, v6, vcc
	global_load_dwordx2 v[10:11], v[4:5], off
	v_mov_b32_e32 v5, 0
	v_mov_b32_e32 v1, v5
	s_load_dwordx2 s[4:5], s[0:1], 0x40
	s_cmp_eq_u32 s19, 1
	s_waitcnt vmcnt(1)
	v_subrev_co_u32_e32 v6, vcc, s16, v8
	s_nop 1
	v_subbrev_co_u32_e32 v7, vcc, 0, v9, vcc
	v_lshl_add_u64 v[6:7], v[6:7], 0, v[0:1]
	s_waitcnt vmcnt(0)
	v_subrev_co_u32_e32 v8, vcc, s16, v10
	s_nop 1
	v_subbrev_co_u32_e32 v9, vcc, 0, v11, vcc
	v_mad_u64_u32 v[10:11], s[2:3], v6, 9, 0
	v_mov_b32_e32 v4, v11
	v_mad_u64_u32 v[12:13], s[2:3], v7, 9, v[4:5]
	v_mov_b32_e32 v11, v12
	v_cmp_lt_i64_e64 s[2:3], v[6:7], v[8:9]
	s_cbranch_scc1 .LBB81_19
; %bb.14:
	v_mov_b32_e32 v4, 0
	v_mov_b32_e32 v1, 0
	s_and_saveexec_b64 s[6:7], s[2:3]
	s_cbranch_execz .LBB81_18
; %bb.15:
	v_mov_b32_e32 v1, 0
	v_lshl_add_u64 v[12:13], s[10:11], 0, v[10:11]
	v_lshl_add_u64 v[14:15], v[6:7], 2, s[8:9]
	s_mov_b64 s[18:19], 0
	s_mov_b64 s[20:21], 0x48
	v_mov_b64_e32 v[16:17], v[6:7]
	v_mov_b32_e32 v4, 0
	v_mov_b32_e32 v5, v1
.LBB81_16:                              ; =>This Inner Loop Header: Depth=1
	global_load_dword v3, v[14:15], off
	global_load_dwordx2 v[18:19], v[12:13], off
	global_load_sbyte v22, v[12:13], off offset:8
	v_lshl_add_u64 v[16:17], v[16:17], 0, 8
	v_cmp_ge_i64_e32 vcc, v[16:17], v[8:9]
	v_lshl_add_u64 v[12:13], v[12:13], 0, s[20:21]
	v_lshl_add_u64 v[14:15], v[14:15], 0, 32
	s_or_b64 s[18:19], vcc, s[18:19]
	s_waitcnt vmcnt(2)
	v_subrev_u32_e32 v3, s16, v3
	v_lshl_add_u32 v20, v3, 1, v3
	v_ashrrev_i32_e32 v21, 31, v20
	s_waitcnt lgkmcnt(0)
	v_lshl_add_u64 v[20:21], s[4:5], 0, v[20:21]
	global_load_ushort v3, v[20:21], off
	global_load_sbyte v24, v[20:21], off offset:2
	s_waitcnt vmcnt(3)
	v_bfe_i32 v20, v18, 0, 8
	v_lshrrev_b32_e32 v21, 8, v18
	v_lshrrev_b32_e32 v23, 16, v18
	;; [unrolled: 1-line block ×4, first 2 shown]
	v_bfe_i32 v25, v19, 0, 8
	v_lshrrev_b32_e32 v27, 16, v19
	v_lshrrev_b32_e32 v19, 24, v19
	v_bfe_i32 v28, v23, 0, 8
	v_bfe_i32 v23, v18, 0, 8
	;; [unrolled: 1-line block ×5, first 2 shown]
	v_cvt_f32_i32_sdwa v19, sext(v23) dst_sel:DWORD dst_unused:UNUSED_PAD src0_sel:WORD_0
	v_cvt_f32_i32_sdwa v23, sext(v26) dst_sel:DWORD dst_unused:UNUSED_PAD src0_sel:WORD_0
	s_waitcnt vmcnt(2)
	v_cvt_f32_i32_e32 v29, v22
	v_bfe_i32 v22, v21, 0, 8
	v_cvt_f32_i32_sdwa v18, sext(v20) dst_sel:DWORD dst_unused:UNUSED_PAD src0_sel:WORD_0
	v_cvt_f32_i32_sdwa v21, sext(v25) dst_sel:DWORD dst_unused:UNUSED_PAD src0_sel:WORD_0
	;; [unrolled: 1-line block ×6, first 2 shown]
	s_waitcnt vmcnt(1)
	v_bfe_i32 v26, v3, 0, 8
	v_lshrrev_b32_e32 v3, 8, v3
	v_cvt_f32_i32_sdwa v26, sext(v26) dst_sel:DWORD dst_unused:UNUSED_PAD src0_sel:WORD_0
	v_bfe_i32 v3, v3, 0, 8
	v_cvt_f32_i32_sdwa v28, sext(v3) dst_sel:DWORD dst_unused:UNUSED_PAD src0_sel:WORD_0
	s_waitcnt vmcnt(0)
	v_cvt_f32_i32_e32 v24, v24
	v_pk_fma_f32 v[4:5], v[18:19], v[26:27], v[4:5] op_sel_hi:[1,0,1]
	v_fmac_f32_e32 v1, v25, v26
	v_pk_fma_f32 v[4:5], v[20:21], v[28:29], v[4:5] op_sel_hi:[1,0,1]
	v_fmac_f32_e32 v1, v27, v28
	;; [unrolled: 2-line block ×3, first 2 shown]
	s_andn2_b64 exec, exec, s[18:19]
	s_cbranch_execnz .LBB81_16
; %bb.17:
	s_or_b64 exec, exec, s[18:19]
.LBB81_18:
	s_or_b64 exec, exec, s[6:7]
	s_cbranch_execz .LBB81_20
	s_branch .LBB81_25
.LBB81_19:
                                        ; implicit-def: $vgpr5
                                        ; implicit-def: $vgpr1
.LBB81_20:
	v_mov_b32_e32 v5, 0
	v_mov_b32_e32 v4, v5
	;; [unrolled: 1-line block ×3, first 2 shown]
	s_and_saveexec_b64 s[6:7], s[2:3]
	s_cbranch_execz .LBB81_24
; %bb.21:
	v_lshl_add_u64 v[4:5], v[10:11], 0, s[10:11]
	v_mov_b32_e32 v1, 0
	v_lshl_add_u64 v[10:11], v[4:5], 0, 5
	v_lshl_add_u64 v[12:13], v[6:7], 2, s[8:9]
	s_mov_b64 s[2:3], 0
	s_mov_b64 s[8:9], 0x48
	v_mov_b32_e32 v4, 0
	v_mov_b32_e32 v5, v1
.LBB81_22:                              ; =>This Inner Loop Header: Depth=1
	global_load_dword v3, v[12:13], off
	global_load_dwordx2 v[14:15], v[10:11], off offset:-5
	global_load_sbyte v18, v[10:11], off offset:3
	v_lshl_add_u64 v[6:7], v[6:7], 0, 8
	v_cmp_ge_i64_e32 vcc, v[6:7], v[8:9]
	v_lshl_add_u64 v[10:11], v[10:11], 0, s[8:9]
	v_lshl_add_u64 v[12:13], v[12:13], 0, 32
	s_or_b64 s[2:3], vcc, s[2:3]
	s_waitcnt vmcnt(2)
	v_subrev_u32_e32 v3, s16, v3
	v_lshl_add_u32 v16, v3, 1, v3
	v_ashrrev_i32_e32 v17, 31, v16
	s_waitcnt lgkmcnt(0)
	v_lshl_add_u64 v[16:17], s[4:5], 0, v[16:17]
	global_load_ushort v3, v[16:17], off
	global_load_sbyte v20, v[16:17], off offset:2
	s_waitcnt vmcnt(3)
	v_lshrrev_b32_e32 v22, 8, v15
	v_lshrrev_b32_e32 v16, 8, v14
	;; [unrolled: 1-line block ×3, first 2 shown]
	v_bfe_i32 v22, v22, 0, 8
	v_bfe_i32 v17, v14, 0, 8
	v_lshrrev_b32_e32 v14, 24, v14
	v_bfe_i32 v21, v15, 0, 8
	v_lshrrev_b32_e32 v23, 16, v15
	v_lshrrev_b32_e32 v15, 24, v15
	s_waitcnt vmcnt(2)
	v_cvt_f32_i32_e32 v25, v18
	v_bfe_i32 v16, v16, 0, 8
	v_bfe_i32 v18, v19, 0, 8
	v_cvt_f32_i32_sdwa v26, sext(v22) dst_sel:DWORD dst_unused:UNUSED_PAD src0_sel:WORD_0
	v_bfe_i32 v19, v14, 0, 8
	v_bfe_i32 v24, v15, 0, 8
	v_cvt_f32_i32_sdwa v14, sext(v17) dst_sel:DWORD dst_unused:UNUSED_PAD src0_sel:WORD_0
	v_cvt_f32_i32_sdwa v17, sext(v21) dst_sel:DWORD dst_unused:UNUSED_PAD src0_sel:WORD_0
	v_cvt_f32_i32_sdwa v21, sext(v18) dst_sel:DWORD dst_unused:UNUSED_PAD src0_sel:WORD_0
	v_cvt_f32_i32_sdwa v15, sext(v16) dst_sel:DWORD dst_unused:UNUSED_PAD src0_sel:WORD_0
	v_bfe_i32 v23, v23, 0, 8
	v_cvt_f32_i32_sdwa v16, sext(v19) dst_sel:DWORD dst_unused:UNUSED_PAD src0_sel:WORD_0
	v_cvt_f32_i32_sdwa v19, sext(v24) dst_sel:DWORD dst_unused:UNUSED_PAD src0_sel:WORD_0
	;; [unrolled: 1-line block ×3, first 2 shown]
	s_waitcnt vmcnt(1)
	v_bfe_i32 v22, v3, 0, 8
	v_lshrrev_b32_e32 v3, 8, v3
	v_cvt_f32_i32_sdwa v22, sext(v22) dst_sel:DWORD dst_unused:UNUSED_PAD src0_sel:WORD_0
	v_bfe_i32 v3, v3, 0, 8
	v_cvt_f32_i32_sdwa v24, sext(v3) dst_sel:DWORD dst_unused:UNUSED_PAD src0_sel:WORD_0
	s_waitcnt vmcnt(0)
	v_cvt_f32_i32_e32 v20, v20
	v_fmac_f32_e32 v1, v21, v22
	v_pk_fma_f32 v[4:5], v[14:15], v[22:23], v[4:5] op_sel_hi:[1,0,1]
	v_fmac_f32_e32 v1, v26, v24
	v_pk_fma_f32 v[4:5], v[16:17], v[24:25], v[4:5] op_sel_hi:[1,0,1]
	;; [unrolled: 2-line block ×3, first 2 shown]
	s_andn2_b64 exec, exec, s[2:3]
	s_cbranch_execnz .LBB81_22
; %bb.23:
	s_or_b64 exec, exec, s[2:3]
.LBB81_24:
	s_or_b64 exec, exec, s[6:7]
.LBB81_25:
	v_mov_b32_dpp v6, v4 row_shr:1 row_mask:0xf bank_mask:0xf
	v_mov_b32_dpp v7, v5 row_shr:1 row_mask:0xf bank_mask:0xf
	;; [unrolled: 1-line block ×3, first 2 shown]
	v_pk_add_f32 v[4:5], v[4:5], v[6:7]
	v_add_f32_e32 v1, v1, v3
	v_cmp_eq_u32_e32 vcc, 7, v0
	v_mov_b32_dpp v6, v4 row_shr:2 row_mask:0xf bank_mask:0xf
	v_mov_b32_dpp v7, v5 row_shr:2 row_mask:0xf bank_mask:0xf
	;; [unrolled: 1-line block ×3, first 2 shown]
	v_pk_add_f32 v[4:5], v[4:5], v[6:7]
	v_add_f32_e32 v1, v1, v3
	s_nop 0
	v_mov_b32_dpp v6, v4 row_shr:4 row_mask:0xf bank_mask:0xe
	v_mov_b32_dpp v7, v5 row_shr:4 row_mask:0xf bank_mask:0xe
	;; [unrolled: 1-line block ×3, first 2 shown]
	s_and_b64 exec, exec, vcc
	s_cbranch_execz .LBB81_10
; %bb.26:
	s_load_dwordx2 s[0:1], s[0:1], 0x50
	v_pk_add_f32 v[4:5], v[4:5], v[6:7]
	v_add_f32_e32 v0, v1, v3
	v_cmp_eq_f32_e64 s[2:3], s14, 0
	v_lshl_add_u32 v6, v2, 1, v2
	s_and_b64 vcc, exec, s[2:3]
	v_mul_f32_e32 v2, s12, v0
	v_ashrrev_i32_e32 v7, 31, v6
	s_cbranch_vccz .LBB81_28
; %bb.27:
	s_waitcnt lgkmcnt(0)
	v_lshl_add_u64 v[8:9], v[6:7], 2, s[0:1]
	v_pk_mul_f32 v[0:1], s[12:13], v[4:5] op_sel_hi:[0,1]
	global_store_dwordx3 v[8:9], v[0:2], off
	s_cbranch_execnz .LBB81_10
	s_branch .LBB81_29
.LBB81_28:
.LBB81_29:
	s_waitcnt lgkmcnt(0)
	v_lshl_add_u64 v[10:11], v[6:7], 2, s[0:1]
	global_load_dwordx3 v[6:8], v[10:11], off
	v_pk_mul_f32 v[0:1], s[12:13], v[4:5] op_sel_hi:[0,1]
	s_waitcnt vmcnt(0)
	v_pk_fma_f32 v[0:1], s[14:15], v[6:7], v[0:1] op_sel_hi:[0,1,1]
	v_fmac_f32_e32 v2, s14, v8
	global_store_dwordx3 v[10:11], v[0:2], off
	s_endpgm
	.section	.rodata,"a",@progbits
	.p2align	6, 0x0
	.amdhsa_kernel _ZN9rocsparseL18bsrxmvn_3x3_kernelILj256ELj8EfliaafEEvT3_20rocsparse_direction_NS_24const_host_device_scalarIT1_EES1_PKS1_PKT2_SA_S7_PKT4_PKT5_S5_PT6_21rocsparse_index_base_b
		.amdhsa_group_segment_fixed_size 0
		.amdhsa_private_segment_fixed_size 0
		.amdhsa_kernarg_size 96
		.amdhsa_user_sgpr_count 2
		.amdhsa_user_sgpr_dispatch_ptr 0
		.amdhsa_user_sgpr_queue_ptr 0
		.amdhsa_user_sgpr_kernarg_segment_ptr 1
		.amdhsa_user_sgpr_dispatch_id 0
		.amdhsa_user_sgpr_kernarg_preload_length 0
		.amdhsa_user_sgpr_kernarg_preload_offset 0
		.amdhsa_user_sgpr_private_segment_size 0
		.amdhsa_uses_dynamic_stack 0
		.amdhsa_enable_private_segment 0
		.amdhsa_system_sgpr_workgroup_id_x 1
		.amdhsa_system_sgpr_workgroup_id_y 0
		.amdhsa_system_sgpr_workgroup_id_z 0
		.amdhsa_system_sgpr_workgroup_info 0
		.amdhsa_system_vgpr_workitem_id 0
		.amdhsa_next_free_vgpr 31
		.amdhsa_next_free_sgpr 22
		.amdhsa_accum_offset 32
		.amdhsa_reserve_vcc 1
		.amdhsa_float_round_mode_32 0
		.amdhsa_float_round_mode_16_64 0
		.amdhsa_float_denorm_mode_32 3
		.amdhsa_float_denorm_mode_16_64 3
		.amdhsa_dx10_clamp 1
		.amdhsa_ieee_mode 1
		.amdhsa_fp16_overflow 0
		.amdhsa_tg_split 0
		.amdhsa_exception_fp_ieee_invalid_op 0
		.amdhsa_exception_fp_denorm_src 0
		.amdhsa_exception_fp_ieee_div_zero 0
		.amdhsa_exception_fp_ieee_overflow 0
		.amdhsa_exception_fp_ieee_underflow 0
		.amdhsa_exception_fp_ieee_inexact 0
		.amdhsa_exception_int_div_zero 0
	.end_amdhsa_kernel
	.section	.text._ZN9rocsparseL18bsrxmvn_3x3_kernelILj256ELj8EfliaafEEvT3_20rocsparse_direction_NS_24const_host_device_scalarIT1_EES1_PKS1_PKT2_SA_S7_PKT4_PKT5_S5_PT6_21rocsparse_index_base_b,"axG",@progbits,_ZN9rocsparseL18bsrxmvn_3x3_kernelILj256ELj8EfliaafEEvT3_20rocsparse_direction_NS_24const_host_device_scalarIT1_EES1_PKS1_PKT2_SA_S7_PKT4_PKT5_S5_PT6_21rocsparse_index_base_b,comdat
.Lfunc_end81:
	.size	_ZN9rocsparseL18bsrxmvn_3x3_kernelILj256ELj8EfliaafEEvT3_20rocsparse_direction_NS_24const_host_device_scalarIT1_EES1_PKS1_PKT2_SA_S7_PKT4_PKT5_S5_PT6_21rocsparse_index_base_b, .Lfunc_end81-_ZN9rocsparseL18bsrxmvn_3x3_kernelILj256ELj8EfliaafEEvT3_20rocsparse_direction_NS_24const_host_device_scalarIT1_EES1_PKS1_PKT2_SA_S7_PKT4_PKT5_S5_PT6_21rocsparse_index_base_b
                                        ; -- End function
	.section	.AMDGPU.csdata,"",@progbits
; Kernel info:
; codeLenInByte = 1568
; NumSgprs: 28
; NumVgprs: 31
; NumAgprs: 0
; TotalNumVgprs: 31
; ScratchSize: 0
; MemoryBound: 0
; FloatMode: 240
; IeeeMode: 1
; LDSByteSize: 0 bytes/workgroup (compile time only)
; SGPRBlocks: 3
; VGPRBlocks: 3
; NumSGPRsForWavesPerEU: 28
; NumVGPRsForWavesPerEU: 31
; AccumOffset: 32
; Occupancy: 8
; WaveLimiterHint : 1
; COMPUTE_PGM_RSRC2:SCRATCH_EN: 0
; COMPUTE_PGM_RSRC2:USER_SGPR: 2
; COMPUTE_PGM_RSRC2:TRAP_HANDLER: 0
; COMPUTE_PGM_RSRC2:TGID_X_EN: 1
; COMPUTE_PGM_RSRC2:TGID_Y_EN: 0
; COMPUTE_PGM_RSRC2:TGID_Z_EN: 0
; COMPUTE_PGM_RSRC2:TIDIG_COMP_CNT: 0
; COMPUTE_PGM_RSRC3_GFX90A:ACCUM_OFFSET: 7
; COMPUTE_PGM_RSRC3_GFX90A:TG_SPLIT: 0
	.section	.text._ZN9rocsparseL18bsrxmvn_3x3_kernelILj256ELj16EfliaafEEvT3_20rocsparse_direction_NS_24const_host_device_scalarIT1_EES1_PKS1_PKT2_SA_S7_PKT4_PKT5_S5_PT6_21rocsparse_index_base_b,"axG",@progbits,_ZN9rocsparseL18bsrxmvn_3x3_kernelILj256ELj16EfliaafEEvT3_20rocsparse_direction_NS_24const_host_device_scalarIT1_EES1_PKS1_PKT2_SA_S7_PKT4_PKT5_S5_PT6_21rocsparse_index_base_b,comdat
	.globl	_ZN9rocsparseL18bsrxmvn_3x3_kernelILj256ELj16EfliaafEEvT3_20rocsparse_direction_NS_24const_host_device_scalarIT1_EES1_PKS1_PKT2_SA_S7_PKT4_PKT5_S5_PT6_21rocsparse_index_base_b ; -- Begin function _ZN9rocsparseL18bsrxmvn_3x3_kernelILj256ELj16EfliaafEEvT3_20rocsparse_direction_NS_24const_host_device_scalarIT1_EES1_PKS1_PKT2_SA_S7_PKT4_PKT5_S5_PT6_21rocsparse_index_base_b
	.p2align	8
	.type	_ZN9rocsparseL18bsrxmvn_3x3_kernelILj256ELj16EfliaafEEvT3_20rocsparse_direction_NS_24const_host_device_scalarIT1_EES1_PKS1_PKT2_SA_S7_PKT4_PKT5_S5_PT6_21rocsparse_index_base_b,@function
_ZN9rocsparseL18bsrxmvn_3x3_kernelILj256ELj16EfliaafEEvT3_20rocsparse_direction_NS_24const_host_device_scalarIT1_EES1_PKS1_PKT2_SA_S7_PKT4_PKT5_S5_PT6_21rocsparse_index_base_b: ; @_ZN9rocsparseL18bsrxmvn_3x3_kernelILj256ELj16EfliaafEEvT3_20rocsparse_direction_NS_24const_host_device_scalarIT1_EES1_PKS1_PKT2_SA_S7_PKT4_PKT5_S5_PT6_21rocsparse_index_base_b
; %bb.0:
	s_load_dwordx2 s[16:17], s[0:1], 0x58
	s_load_dwordx2 s[12:13], s[0:1], 0x8
	;; [unrolled: 1-line block ×3, first 2 shown]
	s_waitcnt lgkmcnt(0)
	s_bitcmp1_b32 s17, 0
	s_cselect_b64 s[6:7], -1, 0
	s_xor_b64 s[4:5], s[6:7], -1
	s_and_b64 vcc, exec, s[6:7]
	s_cbranch_vccnz .LBB82_2
; %bb.1:
	s_load_dword s12, s[12:13], 0x0
.LBB82_2:
	s_andn2_b64 vcc, exec, s[4:5]
	s_cbranch_vccnz .LBB82_4
; %bb.3:
	s_load_dword s14, s[14:15], 0x0
.LBB82_4:
	s_waitcnt lgkmcnt(0)
	v_cmp_neq_f32_e64 s[4:5], s12, 0
	v_cmp_neq_f32_e64 s[6:7], s14, 1.0
	s_or_b64 s[4:5], s[4:5], s[6:7]
	s_andn2_b64 vcc, exec, s[4:5]
	s_cbranch_vccnz .LBB82_10
; %bb.5:
	s_load_dwordx2 s[4:5], s[0:1], 0x18
	s_load_dwordx2 s[18:19], s[0:1], 0x0
	v_lshrrev_b32_e32 v1, 4, v0
	v_lshl_or_b32 v2, s2, 4, v1
	s_mov_b64 s[2:3], 0
	s_waitcnt lgkmcnt(0)
	s_cmp_lg_u64 s[4:5], 0
	s_cbranch_scc0 .LBB82_11
; %bb.6:
	s_load_dword s6, s[0:1], 0x10
                                        ; implicit-def: $vgpr1
	s_waitcnt lgkmcnt(0)
	v_cmp_gt_i32_e32 vcc, s6, v2
	s_and_saveexec_b64 s[6:7], vcc
	s_xor_b64 s[6:7], exec, s[6:7]
	s_cbranch_execz .LBB82_8
; %bb.7:
	v_ashrrev_i32_e32 v3, 31, v2
	v_lshl_add_u64 v[4:5], v[2:3], 2, s[4:5]
	global_load_dword v1, v[4:5], off
	s_mov_b64 s[2:3], exec
	s_waitcnt vmcnt(0)
	v_subrev_u32_e32 v1, s16, v1
.LBB82_8:
	s_or_b64 exec, exec, s[6:7]
	s_branch .LBB82_12
.LBB82_9:
	v_cmp_gt_i32_e32 vcc, s18, v2
	s_andn2_b64 s[2:3], s[2:3], exec
	s_and_b64 s[4:5], vcc, exec
	s_or_b64 s[2:3], s[2:3], s[4:5]
	s_and_saveexec_b64 s[4:5], s[2:3]
	s_cbranch_execnz .LBB82_13
.LBB82_10:
	s_endpgm
.LBB82_11:
                                        ; implicit-def: $vgpr1
	s_cbranch_execnz .LBB82_9
.LBB82_12:
	v_mov_b32_e32 v2, v1
	s_and_saveexec_b64 s[4:5], s[2:3]
	s_cbranch_execz .LBB82_10
.LBB82_13:
	s_load_dwordx8 s[4:11], s[0:1], 0x20
	v_ashrrev_i32_e32 v3, 31, v2
	v_lshlrev_b64 v[4:5], 3, v[2:3]
	v_and_b32_e32 v0, 15, v0
	s_waitcnt lgkmcnt(0)
	v_lshl_add_u64 v[6:7], s[4:5], 0, v[4:5]
	s_cmp_eq_u64 s[6:7], 0
	v_lshl_add_u64 v[4:5], s[6:7], 0, v[4:5]
	global_load_dwordx2 v[8:9], v[6:7], off
	v_lshl_add_u64 v[6:7], v[6:7], 0, 8
	s_cselect_b64 vcc, -1, 0
	v_cndmask_b32_e32 v5, v5, v7, vcc
	v_cndmask_b32_e32 v4, v4, v6, vcc
	global_load_dwordx2 v[10:11], v[4:5], off
	v_mov_b32_e32 v5, 0
	v_mov_b32_e32 v1, v5
	s_load_dwordx2 s[4:5], s[0:1], 0x40
	s_cmp_eq_u32 s19, 1
	s_waitcnt vmcnt(1)
	v_subrev_co_u32_e32 v6, vcc, s16, v8
	s_nop 1
	v_subbrev_co_u32_e32 v7, vcc, 0, v9, vcc
	v_lshl_add_u64 v[6:7], v[6:7], 0, v[0:1]
	s_waitcnt vmcnt(0)
	v_subrev_co_u32_e32 v8, vcc, s16, v10
	s_nop 1
	v_subbrev_co_u32_e32 v9, vcc, 0, v11, vcc
	v_mad_u64_u32 v[10:11], s[2:3], v6, 9, s[10:11]
	v_mov_b32_e32 v4, v11
	v_mad_u64_u32 v[12:13], s[2:3], v7, 9, v[4:5]
	v_mov_b32_e32 v11, v12
	v_cmp_lt_i64_e64 s[2:3], v[6:7], v[8:9]
	s_cbranch_scc1 .LBB82_19
; %bb.14:
	v_mov_b32_e32 v4, 0
	v_mov_b32_e32 v1, 0
	s_and_saveexec_b64 s[6:7], s[2:3]
	s_cbranch_execz .LBB82_18
; %bb.15:
	v_mov_b32_e32 v1, 0
	v_lshl_add_u64 v[12:13], v[6:7], 2, s[8:9]
	s_mov_b64 s[10:11], 0
	s_mov_b64 s[18:19], 0x90
	v_mov_b64_e32 v[14:15], v[10:11]
	v_mov_b64_e32 v[16:17], v[6:7]
	v_mov_b32_e32 v4, 0
	v_mov_b32_e32 v5, v1
.LBB82_16:                              ; =>This Inner Loop Header: Depth=1
	global_load_dword v3, v[12:13], off
	global_load_dwordx2 v[18:19], v[14:15], off
	global_load_sbyte v22, v[14:15], off offset:8
	v_lshl_add_u64 v[16:17], v[16:17], 0, 16
	v_cmp_ge_i64_e32 vcc, v[16:17], v[8:9]
	v_lshl_add_u64 v[14:15], v[14:15], 0, s[18:19]
	v_lshl_add_u64 v[12:13], v[12:13], 0, 64
	s_or_b64 s[10:11], vcc, s[10:11]
	s_waitcnt vmcnt(2)
	v_subrev_u32_e32 v3, s16, v3
	v_lshl_add_u32 v20, v3, 1, v3
	v_ashrrev_i32_e32 v21, 31, v20
	s_waitcnt lgkmcnt(0)
	v_lshl_add_u64 v[20:21], s[4:5], 0, v[20:21]
	global_load_ushort v3, v[20:21], off
	global_load_sbyte v24, v[20:21], off offset:2
	s_waitcnt vmcnt(3)
	v_bfe_i32 v20, v18, 0, 8
	v_lshrrev_b32_e32 v21, 8, v18
	v_lshrrev_b32_e32 v23, 16, v18
	;; [unrolled: 1-line block ×4, first 2 shown]
	v_bfe_i32 v25, v19, 0, 8
	v_lshrrev_b32_e32 v27, 16, v19
	v_lshrrev_b32_e32 v19, 24, v19
	v_bfe_i32 v28, v23, 0, 8
	v_bfe_i32 v23, v18, 0, 8
	;; [unrolled: 1-line block ×5, first 2 shown]
	v_cvt_f32_i32_sdwa v19, sext(v23) dst_sel:DWORD dst_unused:UNUSED_PAD src0_sel:WORD_0
	v_cvt_f32_i32_sdwa v23, sext(v26) dst_sel:DWORD dst_unused:UNUSED_PAD src0_sel:WORD_0
	s_waitcnt vmcnt(2)
	v_cvt_f32_i32_e32 v29, v22
	v_bfe_i32 v22, v21, 0, 8
	v_cvt_f32_i32_sdwa v18, sext(v20) dst_sel:DWORD dst_unused:UNUSED_PAD src0_sel:WORD_0
	v_cvt_f32_i32_sdwa v21, sext(v25) dst_sel:DWORD dst_unused:UNUSED_PAD src0_sel:WORD_0
	v_cvt_f32_i32_sdwa v25, sext(v27) dst_sel:DWORD dst_unused:UNUSED_PAD src0_sel:WORD_0
	v_cvt_f32_i32_sdwa v27, sext(v30) dst_sel:DWORD dst_unused:UNUSED_PAD src0_sel:WORD_0
	v_cvt_f32_i32_sdwa v20, sext(v22) dst_sel:DWORD dst_unused:UNUSED_PAD src0_sel:WORD_0
	v_cvt_f32_i32_sdwa v22, sext(v28) dst_sel:DWORD dst_unused:UNUSED_PAD src0_sel:WORD_0
	s_waitcnt vmcnt(1)
	v_bfe_i32 v26, v3, 0, 8
	v_lshrrev_b32_e32 v3, 8, v3
	v_cvt_f32_i32_sdwa v26, sext(v26) dst_sel:DWORD dst_unused:UNUSED_PAD src0_sel:WORD_0
	v_bfe_i32 v3, v3, 0, 8
	v_cvt_f32_i32_sdwa v28, sext(v3) dst_sel:DWORD dst_unused:UNUSED_PAD src0_sel:WORD_0
	s_waitcnt vmcnt(0)
	v_cvt_f32_i32_e32 v24, v24
	v_pk_fma_f32 v[4:5], v[18:19], v[26:27], v[4:5] op_sel_hi:[1,0,1]
	v_fmac_f32_e32 v1, v25, v26
	v_pk_fma_f32 v[4:5], v[20:21], v[28:29], v[4:5] op_sel_hi:[1,0,1]
	v_fmac_f32_e32 v1, v27, v28
	;; [unrolled: 2-line block ×3, first 2 shown]
	s_andn2_b64 exec, exec, s[10:11]
	s_cbranch_execnz .LBB82_16
; %bb.17:
	s_or_b64 exec, exec, s[10:11]
.LBB82_18:
	s_or_b64 exec, exec, s[6:7]
	s_cbranch_execz .LBB82_20
	s_branch .LBB82_25
.LBB82_19:
                                        ; implicit-def: $vgpr5
                                        ; implicit-def: $vgpr1
.LBB82_20:
	v_mov_b32_e32 v5, 0
	v_mov_b32_e32 v4, v5
	;; [unrolled: 1-line block ×3, first 2 shown]
	s_and_saveexec_b64 s[6:7], s[2:3]
	s_cbranch_execz .LBB82_24
; %bb.21:
	v_mov_b32_e32 v1, 0
	v_lshl_add_u64 v[12:13], v[6:7], 2, s[8:9]
	s_mov_b64 s[2:3], 0
	s_mov_b64 s[8:9], 0x90
	v_mov_b32_e32 v4, 0
	v_mov_b32_e32 v5, v1
.LBB82_22:                              ; =>This Inner Loop Header: Depth=1
	global_load_dword v3, v[12:13], off
	global_load_dwordx2 v[14:15], v[10:11], off
	global_load_sbyte v18, v[10:11], off offset:8
	v_lshl_add_u64 v[6:7], v[6:7], 0, 16
	v_cmp_ge_i64_e32 vcc, v[6:7], v[8:9]
	v_lshl_add_u64 v[10:11], v[10:11], 0, s[8:9]
	v_lshl_add_u64 v[12:13], v[12:13], 0, 64
	s_or_b64 s[2:3], vcc, s[2:3]
	s_waitcnt vmcnt(2)
	v_subrev_u32_e32 v3, s16, v3
	v_lshl_add_u32 v16, v3, 1, v3
	v_ashrrev_i32_e32 v17, 31, v16
	s_waitcnt lgkmcnt(0)
	v_lshl_add_u64 v[16:17], s[4:5], 0, v[16:17]
	global_load_ushort v3, v[16:17], off
	global_load_sbyte v20, v[16:17], off offset:2
	s_waitcnt vmcnt(3)
	v_lshrrev_b32_e32 v16, 16, v14
	v_lshrrev_b32_e32 v17, 24, v14
	v_lshrrev_b32_e32 v22, 16, v15
	v_bfe_i32 v19, v15, 0, 8
	v_lshrrev_b32_e32 v21, 8, v15
	v_lshrrev_b32_e32 v15, 24, v15
	;; [unrolled: 1-line block ×3, first 2 shown]
	s_waitcnt vmcnt(2)
	v_cvt_f32_i32_e32 v25, v18
	v_bfe_i32 v16, v16, 0, 8
	v_bfe_i32 v18, v17, 0, 8
	;; [unrolled: 1-line block ×6, first 2 shown]
	v_cvt_f32_i32_sdwa v23, sext(v16) dst_sel:DWORD dst_unused:UNUSED_PAD src0_sel:WORD_0
	v_cvt_f32_i32_sdwa v16, sext(v18) dst_sel:DWORD dst_unused:UNUSED_PAD src0_sel:WORD_0
	;; [unrolled: 1-line block ×3, first 2 shown]
	v_bfe_i32 v21, v21, 0, 8
	v_cvt_f32_i32_sdwa v14, sext(v14) dst_sel:DWORD dst_unused:UNUSED_PAD src0_sel:WORD_0
	v_cvt_f32_i32_sdwa v15, sext(v15) dst_sel:DWORD dst_unused:UNUSED_PAD src0_sel:WORD_0
	;; [unrolled: 1-line block ×5, first 2 shown]
	s_waitcnt vmcnt(1)
	v_bfe_i32 v22, v3, 0, 8
	v_lshrrev_b32_e32 v3, 8, v3
	v_cvt_f32_i32_sdwa v22, sext(v22) dst_sel:DWORD dst_unused:UNUSED_PAD src0_sel:WORD_0
	v_bfe_i32 v3, v3, 0, 8
	v_cvt_f32_i32_sdwa v24, sext(v3) dst_sel:DWORD dst_unused:UNUSED_PAD src0_sel:WORD_0
	s_waitcnt vmcnt(0)
	v_cvt_f32_i32_e32 v20, v20
	v_fmac_f32_e32 v1, v23, v22
	v_pk_fma_f32 v[4:5], v[14:15], v[22:23], v[4:5] op_sel_hi:[1,0,1]
	v_fmac_f32_e32 v1, v21, v24
	v_pk_fma_f32 v[4:5], v[16:17], v[24:25], v[4:5] op_sel_hi:[1,0,1]
	;; [unrolled: 2-line block ×3, first 2 shown]
	s_andn2_b64 exec, exec, s[2:3]
	s_cbranch_execnz .LBB82_22
; %bb.23:
	s_or_b64 exec, exec, s[2:3]
.LBB82_24:
	s_or_b64 exec, exec, s[6:7]
.LBB82_25:
	v_mov_b32_dpp v6, v4 row_shr:1 row_mask:0xf bank_mask:0xf
	v_mov_b32_dpp v7, v5 row_shr:1 row_mask:0xf bank_mask:0xf
	;; [unrolled: 1-line block ×3, first 2 shown]
	v_pk_add_f32 v[4:5], v[4:5], v[6:7]
	v_add_f32_e32 v1, v1, v3
	v_cmp_eq_u32_e32 vcc, 15, v0
	v_mov_b32_dpp v6, v4 row_shr:2 row_mask:0xf bank_mask:0xf
	v_mov_b32_dpp v7, v5 row_shr:2 row_mask:0xf bank_mask:0xf
	;; [unrolled: 1-line block ×3, first 2 shown]
	v_pk_add_f32 v[4:5], v[4:5], v[6:7]
	v_add_f32_e32 v1, v1, v3
	s_nop 0
	v_mov_b32_dpp v6, v4 row_shr:4 row_mask:0xf bank_mask:0xe
	v_mov_b32_dpp v7, v5 row_shr:4 row_mask:0xf bank_mask:0xe
	;; [unrolled: 1-line block ×3, first 2 shown]
	v_pk_add_f32 v[4:5], v[4:5], v[6:7]
	v_add_f32_e32 v1, v1, v3
	s_nop 0
	v_mov_b32_dpp v6, v4 row_shr:8 row_mask:0xf bank_mask:0xc
	v_mov_b32_dpp v7, v5 row_shr:8 row_mask:0xf bank_mask:0xc
	;; [unrolled: 1-line block ×3, first 2 shown]
	s_and_b64 exec, exec, vcc
	s_cbranch_execz .LBB82_10
; %bb.26:
	s_load_dwordx2 s[0:1], s[0:1], 0x50
	v_pk_add_f32 v[4:5], v[4:5], v[6:7]
	v_add_f32_e32 v0, v1, v3
	v_cmp_eq_f32_e64 s[2:3], s14, 0
	v_lshl_add_u32 v6, v2, 1, v2
	s_and_b64 vcc, exec, s[2:3]
	v_mul_f32_e32 v2, s12, v0
	v_ashrrev_i32_e32 v7, 31, v6
	s_cbranch_vccz .LBB82_28
; %bb.27:
	s_waitcnt lgkmcnt(0)
	v_lshl_add_u64 v[8:9], v[6:7], 2, s[0:1]
	v_pk_mul_f32 v[0:1], s[12:13], v[4:5] op_sel_hi:[0,1]
	global_store_dwordx3 v[8:9], v[0:2], off
	s_cbranch_execnz .LBB82_10
	s_branch .LBB82_29
.LBB82_28:
.LBB82_29:
	s_waitcnt lgkmcnt(0)
	v_lshl_add_u64 v[10:11], v[6:7], 2, s[0:1]
	global_load_dwordx3 v[6:8], v[10:11], off
	v_pk_mul_f32 v[0:1], s[12:13], v[4:5] op_sel_hi:[0,1]
	s_waitcnt vmcnt(0)
	v_pk_fma_f32 v[0:1], s[14:15], v[6:7], v[0:1] op_sel_hi:[0,1,1]
	v_fmac_f32_e32 v2, s14, v8
	global_store_dwordx3 v[10:11], v[0:2], off
	s_endpgm
	.section	.rodata,"a",@progbits
	.p2align	6, 0x0
	.amdhsa_kernel _ZN9rocsparseL18bsrxmvn_3x3_kernelILj256ELj16EfliaafEEvT3_20rocsparse_direction_NS_24const_host_device_scalarIT1_EES1_PKS1_PKT2_SA_S7_PKT4_PKT5_S5_PT6_21rocsparse_index_base_b
		.amdhsa_group_segment_fixed_size 0
		.amdhsa_private_segment_fixed_size 0
		.amdhsa_kernarg_size 96
		.amdhsa_user_sgpr_count 2
		.amdhsa_user_sgpr_dispatch_ptr 0
		.amdhsa_user_sgpr_queue_ptr 0
		.amdhsa_user_sgpr_kernarg_segment_ptr 1
		.amdhsa_user_sgpr_dispatch_id 0
		.amdhsa_user_sgpr_kernarg_preload_length 0
		.amdhsa_user_sgpr_kernarg_preload_offset 0
		.amdhsa_user_sgpr_private_segment_size 0
		.amdhsa_uses_dynamic_stack 0
		.amdhsa_enable_private_segment 0
		.amdhsa_system_sgpr_workgroup_id_x 1
		.amdhsa_system_sgpr_workgroup_id_y 0
		.amdhsa_system_sgpr_workgroup_id_z 0
		.amdhsa_system_sgpr_workgroup_info 0
		.amdhsa_system_vgpr_workitem_id 0
		.amdhsa_next_free_vgpr 31
		.amdhsa_next_free_sgpr 20
		.amdhsa_accum_offset 32
		.amdhsa_reserve_vcc 1
		.amdhsa_float_round_mode_32 0
		.amdhsa_float_round_mode_16_64 0
		.amdhsa_float_denorm_mode_32 3
		.amdhsa_float_denorm_mode_16_64 3
		.amdhsa_dx10_clamp 1
		.amdhsa_ieee_mode 1
		.amdhsa_fp16_overflow 0
		.amdhsa_tg_split 0
		.amdhsa_exception_fp_ieee_invalid_op 0
		.amdhsa_exception_fp_denorm_src 0
		.amdhsa_exception_fp_ieee_div_zero 0
		.amdhsa_exception_fp_ieee_overflow 0
		.amdhsa_exception_fp_ieee_underflow 0
		.amdhsa_exception_fp_ieee_inexact 0
		.amdhsa_exception_int_div_zero 0
	.end_amdhsa_kernel
	.section	.text._ZN9rocsparseL18bsrxmvn_3x3_kernelILj256ELj16EfliaafEEvT3_20rocsparse_direction_NS_24const_host_device_scalarIT1_EES1_PKS1_PKT2_SA_S7_PKT4_PKT5_S5_PT6_21rocsparse_index_base_b,"axG",@progbits,_ZN9rocsparseL18bsrxmvn_3x3_kernelILj256ELj16EfliaafEEvT3_20rocsparse_direction_NS_24const_host_device_scalarIT1_EES1_PKS1_PKT2_SA_S7_PKT4_PKT5_S5_PT6_21rocsparse_index_base_b,comdat
.Lfunc_end82:
	.size	_ZN9rocsparseL18bsrxmvn_3x3_kernelILj256ELj16EfliaafEEvT3_20rocsparse_direction_NS_24const_host_device_scalarIT1_EES1_PKS1_PKT2_SA_S7_PKT4_PKT5_S5_PT6_21rocsparse_index_base_b, .Lfunc_end82-_ZN9rocsparseL18bsrxmvn_3x3_kernelILj256ELj16EfliaafEEvT3_20rocsparse_direction_NS_24const_host_device_scalarIT1_EES1_PKS1_PKT2_SA_S7_PKT4_PKT5_S5_PT6_21rocsparse_index_base_b
                                        ; -- End function
	.section	.AMDGPU.csdata,"",@progbits
; Kernel info:
; codeLenInByte = 1588
; NumSgprs: 26
; NumVgprs: 31
; NumAgprs: 0
; TotalNumVgprs: 31
; ScratchSize: 0
; MemoryBound: 0
; FloatMode: 240
; IeeeMode: 1
; LDSByteSize: 0 bytes/workgroup (compile time only)
; SGPRBlocks: 3
; VGPRBlocks: 3
; NumSGPRsForWavesPerEU: 26
; NumVGPRsForWavesPerEU: 31
; AccumOffset: 32
; Occupancy: 8
; WaveLimiterHint : 1
; COMPUTE_PGM_RSRC2:SCRATCH_EN: 0
; COMPUTE_PGM_RSRC2:USER_SGPR: 2
; COMPUTE_PGM_RSRC2:TRAP_HANDLER: 0
; COMPUTE_PGM_RSRC2:TGID_X_EN: 1
; COMPUTE_PGM_RSRC2:TGID_Y_EN: 0
; COMPUTE_PGM_RSRC2:TGID_Z_EN: 0
; COMPUTE_PGM_RSRC2:TIDIG_COMP_CNT: 0
; COMPUTE_PGM_RSRC3_GFX90A:ACCUM_OFFSET: 7
; COMPUTE_PGM_RSRC3_GFX90A:TG_SPLIT: 0
	.section	.text._ZN9rocsparseL18bsrxmvn_3x3_kernelILj256ELj32EfliaafEEvT3_20rocsparse_direction_NS_24const_host_device_scalarIT1_EES1_PKS1_PKT2_SA_S7_PKT4_PKT5_S5_PT6_21rocsparse_index_base_b,"axG",@progbits,_ZN9rocsparseL18bsrxmvn_3x3_kernelILj256ELj32EfliaafEEvT3_20rocsparse_direction_NS_24const_host_device_scalarIT1_EES1_PKS1_PKT2_SA_S7_PKT4_PKT5_S5_PT6_21rocsparse_index_base_b,comdat
	.globl	_ZN9rocsparseL18bsrxmvn_3x3_kernelILj256ELj32EfliaafEEvT3_20rocsparse_direction_NS_24const_host_device_scalarIT1_EES1_PKS1_PKT2_SA_S7_PKT4_PKT5_S5_PT6_21rocsparse_index_base_b ; -- Begin function _ZN9rocsparseL18bsrxmvn_3x3_kernelILj256ELj32EfliaafEEvT3_20rocsparse_direction_NS_24const_host_device_scalarIT1_EES1_PKS1_PKT2_SA_S7_PKT4_PKT5_S5_PT6_21rocsparse_index_base_b
	.p2align	8
	.type	_ZN9rocsparseL18bsrxmvn_3x3_kernelILj256ELj32EfliaafEEvT3_20rocsparse_direction_NS_24const_host_device_scalarIT1_EES1_PKS1_PKT2_SA_S7_PKT4_PKT5_S5_PT6_21rocsparse_index_base_b,@function
_ZN9rocsparseL18bsrxmvn_3x3_kernelILj256ELj32EfliaafEEvT3_20rocsparse_direction_NS_24const_host_device_scalarIT1_EES1_PKS1_PKT2_SA_S7_PKT4_PKT5_S5_PT6_21rocsparse_index_base_b: ; @_ZN9rocsparseL18bsrxmvn_3x3_kernelILj256ELj32EfliaafEEvT3_20rocsparse_direction_NS_24const_host_device_scalarIT1_EES1_PKS1_PKT2_SA_S7_PKT4_PKT5_S5_PT6_21rocsparse_index_base_b
; %bb.0:
	s_load_dwordx2 s[16:17], s[0:1], 0x58
	s_load_dwordx2 s[12:13], s[0:1], 0x8
	;; [unrolled: 1-line block ×3, first 2 shown]
	s_waitcnt lgkmcnt(0)
	s_bitcmp1_b32 s17, 0
	s_cselect_b64 s[6:7], -1, 0
	s_xor_b64 s[4:5], s[6:7], -1
	s_and_b64 vcc, exec, s[6:7]
	s_cbranch_vccnz .LBB83_2
; %bb.1:
	s_load_dword s12, s[12:13], 0x0
.LBB83_2:
	s_andn2_b64 vcc, exec, s[4:5]
	s_cbranch_vccnz .LBB83_4
; %bb.3:
	s_load_dword s14, s[14:15], 0x0
.LBB83_4:
	s_waitcnt lgkmcnt(0)
	v_cmp_neq_f32_e64 s[4:5], s12, 0
	v_cmp_neq_f32_e64 s[6:7], s14, 1.0
	s_or_b64 s[4:5], s[4:5], s[6:7]
	s_andn2_b64 vcc, exec, s[4:5]
	s_cbranch_vccnz .LBB83_10
; %bb.5:
	s_load_dwordx2 s[4:5], s[0:1], 0x18
	s_load_dwordx2 s[18:19], s[0:1], 0x0
	v_lshrrev_b32_e32 v1, 5, v0
	v_lshl_or_b32 v2, s2, 3, v1
	s_mov_b64 s[2:3], 0
	s_waitcnt lgkmcnt(0)
	s_cmp_lg_u64 s[4:5], 0
	s_cbranch_scc0 .LBB83_11
; %bb.6:
	s_load_dword s6, s[0:1], 0x10
                                        ; implicit-def: $vgpr1
	s_waitcnt lgkmcnt(0)
	v_cmp_gt_i32_e32 vcc, s6, v2
	s_and_saveexec_b64 s[6:7], vcc
	s_xor_b64 s[6:7], exec, s[6:7]
	s_cbranch_execz .LBB83_8
; %bb.7:
	v_ashrrev_i32_e32 v3, 31, v2
	v_lshl_add_u64 v[4:5], v[2:3], 2, s[4:5]
	global_load_dword v1, v[4:5], off
	s_mov_b64 s[2:3], exec
	s_waitcnt vmcnt(0)
	v_subrev_u32_e32 v1, s16, v1
.LBB83_8:
	s_or_b64 exec, exec, s[6:7]
	s_branch .LBB83_12
.LBB83_9:
	v_cmp_gt_i32_e32 vcc, s18, v2
	s_andn2_b64 s[2:3], s[2:3], exec
	s_and_b64 s[4:5], vcc, exec
	s_or_b64 s[2:3], s[2:3], s[4:5]
	s_and_saveexec_b64 s[4:5], s[2:3]
	s_cbranch_execnz .LBB83_13
.LBB83_10:
	s_endpgm
.LBB83_11:
                                        ; implicit-def: $vgpr1
	s_cbranch_execnz .LBB83_9
.LBB83_12:
	v_mov_b32_e32 v2, v1
	s_and_saveexec_b64 s[4:5], s[2:3]
	s_cbranch_execz .LBB83_10
.LBB83_13:
	s_load_dwordx8 s[4:11], s[0:1], 0x20
	v_ashrrev_i32_e32 v3, 31, v2
	v_lshlrev_b64 v[4:5], 3, v[2:3]
	v_and_b32_e32 v0, 31, v0
	s_waitcnt lgkmcnt(0)
	v_lshl_add_u64 v[6:7], s[4:5], 0, v[4:5]
	s_cmp_eq_u64 s[6:7], 0
	v_lshl_add_u64 v[4:5], s[6:7], 0, v[4:5]
	global_load_dwordx2 v[8:9], v[6:7], off
	v_lshl_add_u64 v[6:7], v[6:7], 0, 8
	s_cselect_b64 vcc, -1, 0
	v_cndmask_b32_e32 v5, v5, v7, vcc
	v_cndmask_b32_e32 v4, v4, v6, vcc
	global_load_dwordx2 v[10:11], v[4:5], off
	v_mov_b32_e32 v5, 0
	v_mov_b32_e32 v1, v5
	s_load_dwordx2 s[4:5], s[0:1], 0x40
	s_cmp_eq_u32 s19, 1
	s_waitcnt vmcnt(1)
	v_subrev_co_u32_e32 v6, vcc, s16, v8
	s_nop 1
	v_subbrev_co_u32_e32 v7, vcc, 0, v9, vcc
	v_lshl_add_u64 v[6:7], v[6:7], 0, v[0:1]
	s_waitcnt vmcnt(0)
	v_subrev_co_u32_e32 v8, vcc, s16, v10
	s_nop 1
	v_subbrev_co_u32_e32 v9, vcc, 0, v11, vcc
	v_mad_u64_u32 v[10:11], s[2:3], v6, 9, s[10:11]
	v_mov_b32_e32 v4, v11
	v_mad_u64_u32 v[12:13], s[2:3], v7, 9, v[4:5]
	v_mov_b32_e32 v11, v12
	v_cmp_lt_i64_e64 s[2:3], v[6:7], v[8:9]
	s_cbranch_scc1 .LBB83_19
; %bb.14:
	v_mov_b32_e32 v4, 0
	v_mov_b32_e32 v1, 0
	s_and_saveexec_b64 s[6:7], s[2:3]
	s_cbranch_execz .LBB83_18
; %bb.15:
	v_mov_b32_e32 v1, 0
	v_lshl_add_u64 v[12:13], v[6:7], 2, s[8:9]
	s_mov_b64 s[10:11], 0
	s_mov_b64 s[18:19], 0x120
	;; [unrolled: 1-line block ×3, first 2 shown]
	v_mov_b64_e32 v[14:15], v[10:11]
	v_mov_b64_e32 v[16:17], v[6:7]
	v_mov_b32_e32 v5, 0
	v_mov_b32_e32 v4, v1
.LBB83_16:                              ; =>This Inner Loop Header: Depth=1
	global_load_dword v3, v[12:13], off
	global_load_dwordx2 v[18:19], v[14:15], off
	global_load_sbyte v22, v[14:15], off offset:8
	v_lshl_add_u64 v[16:17], v[16:17], 0, 32
	v_cmp_ge_i64_e32 vcc, v[16:17], v[8:9]
	v_lshl_add_u64 v[14:15], v[14:15], 0, s[18:19]
	v_lshl_add_u64 v[12:13], v[12:13], 0, s[20:21]
	s_or_b64 s[10:11], vcc, s[10:11]
	s_waitcnt vmcnt(2)
	v_subrev_u32_e32 v3, s16, v3
	v_lshl_add_u32 v20, v3, 1, v3
	v_ashrrev_i32_e32 v21, 31, v20
	s_waitcnt lgkmcnt(0)
	v_lshl_add_u64 v[20:21], s[4:5], 0, v[20:21]
	global_load_ushort v3, v[20:21], off
	global_load_sbyte v24, v[20:21], off offset:2
	s_waitcnt vmcnt(3)
	v_bfe_i32 v20, v18, 0, 8
	v_lshrrev_b32_e32 v21, 8, v18
	v_lshrrev_b32_e32 v23, 16, v18
	;; [unrolled: 1-line block ×4, first 2 shown]
	v_bfe_i32 v25, v19, 0, 8
	v_lshrrev_b32_e32 v27, 16, v19
	v_lshrrev_b32_e32 v19, 24, v19
	v_bfe_i32 v28, v23, 0, 8
	v_bfe_i32 v23, v18, 0, 8
	;; [unrolled: 1-line block ×5, first 2 shown]
	v_cvt_f32_i32_sdwa v19, sext(v23) dst_sel:DWORD dst_unused:UNUSED_PAD src0_sel:WORD_0
	v_cvt_f32_i32_sdwa v23, sext(v26) dst_sel:DWORD dst_unused:UNUSED_PAD src0_sel:WORD_0
	s_waitcnt vmcnt(2)
	v_cvt_f32_i32_e32 v29, v22
	v_bfe_i32 v22, v21, 0, 8
	v_cvt_f32_i32_sdwa v18, sext(v20) dst_sel:DWORD dst_unused:UNUSED_PAD src0_sel:WORD_0
	v_cvt_f32_i32_sdwa v21, sext(v25) dst_sel:DWORD dst_unused:UNUSED_PAD src0_sel:WORD_0
	;; [unrolled: 1-line block ×6, first 2 shown]
	s_waitcnt vmcnt(1)
	v_bfe_i32 v26, v3, 0, 8
	v_lshrrev_b32_e32 v3, 8, v3
	v_cvt_f32_i32_sdwa v26, sext(v26) dst_sel:DWORD dst_unused:UNUSED_PAD src0_sel:WORD_0
	v_bfe_i32 v3, v3, 0, 8
	v_cvt_f32_i32_sdwa v28, sext(v3) dst_sel:DWORD dst_unused:UNUSED_PAD src0_sel:WORD_0
	s_waitcnt vmcnt(0)
	v_cvt_f32_i32_e32 v24, v24
	v_pk_fma_f32 v[4:5], v[18:19], v[26:27], v[4:5] op_sel_hi:[1,0,1]
	v_fmac_f32_e32 v1, v25, v26
	v_pk_fma_f32 v[4:5], v[20:21], v[28:29], v[4:5] op_sel_hi:[1,0,1]
	v_fmac_f32_e32 v1, v27, v28
	;; [unrolled: 2-line block ×3, first 2 shown]
	s_andn2_b64 exec, exec, s[10:11]
	s_cbranch_execnz .LBB83_16
; %bb.17:
	s_or_b64 exec, exec, s[10:11]
.LBB83_18:
	s_or_b64 exec, exec, s[6:7]
	s_cbranch_execz .LBB83_20
	s_branch .LBB83_25
.LBB83_19:
                                        ; implicit-def: $vgpr5
                                        ; implicit-def: $vgpr1
.LBB83_20:
	v_mov_b32_e32 v5, 0
	v_mov_b32_e32 v4, v5
	;; [unrolled: 1-line block ×3, first 2 shown]
	s_and_saveexec_b64 s[6:7], s[2:3]
	s_cbranch_execz .LBB83_24
; %bb.21:
	v_mov_b32_e32 v1, 0
	v_lshl_add_u64 v[12:13], v[6:7], 2, s[8:9]
	s_mov_b64 s[2:3], 0
	s_mov_b64 s[8:9], 0x120
	;; [unrolled: 1-line block ×3, first 2 shown]
	v_mov_b32_e32 v5, 0
	v_mov_b32_e32 v4, v1
.LBB83_22:                              ; =>This Inner Loop Header: Depth=1
	global_load_dword v3, v[12:13], off
	global_load_dwordx2 v[14:15], v[10:11], off
	global_load_sbyte v18, v[10:11], off offset:8
	v_lshl_add_u64 v[6:7], v[6:7], 0, 32
	v_cmp_ge_i64_e32 vcc, v[6:7], v[8:9]
	v_lshl_add_u64 v[10:11], v[10:11], 0, s[8:9]
	v_lshl_add_u64 v[12:13], v[12:13], 0, s[10:11]
	s_or_b64 s[2:3], vcc, s[2:3]
	s_waitcnt vmcnt(2)
	v_subrev_u32_e32 v3, s16, v3
	v_lshl_add_u32 v16, v3, 1, v3
	v_ashrrev_i32_e32 v17, 31, v16
	s_waitcnt lgkmcnt(0)
	v_lshl_add_u64 v[16:17], s[4:5], 0, v[16:17]
	global_load_ushort v3, v[16:17], off
	global_load_sbyte v20, v[16:17], off offset:2
	s_waitcnt vmcnt(3)
	v_lshrrev_b32_e32 v22, 8, v15
	v_lshrrev_b32_e32 v17, 8, v14
	;; [unrolled: 1-line block ×3, first 2 shown]
	v_bfe_i32 v22, v22, 0, 8
	v_bfe_i32 v16, v14, 0, 8
	v_lshrrev_b32_e32 v14, 24, v14
	v_bfe_i32 v21, v15, 0, 8
	v_lshrrev_b32_e32 v23, 16, v15
	v_lshrrev_b32_e32 v15, 24, v15
	s_waitcnt vmcnt(2)
	v_cvt_f32_i32_e32 v25, v18
	v_bfe_i32 v18, v17, 0, 8
	v_bfe_i32 v19, v19, 0, 8
	v_cvt_f32_i32_sdwa v27, sext(v22) dst_sel:DWORD dst_unused:UNUSED_PAD src0_sel:WORD_0
	v_bfe_i32 v24, v14, 0, 8
	v_bfe_i32 v26, v15, 0, 8
	v_cvt_f32_i32_sdwa v14, sext(v16) dst_sel:DWORD dst_unused:UNUSED_PAD src0_sel:WORD_0
	v_cvt_f32_i32_sdwa v17, sext(v21) dst_sel:DWORD dst_unused:UNUSED_PAD src0_sel:WORD_0
	;; [unrolled: 1-line block ×4, first 2 shown]
	v_bfe_i32 v23, v23, 0, 8
	v_cvt_f32_i32_sdwa v16, sext(v24) dst_sel:DWORD dst_unused:UNUSED_PAD src0_sel:WORD_0
	v_cvt_f32_i32_sdwa v19, sext(v26) dst_sel:DWORD dst_unused:UNUSED_PAD src0_sel:WORD_0
	;; [unrolled: 1-line block ×3, first 2 shown]
	s_waitcnt vmcnt(1)
	v_bfe_i32 v22, v3, 0, 8
	v_lshrrev_b32_e32 v3, 8, v3
	v_cvt_f32_i32_sdwa v22, sext(v22) dst_sel:DWORD dst_unused:UNUSED_PAD src0_sel:WORD_0
	v_bfe_i32 v3, v3, 0, 8
	v_cvt_f32_i32_sdwa v24, sext(v3) dst_sel:DWORD dst_unused:UNUSED_PAD src0_sel:WORD_0
	s_waitcnt vmcnt(0)
	v_cvt_f32_i32_e32 v20, v20
	v_fmac_f32_e32 v1, v21, v22
	v_pk_fma_f32 v[4:5], v[14:15], v[22:23], v[4:5] op_sel_hi:[1,0,1]
	v_fmac_f32_e32 v1, v27, v24
	v_pk_fma_f32 v[4:5], v[16:17], v[24:25], v[4:5] op_sel_hi:[1,0,1]
	;; [unrolled: 2-line block ×3, first 2 shown]
	s_andn2_b64 exec, exec, s[2:3]
	s_cbranch_execnz .LBB83_22
; %bb.23:
	s_or_b64 exec, exec, s[2:3]
.LBB83_24:
	s_or_b64 exec, exec, s[6:7]
.LBB83_25:
	v_mov_b32_dpp v6, v4 row_shr:1 row_mask:0xf bank_mask:0xf
	v_mov_b32_dpp v7, v5 row_shr:1 row_mask:0xf bank_mask:0xf
	;; [unrolled: 1-line block ×3, first 2 shown]
	v_pk_add_f32 v[4:5], v[4:5], v[6:7]
	v_add_f32_e32 v1, v1, v3
	v_cmp_eq_u32_e32 vcc, 31, v0
	v_mov_b32_dpp v6, v4 row_shr:2 row_mask:0xf bank_mask:0xf
	v_mov_b32_dpp v7, v5 row_shr:2 row_mask:0xf bank_mask:0xf
	v_mov_b32_dpp v3, v1 row_shr:2 row_mask:0xf bank_mask:0xf
	v_pk_add_f32 v[4:5], v[4:5], v[6:7]
	v_add_f32_e32 v1, v1, v3
	s_nop 0
	v_mov_b32_dpp v6, v4 row_shr:4 row_mask:0xf bank_mask:0xe
	v_mov_b32_dpp v7, v5 row_shr:4 row_mask:0xf bank_mask:0xe
	v_mov_b32_dpp v3, v1 row_shr:4 row_mask:0xf bank_mask:0xe
	v_pk_add_f32 v[4:5], v[4:5], v[6:7]
	v_add_f32_e32 v1, v1, v3
	s_nop 0
	;; [unrolled: 6-line block ×3, first 2 shown]
	v_mov_b32_dpp v6, v4 row_bcast:15 row_mask:0xa bank_mask:0xf
	v_mov_b32_dpp v7, v5 row_bcast:15 row_mask:0xa bank_mask:0xf
	;; [unrolled: 1-line block ×3, first 2 shown]
	s_and_b64 exec, exec, vcc
	s_cbranch_execz .LBB83_10
; %bb.26:
	s_load_dwordx2 s[0:1], s[0:1], 0x50
	v_pk_add_f32 v[4:5], v[4:5], v[6:7]
	v_add_f32_e32 v0, v1, v3
	v_cmp_eq_f32_e64 s[2:3], s14, 0
	v_lshl_add_u32 v6, v2, 1, v2
	s_and_b64 vcc, exec, s[2:3]
	v_mul_f32_e32 v2, s12, v0
	v_ashrrev_i32_e32 v7, 31, v6
	s_cbranch_vccz .LBB83_28
; %bb.27:
	s_waitcnt lgkmcnt(0)
	v_lshl_add_u64 v[8:9], v[6:7], 2, s[0:1]
	v_pk_mul_f32 v[0:1], s[12:13], v[4:5] op_sel_hi:[0,1]
	global_store_dwordx3 v[8:9], v[0:2], off
	s_cbranch_execnz .LBB83_10
	s_branch .LBB83_29
.LBB83_28:
.LBB83_29:
	s_waitcnt lgkmcnt(0)
	v_lshl_add_u64 v[10:11], v[6:7], 2, s[0:1]
	global_load_dwordx3 v[6:8], v[10:11], off
	v_pk_mul_f32 v[0:1], s[12:13], v[4:5] op_sel_hi:[0,1]
	s_waitcnt vmcnt(0)
	v_pk_fma_f32 v[0:1], s[14:15], v[6:7], v[0:1] op_sel_hi:[0,1,1]
	v_fmac_f32_e32 v2, s14, v8
	global_store_dwordx3 v[10:11], v[0:2], off
	s_endpgm
	.section	.rodata,"a",@progbits
	.p2align	6, 0x0
	.amdhsa_kernel _ZN9rocsparseL18bsrxmvn_3x3_kernelILj256ELj32EfliaafEEvT3_20rocsparse_direction_NS_24const_host_device_scalarIT1_EES1_PKS1_PKT2_SA_S7_PKT4_PKT5_S5_PT6_21rocsparse_index_base_b
		.amdhsa_group_segment_fixed_size 0
		.amdhsa_private_segment_fixed_size 0
		.amdhsa_kernarg_size 96
		.amdhsa_user_sgpr_count 2
		.amdhsa_user_sgpr_dispatch_ptr 0
		.amdhsa_user_sgpr_queue_ptr 0
		.amdhsa_user_sgpr_kernarg_segment_ptr 1
		.amdhsa_user_sgpr_dispatch_id 0
		.amdhsa_user_sgpr_kernarg_preload_length 0
		.amdhsa_user_sgpr_kernarg_preload_offset 0
		.amdhsa_user_sgpr_private_segment_size 0
		.amdhsa_uses_dynamic_stack 0
		.amdhsa_enable_private_segment 0
		.amdhsa_system_sgpr_workgroup_id_x 1
		.amdhsa_system_sgpr_workgroup_id_y 0
		.amdhsa_system_sgpr_workgroup_id_z 0
		.amdhsa_system_sgpr_workgroup_info 0
		.amdhsa_system_vgpr_workitem_id 0
		.amdhsa_next_free_vgpr 31
		.amdhsa_next_free_sgpr 22
		.amdhsa_accum_offset 32
		.amdhsa_reserve_vcc 1
		.amdhsa_float_round_mode_32 0
		.amdhsa_float_round_mode_16_64 0
		.amdhsa_float_denorm_mode_32 3
		.amdhsa_float_denorm_mode_16_64 3
		.amdhsa_dx10_clamp 1
		.amdhsa_ieee_mode 1
		.amdhsa_fp16_overflow 0
		.amdhsa_tg_split 0
		.amdhsa_exception_fp_ieee_invalid_op 0
		.amdhsa_exception_fp_denorm_src 0
		.amdhsa_exception_fp_ieee_div_zero 0
		.amdhsa_exception_fp_ieee_overflow 0
		.amdhsa_exception_fp_ieee_underflow 0
		.amdhsa_exception_fp_ieee_inexact 0
		.amdhsa_exception_int_div_zero 0
	.end_amdhsa_kernel
	.section	.text._ZN9rocsparseL18bsrxmvn_3x3_kernelILj256ELj32EfliaafEEvT3_20rocsparse_direction_NS_24const_host_device_scalarIT1_EES1_PKS1_PKT2_SA_S7_PKT4_PKT5_S5_PT6_21rocsparse_index_base_b,"axG",@progbits,_ZN9rocsparseL18bsrxmvn_3x3_kernelILj256ELj32EfliaafEEvT3_20rocsparse_direction_NS_24const_host_device_scalarIT1_EES1_PKS1_PKT2_SA_S7_PKT4_PKT5_S5_PT6_21rocsparse_index_base_b,comdat
.Lfunc_end83:
	.size	_ZN9rocsparseL18bsrxmvn_3x3_kernelILj256ELj32EfliaafEEvT3_20rocsparse_direction_NS_24const_host_device_scalarIT1_EES1_PKS1_PKT2_SA_S7_PKT4_PKT5_S5_PT6_21rocsparse_index_base_b, .Lfunc_end83-_ZN9rocsparseL18bsrxmvn_3x3_kernelILj256ELj32EfliaafEEvT3_20rocsparse_direction_NS_24const_host_device_scalarIT1_EES1_PKS1_PKT2_SA_S7_PKT4_PKT5_S5_PT6_21rocsparse_index_base_b
                                        ; -- End function
	.section	.AMDGPU.csdata,"",@progbits
; Kernel info:
; codeLenInByte = 1644
; NumSgprs: 28
; NumVgprs: 31
; NumAgprs: 0
; TotalNumVgprs: 31
; ScratchSize: 0
; MemoryBound: 0
; FloatMode: 240
; IeeeMode: 1
; LDSByteSize: 0 bytes/workgroup (compile time only)
; SGPRBlocks: 3
; VGPRBlocks: 3
; NumSGPRsForWavesPerEU: 28
; NumVGPRsForWavesPerEU: 31
; AccumOffset: 32
; Occupancy: 8
; WaveLimiterHint : 1
; COMPUTE_PGM_RSRC2:SCRATCH_EN: 0
; COMPUTE_PGM_RSRC2:USER_SGPR: 2
; COMPUTE_PGM_RSRC2:TRAP_HANDLER: 0
; COMPUTE_PGM_RSRC2:TGID_X_EN: 1
; COMPUTE_PGM_RSRC2:TGID_Y_EN: 0
; COMPUTE_PGM_RSRC2:TGID_Z_EN: 0
; COMPUTE_PGM_RSRC2:TIDIG_COMP_CNT: 0
; COMPUTE_PGM_RSRC3_GFX90A:ACCUM_OFFSET: 7
; COMPUTE_PGM_RSRC3_GFX90A:TG_SPLIT: 0
	.section	.text._ZN9rocsparseL18bsrxmvn_3x3_kernelILj256ELj64EfliaafEEvT3_20rocsparse_direction_NS_24const_host_device_scalarIT1_EES1_PKS1_PKT2_SA_S7_PKT4_PKT5_S5_PT6_21rocsparse_index_base_b,"axG",@progbits,_ZN9rocsparseL18bsrxmvn_3x3_kernelILj256ELj64EfliaafEEvT3_20rocsparse_direction_NS_24const_host_device_scalarIT1_EES1_PKS1_PKT2_SA_S7_PKT4_PKT5_S5_PT6_21rocsparse_index_base_b,comdat
	.globl	_ZN9rocsparseL18bsrxmvn_3x3_kernelILj256ELj64EfliaafEEvT3_20rocsparse_direction_NS_24const_host_device_scalarIT1_EES1_PKS1_PKT2_SA_S7_PKT4_PKT5_S5_PT6_21rocsparse_index_base_b ; -- Begin function _ZN9rocsparseL18bsrxmvn_3x3_kernelILj256ELj64EfliaafEEvT3_20rocsparse_direction_NS_24const_host_device_scalarIT1_EES1_PKS1_PKT2_SA_S7_PKT4_PKT5_S5_PT6_21rocsparse_index_base_b
	.p2align	8
	.type	_ZN9rocsparseL18bsrxmvn_3x3_kernelILj256ELj64EfliaafEEvT3_20rocsparse_direction_NS_24const_host_device_scalarIT1_EES1_PKS1_PKT2_SA_S7_PKT4_PKT5_S5_PT6_21rocsparse_index_base_b,@function
_ZN9rocsparseL18bsrxmvn_3x3_kernelILj256ELj64EfliaafEEvT3_20rocsparse_direction_NS_24const_host_device_scalarIT1_EES1_PKS1_PKT2_SA_S7_PKT4_PKT5_S5_PT6_21rocsparse_index_base_b: ; @_ZN9rocsparseL18bsrxmvn_3x3_kernelILj256ELj64EfliaafEEvT3_20rocsparse_direction_NS_24const_host_device_scalarIT1_EES1_PKS1_PKT2_SA_S7_PKT4_PKT5_S5_PT6_21rocsparse_index_base_b
; %bb.0:
	s_load_dwordx2 s[16:17], s[0:1], 0x58
	s_load_dwordx2 s[12:13], s[0:1], 0x8
	;; [unrolled: 1-line block ×3, first 2 shown]
	s_waitcnt lgkmcnt(0)
	s_bitcmp1_b32 s17, 0
	s_cselect_b64 s[6:7], -1, 0
	s_xor_b64 s[4:5], s[6:7], -1
	s_and_b64 vcc, exec, s[6:7]
	s_cbranch_vccnz .LBB84_2
; %bb.1:
	s_load_dword s12, s[12:13], 0x0
.LBB84_2:
	s_andn2_b64 vcc, exec, s[4:5]
	s_cbranch_vccnz .LBB84_4
; %bb.3:
	s_load_dword s14, s[14:15], 0x0
.LBB84_4:
	s_waitcnt lgkmcnt(0)
	v_cmp_neq_f32_e64 s[4:5], s12, 0
	v_cmp_neq_f32_e64 s[6:7], s14, 1.0
	s_or_b64 s[4:5], s[4:5], s[6:7]
	s_andn2_b64 vcc, exec, s[4:5]
	s_cbranch_vccnz .LBB84_10
; %bb.5:
	s_load_dwordx2 s[4:5], s[0:1], 0x18
	s_load_dwordx2 s[18:19], s[0:1], 0x0
	v_lshrrev_b32_e32 v1, 6, v0
	v_lshl_or_b32 v2, s2, 2, v1
	s_mov_b64 s[2:3], 0
	s_waitcnt lgkmcnt(0)
	s_cmp_lg_u64 s[4:5], 0
	s_cbranch_scc0 .LBB84_11
; %bb.6:
	s_load_dword s6, s[0:1], 0x10
                                        ; implicit-def: $vgpr1
	s_waitcnt lgkmcnt(0)
	v_cmp_gt_i32_e32 vcc, s6, v2
	s_and_saveexec_b64 s[6:7], vcc
	s_xor_b64 s[6:7], exec, s[6:7]
	s_cbranch_execz .LBB84_8
; %bb.7:
	v_ashrrev_i32_e32 v3, 31, v2
	v_lshl_add_u64 v[4:5], v[2:3], 2, s[4:5]
	global_load_dword v1, v[4:5], off
	s_mov_b64 s[2:3], exec
	s_waitcnt vmcnt(0)
	v_subrev_u32_e32 v1, s16, v1
.LBB84_8:
	s_or_b64 exec, exec, s[6:7]
	s_branch .LBB84_12
.LBB84_9:
	v_cmp_gt_i32_e32 vcc, s18, v2
	s_andn2_b64 s[2:3], s[2:3], exec
	s_and_b64 s[4:5], vcc, exec
	s_or_b64 s[2:3], s[2:3], s[4:5]
	s_and_saveexec_b64 s[4:5], s[2:3]
	s_cbranch_execnz .LBB84_13
.LBB84_10:
	s_endpgm
.LBB84_11:
                                        ; implicit-def: $vgpr1
	s_cbranch_execnz .LBB84_9
.LBB84_12:
	v_mov_b32_e32 v2, v1
	s_and_saveexec_b64 s[4:5], s[2:3]
	s_cbranch_execz .LBB84_10
.LBB84_13:
	s_load_dwordx8 s[4:11], s[0:1], 0x20
	v_ashrrev_i32_e32 v3, 31, v2
	v_lshlrev_b64 v[4:5], 3, v[2:3]
	v_and_b32_e32 v0, 63, v0
	s_waitcnt lgkmcnt(0)
	v_lshl_add_u64 v[6:7], s[4:5], 0, v[4:5]
	s_cmp_eq_u64 s[6:7], 0
	v_lshl_add_u64 v[4:5], s[6:7], 0, v[4:5]
	global_load_dwordx2 v[8:9], v[6:7], off
	v_lshl_add_u64 v[6:7], v[6:7], 0, 8
	s_cselect_b64 vcc, -1, 0
	v_cndmask_b32_e32 v5, v5, v7, vcc
	v_cndmask_b32_e32 v4, v4, v6, vcc
	global_load_dwordx2 v[10:11], v[4:5], off
	v_mov_b32_e32 v5, 0
	v_mov_b32_e32 v1, v5
	s_load_dwordx2 s[4:5], s[0:1], 0x40
	s_cmp_eq_u32 s19, 1
	s_waitcnt vmcnt(1)
	v_subrev_co_u32_e32 v6, vcc, s16, v8
	s_nop 1
	v_subbrev_co_u32_e32 v7, vcc, 0, v9, vcc
	v_lshl_add_u64 v[6:7], v[6:7], 0, v[0:1]
	s_waitcnt vmcnt(0)
	v_subrev_co_u32_e32 v8, vcc, s16, v10
	s_nop 1
	v_subbrev_co_u32_e32 v9, vcc, 0, v11, vcc
	v_mad_u64_u32 v[10:11], s[2:3], v6, 9, s[10:11]
	v_mov_b32_e32 v4, v11
	v_mad_u64_u32 v[12:13], s[2:3], v7, 9, v[4:5]
	v_mov_b32_e32 v11, v12
	v_cmp_lt_i64_e64 s[2:3], v[6:7], v[8:9]
	s_cbranch_scc1 .LBB84_19
; %bb.14:
	v_mov_b32_e32 v4, 0
	v_mov_b32_e32 v1, 0
	s_and_saveexec_b64 s[6:7], s[2:3]
	s_cbranch_execz .LBB84_18
; %bb.15:
	v_mov_b32_e32 v1, 0
	v_lshl_add_u64 v[12:13], v[6:7], 2, s[8:9]
	s_mov_b64 s[10:11], 0
	s_mov_b64 s[18:19], 0x240
	;; [unrolled: 1-line block ×3, first 2 shown]
	v_mov_b64_e32 v[14:15], v[10:11]
	v_mov_b64_e32 v[16:17], v[6:7]
	v_mov_b32_e32 v5, 0
	v_mov_b32_e32 v4, v1
.LBB84_16:                              ; =>This Inner Loop Header: Depth=1
	global_load_dword v3, v[12:13], off
	global_load_dwordx2 v[18:19], v[14:15], off
	global_load_sbyte v22, v[14:15], off offset:8
	v_lshl_add_u64 v[16:17], v[16:17], 0, 64
	v_cmp_ge_i64_e32 vcc, v[16:17], v[8:9]
	v_lshl_add_u64 v[14:15], v[14:15], 0, s[18:19]
	v_lshl_add_u64 v[12:13], v[12:13], 0, s[20:21]
	s_or_b64 s[10:11], vcc, s[10:11]
	s_waitcnt vmcnt(2)
	v_subrev_u32_e32 v3, s16, v3
	v_lshl_add_u32 v20, v3, 1, v3
	v_ashrrev_i32_e32 v21, 31, v20
	s_waitcnt lgkmcnt(0)
	v_lshl_add_u64 v[20:21], s[4:5], 0, v[20:21]
	global_load_ushort v3, v[20:21], off
	global_load_sbyte v23, v[20:21], off offset:2
	s_waitcnt vmcnt(3)
	v_bfe_i32 v20, v18, 0, 8
	v_lshrrev_b32_e32 v21, 8, v18
	v_lshrrev_b32_e32 v24, 16, v18
	;; [unrolled: 1-line block ×3, first 2 shown]
	v_bfe_i32 v25, v19, 0, 8
	v_lshrrev_b32_e32 v26, 8, v19
	v_lshrrev_b32_e32 v27, 16, v19
	;; [unrolled: 1-line block ×3, first 2 shown]
	s_waitcnt vmcnt(2)
	v_cvt_f32_i32_e32 v28, v22
	v_bfe_i32 v22, v24, 0, 8
	v_bfe_i32 v24, v18, 0, 8
	v_bfe_i32 v21, v21, 0, 8
	v_bfe_i32 v26, v26, 0, 8
	v_bfe_i32 v27, v27, 0, 8
	v_bfe_i32 v29, v19, 0, 8
	v_cvt_f32_i32_sdwa v19, sext(v25) dst_sel:DWORD dst_unused:UNUSED_PAD src0_sel:WORD_0
	v_cvt_f32_i32_sdwa v25, sext(v24) dst_sel:DWORD dst_unused:UNUSED_PAD src0_sel:WORD_0
	;; [unrolled: 1-line block ×8, first 2 shown]
	s_waitcnt vmcnt(1)
	v_bfe_i32 v24, v3, 0, 8
	v_lshrrev_b32_e32 v3, 8, v3
	s_waitcnt vmcnt(0)
	v_cvt_f32_i32_e32 v22, v23
	v_cvt_f32_i32_sdwa v23, sext(v24) dst_sel:DWORD dst_unused:UNUSED_PAD src0_sel:WORD_0
	v_bfe_i32 v3, v3, 0, 8
	v_cvt_f32_i32_sdwa v24, sext(v3) dst_sel:DWORD dst_unused:UNUSED_PAD src0_sel:WORD_0
	v_fmac_f32_e32 v4, v30, v23
	v_fmac_f32_e32 v5, v25, v23
	;; [unrolled: 1-line block ×3, first 2 shown]
	v_pk_fma_f32 v[4:5], v[18:19], v[24:25], v[4:5] op_sel_hi:[1,0,1]
	v_fmac_f32_e32 v1, v27, v24
	v_pk_fma_f32 v[4:5], v[20:21], v[22:23], v[4:5] op_sel_hi:[1,0,1]
	v_fmac_f32_e32 v1, v28, v22
	s_andn2_b64 exec, exec, s[10:11]
	s_cbranch_execnz .LBB84_16
; %bb.17:
	s_or_b64 exec, exec, s[10:11]
.LBB84_18:
	s_or_b64 exec, exec, s[6:7]
	s_cbranch_execz .LBB84_20
	s_branch .LBB84_25
.LBB84_19:
                                        ; implicit-def: $vgpr5
                                        ; implicit-def: $vgpr1
.LBB84_20:
	v_mov_b32_e32 v5, 0
	v_mov_b32_e32 v4, v5
	;; [unrolled: 1-line block ×3, first 2 shown]
	s_and_saveexec_b64 s[6:7], s[2:3]
	s_cbranch_execz .LBB84_24
; %bb.21:
	v_mov_b32_e32 v1, 0
	v_lshl_add_u64 v[12:13], v[6:7], 2, s[8:9]
	s_mov_b64 s[2:3], 0
	s_mov_b64 s[8:9], 0x240
	;; [unrolled: 1-line block ×3, first 2 shown]
	v_mov_b32_e32 v4, 0
	v_mov_b32_e32 v5, v1
.LBB84_22:                              ; =>This Inner Loop Header: Depth=1
	global_load_dword v3, v[12:13], off
	global_load_dwordx2 v[14:15], v[10:11], off
	global_load_sbyte v18, v[10:11], off offset:8
	v_lshl_add_u64 v[6:7], v[6:7], 0, 64
	v_cmp_ge_i64_e32 vcc, v[6:7], v[8:9]
	v_lshl_add_u64 v[10:11], v[10:11], 0, s[8:9]
	v_lshl_add_u64 v[12:13], v[12:13], 0, s[10:11]
	s_or_b64 s[2:3], vcc, s[2:3]
	s_waitcnt vmcnt(2)
	v_subrev_u32_e32 v3, s16, v3
	v_lshl_add_u32 v16, v3, 1, v3
	v_ashrrev_i32_e32 v17, 31, v16
	s_waitcnt lgkmcnt(0)
	v_lshl_add_u64 v[16:17], s[4:5], 0, v[16:17]
	global_load_ushort v3, v[16:17], off
	global_load_sbyte v20, v[16:17], off offset:2
	s_waitcnt vmcnt(3)
	v_lshrrev_b32_e32 v16, 8, v14
	v_bfe_i32 v17, v14, 0, 8
	v_lshrrev_b32_e32 v19, 16, v14
	v_lshrrev_b32_e32 v14, 24, v14
	v_bfe_i32 v21, v15, 0, 8
	v_lshrrev_b32_e32 v23, 16, v15
	v_lshrrev_b32_e32 v22, 8, v15
	s_waitcnt vmcnt(2)
	v_cvt_f32_i32_e32 v25, v18
	v_bfe_i32 v18, v19, 0, 8
	v_bfe_i32 v19, v14, 0, 8
	v_cvt_f32_i32_sdwa v14, sext(v17) dst_sel:DWORD dst_unused:UNUSED_PAD src0_sel:WORD_0
	v_cvt_f32_i32_sdwa v17, sext(v21) dst_sel:DWORD dst_unused:UNUSED_PAD src0_sel:WORD_0
	v_bfe_i32 v21, v23, 0, 8
	v_lshrrev_b32_e32 v15, 24, v15
	v_bfe_i32 v16, v16, 0, 8
	v_bfe_i32 v22, v22, 0, 8
	v_cvt_f32_i32_sdwa v26, sext(v18) dst_sel:DWORD dst_unused:UNUSED_PAD src0_sel:WORD_0
	v_cvt_f32_i32_sdwa v18, sext(v21) dst_sel:DWORD dst_unused:UNUSED_PAD src0_sel:WORD_0
	v_bfe_i32 v23, v15, 0, 8
	v_cvt_f32_i32_sdwa v15, sext(v16) dst_sel:DWORD dst_unused:UNUSED_PAD src0_sel:WORD_0
	v_cvt_f32_i32_sdwa v27, sext(v22) dst_sel:DWORD dst_unused:UNUSED_PAD src0_sel:WORD_0
	;; [unrolled: 1-line block ×4, first 2 shown]
	s_waitcnt vmcnt(1)
	v_bfe_i32 v21, v3, 0, 8
	v_lshrrev_b32_e32 v3, 8, v3
	v_cvt_f32_i32_sdwa v22, sext(v21) dst_sel:DWORD dst_unused:UNUSED_PAD src0_sel:WORD_0
	v_bfe_i32 v3, v3, 0, 8
	v_cvt_f32_i32_sdwa v24, sext(v3) dst_sel:DWORD dst_unused:UNUSED_PAD src0_sel:WORD_0
	s_waitcnt vmcnt(0)
	v_cvt_f32_i32_e32 v20, v20
	v_pk_fma_f32 v[4:5], v[14:15], v[22:23], v[4:5] op_sel_hi:[1,0,1]
	v_fmac_f32_e32 v1, v26, v22
	v_fmac_f32_e32 v1, v27, v24
	v_pk_fma_f32 v[4:5], v[16:17], v[24:25], v[4:5] op_sel_hi:[1,0,1]
	v_fmac_f32_e32 v1, v25, v20
	v_pk_fma_f32 v[4:5], v[18:19], v[20:21], v[4:5] op_sel_hi:[1,0,1]
	s_andn2_b64 exec, exec, s[2:3]
	s_cbranch_execnz .LBB84_22
; %bb.23:
	s_or_b64 exec, exec, s[2:3]
.LBB84_24:
	s_or_b64 exec, exec, s[6:7]
.LBB84_25:
	v_mov_b32_dpp v6, v4 row_shr:1 row_mask:0xf bank_mask:0xf
	v_mov_b32_dpp v7, v5 row_shr:1 row_mask:0xf bank_mask:0xf
	;; [unrolled: 1-line block ×3, first 2 shown]
	v_pk_add_f32 v[4:5], v[4:5], v[6:7]
	v_add_f32_e32 v1, v1, v3
	v_cmp_eq_u32_e32 vcc, 63, v0
	v_mov_b32_dpp v6, v4 row_shr:2 row_mask:0xf bank_mask:0xf
	v_mov_b32_dpp v7, v5 row_shr:2 row_mask:0xf bank_mask:0xf
	v_mov_b32_dpp v3, v1 row_shr:2 row_mask:0xf bank_mask:0xf
	v_pk_add_f32 v[4:5], v[4:5], v[6:7]
	v_add_f32_e32 v1, v1, v3
	s_nop 0
	v_mov_b32_dpp v6, v4 row_shr:4 row_mask:0xf bank_mask:0xe
	v_mov_b32_dpp v7, v5 row_shr:4 row_mask:0xf bank_mask:0xe
	v_mov_b32_dpp v3, v1 row_shr:4 row_mask:0xf bank_mask:0xe
	v_pk_add_f32 v[4:5], v[4:5], v[6:7]
	v_add_f32_e32 v1, v1, v3
	s_nop 0
	;; [unrolled: 6-line block ×3, first 2 shown]
	v_mov_b32_dpp v6, v4 row_bcast:15 row_mask:0xa bank_mask:0xf
	v_mov_b32_dpp v7, v5 row_bcast:15 row_mask:0xa bank_mask:0xf
	;; [unrolled: 1-line block ×3, first 2 shown]
	v_pk_add_f32 v[4:5], v[4:5], v[6:7]
	v_add_f32_e32 v1, v1, v3
	s_nop 0
	v_mov_b32_dpp v6, v4 row_bcast:31 row_mask:0xc bank_mask:0xf
	v_mov_b32_dpp v7, v5 row_bcast:31 row_mask:0xc bank_mask:0xf
	;; [unrolled: 1-line block ×3, first 2 shown]
	s_and_b64 exec, exec, vcc
	s_cbranch_execz .LBB84_10
; %bb.26:
	s_load_dwordx2 s[0:1], s[0:1], 0x50
	v_pk_add_f32 v[4:5], v[4:5], v[6:7]
	v_add_f32_e32 v0, v1, v3
	v_cmp_eq_f32_e64 s[2:3], s14, 0
	v_lshl_add_u32 v6, v2, 1, v2
	s_and_b64 vcc, exec, s[2:3]
	v_mul_f32_e32 v2, s12, v0
	v_ashrrev_i32_e32 v7, 31, v6
	s_cbranch_vccz .LBB84_28
; %bb.27:
	s_waitcnt lgkmcnt(0)
	v_lshl_add_u64 v[8:9], v[6:7], 2, s[0:1]
	v_pk_mul_f32 v[0:1], s[12:13], v[4:5] op_sel_hi:[0,1]
	global_store_dwordx3 v[8:9], v[0:2], off
	s_cbranch_execnz .LBB84_10
	s_branch .LBB84_29
.LBB84_28:
.LBB84_29:
	s_waitcnt lgkmcnt(0)
	v_lshl_add_u64 v[10:11], v[6:7], 2, s[0:1]
	global_load_dwordx3 v[6:8], v[10:11], off
	v_pk_mul_f32 v[0:1], s[12:13], v[4:5] op_sel_hi:[0,1]
	s_waitcnt vmcnt(0)
	v_pk_fma_f32 v[0:1], s[14:15], v[6:7], v[0:1] op_sel_hi:[0,1,1]
	v_fmac_f32_e32 v2, s14, v8
	global_store_dwordx3 v[10:11], v[0:2], off
	s_endpgm
	.section	.rodata,"a",@progbits
	.p2align	6, 0x0
	.amdhsa_kernel _ZN9rocsparseL18bsrxmvn_3x3_kernelILj256ELj64EfliaafEEvT3_20rocsparse_direction_NS_24const_host_device_scalarIT1_EES1_PKS1_PKT2_SA_S7_PKT4_PKT5_S5_PT6_21rocsparse_index_base_b
		.amdhsa_group_segment_fixed_size 0
		.amdhsa_private_segment_fixed_size 0
		.amdhsa_kernarg_size 96
		.amdhsa_user_sgpr_count 2
		.amdhsa_user_sgpr_dispatch_ptr 0
		.amdhsa_user_sgpr_queue_ptr 0
		.amdhsa_user_sgpr_kernarg_segment_ptr 1
		.amdhsa_user_sgpr_dispatch_id 0
		.amdhsa_user_sgpr_kernarg_preload_length 0
		.amdhsa_user_sgpr_kernarg_preload_offset 0
		.amdhsa_user_sgpr_private_segment_size 0
		.amdhsa_uses_dynamic_stack 0
		.amdhsa_enable_private_segment 0
		.amdhsa_system_sgpr_workgroup_id_x 1
		.amdhsa_system_sgpr_workgroup_id_y 0
		.amdhsa_system_sgpr_workgroup_id_z 0
		.amdhsa_system_sgpr_workgroup_info 0
		.amdhsa_system_vgpr_workitem_id 0
		.amdhsa_next_free_vgpr 31
		.amdhsa_next_free_sgpr 22
		.amdhsa_accum_offset 32
		.amdhsa_reserve_vcc 1
		.amdhsa_float_round_mode_32 0
		.amdhsa_float_round_mode_16_64 0
		.amdhsa_float_denorm_mode_32 3
		.amdhsa_float_denorm_mode_16_64 3
		.amdhsa_dx10_clamp 1
		.amdhsa_ieee_mode 1
		.amdhsa_fp16_overflow 0
		.amdhsa_tg_split 0
		.amdhsa_exception_fp_ieee_invalid_op 0
		.amdhsa_exception_fp_denorm_src 0
		.amdhsa_exception_fp_ieee_div_zero 0
		.amdhsa_exception_fp_ieee_overflow 0
		.amdhsa_exception_fp_ieee_underflow 0
		.amdhsa_exception_fp_ieee_inexact 0
		.amdhsa_exception_int_div_zero 0
	.end_amdhsa_kernel
	.section	.text._ZN9rocsparseL18bsrxmvn_3x3_kernelILj256ELj64EfliaafEEvT3_20rocsparse_direction_NS_24const_host_device_scalarIT1_EES1_PKS1_PKT2_SA_S7_PKT4_PKT5_S5_PT6_21rocsparse_index_base_b,"axG",@progbits,_ZN9rocsparseL18bsrxmvn_3x3_kernelILj256ELj64EfliaafEEvT3_20rocsparse_direction_NS_24const_host_device_scalarIT1_EES1_PKS1_PKT2_SA_S7_PKT4_PKT5_S5_PT6_21rocsparse_index_base_b,comdat
.Lfunc_end84:
	.size	_ZN9rocsparseL18bsrxmvn_3x3_kernelILj256ELj64EfliaafEEvT3_20rocsparse_direction_NS_24const_host_device_scalarIT1_EES1_PKS1_PKT2_SA_S7_PKT4_PKT5_S5_PT6_21rocsparse_index_base_b, .Lfunc_end84-_ZN9rocsparseL18bsrxmvn_3x3_kernelILj256ELj64EfliaafEEvT3_20rocsparse_direction_NS_24const_host_device_scalarIT1_EES1_PKS1_PKT2_SA_S7_PKT4_PKT5_S5_PT6_21rocsparse_index_base_b
                                        ; -- End function
	.section	.AMDGPU.csdata,"",@progbits
; Kernel info:
; codeLenInByte = 1684
; NumSgprs: 28
; NumVgprs: 31
; NumAgprs: 0
; TotalNumVgprs: 31
; ScratchSize: 0
; MemoryBound: 0
; FloatMode: 240
; IeeeMode: 1
; LDSByteSize: 0 bytes/workgroup (compile time only)
; SGPRBlocks: 3
; VGPRBlocks: 3
; NumSGPRsForWavesPerEU: 28
; NumVGPRsForWavesPerEU: 31
; AccumOffset: 32
; Occupancy: 8
; WaveLimiterHint : 1
; COMPUTE_PGM_RSRC2:SCRATCH_EN: 0
; COMPUTE_PGM_RSRC2:USER_SGPR: 2
; COMPUTE_PGM_RSRC2:TRAP_HANDLER: 0
; COMPUTE_PGM_RSRC2:TGID_X_EN: 1
; COMPUTE_PGM_RSRC2:TGID_Y_EN: 0
; COMPUTE_PGM_RSRC2:TGID_Z_EN: 0
; COMPUTE_PGM_RSRC2:TIDIG_COMP_CNT: 0
; COMPUTE_PGM_RSRC3_GFX90A:ACCUM_OFFSET: 7
; COMPUTE_PGM_RSRC3_GFX90A:TG_SPLIT: 0
	.section	.text._ZN9rocsparseL18bsrxmvn_3x3_kernelILj256ELj4EfllaafEEvT3_20rocsparse_direction_NS_24const_host_device_scalarIT1_EES1_PKS1_PKT2_SA_S7_PKT4_PKT5_S5_PT6_21rocsparse_index_base_b,"axG",@progbits,_ZN9rocsparseL18bsrxmvn_3x3_kernelILj256ELj4EfllaafEEvT3_20rocsparse_direction_NS_24const_host_device_scalarIT1_EES1_PKS1_PKT2_SA_S7_PKT4_PKT5_S5_PT6_21rocsparse_index_base_b,comdat
	.globl	_ZN9rocsparseL18bsrxmvn_3x3_kernelILj256ELj4EfllaafEEvT3_20rocsparse_direction_NS_24const_host_device_scalarIT1_EES1_PKS1_PKT2_SA_S7_PKT4_PKT5_S5_PT6_21rocsparse_index_base_b ; -- Begin function _ZN9rocsparseL18bsrxmvn_3x3_kernelILj256ELj4EfllaafEEvT3_20rocsparse_direction_NS_24const_host_device_scalarIT1_EES1_PKS1_PKT2_SA_S7_PKT4_PKT5_S5_PT6_21rocsparse_index_base_b
	.p2align	8
	.type	_ZN9rocsparseL18bsrxmvn_3x3_kernelILj256ELj4EfllaafEEvT3_20rocsparse_direction_NS_24const_host_device_scalarIT1_EES1_PKS1_PKT2_SA_S7_PKT4_PKT5_S5_PT6_21rocsparse_index_base_b,@function
_ZN9rocsparseL18bsrxmvn_3x3_kernelILj256ELj4EfllaafEEvT3_20rocsparse_direction_NS_24const_host_device_scalarIT1_EES1_PKS1_PKT2_SA_S7_PKT4_PKT5_S5_PT6_21rocsparse_index_base_b: ; @_ZN9rocsparseL18bsrxmvn_3x3_kernelILj256ELj4EfllaafEEvT3_20rocsparse_direction_NS_24const_host_device_scalarIT1_EES1_PKS1_PKT2_SA_S7_PKT4_PKT5_S5_PT6_21rocsparse_index_base_b
; %bb.0:
	s_load_dwordx2 s[18:19], s[0:1], 0x60
	s_load_dwordx4 s[12:15], s[0:1], 0x10
	s_load_dwordx2 s[16:17], s[0:1], 0x50
	s_waitcnt lgkmcnt(0)
	s_bitcmp1_b32 s19, 0
	s_cselect_b64 s[6:7], -1, 0
	s_xor_b64 s[4:5], s[6:7], -1
	s_and_b64 vcc, exec, s[6:7]
	s_cbranch_vccnz .LBB85_2
; %bb.1:
	s_load_dword s12, s[12:13], 0x0
.LBB85_2:
	s_andn2_b64 vcc, exec, s[4:5]
	s_cbranch_vccnz .LBB85_4
; %bb.3:
	s_load_dword s16, s[16:17], 0x0
.LBB85_4:
	s_waitcnt lgkmcnt(0)
	v_cmp_neq_f32_e64 s[4:5], s12, 0
	v_cmp_neq_f32_e64 s[6:7], s16, 1.0
	s_or_b64 s[4:5], s[4:5], s[6:7]
	s_andn2_b64 vcc, exec, s[4:5]
	s_cbranch_vccnz .LBB85_10
; %bb.5:
	s_load_dwordx2 s[4:5], s[0:1], 0x20
	v_lshrrev_b32_e32 v1, 2, v0
	v_lshl_or_b32 v2, s2, 6, v1
	v_mov_b32_e32 v3, 0
	s_mov_b64 s[2:3], 0
	s_waitcnt lgkmcnt(0)
	s_cmp_lg_u64 s[4:5], 0
	s_cbranch_scc0 .LBB85_11
; %bb.6:
	v_cmp_gt_i64_e32 vcc, s[14:15], v[2:3]
                                        ; implicit-def: $vgpr4_vgpr5
	s_and_saveexec_b64 s[6:7], vcc
	s_xor_b64 s[6:7], exec, s[6:7]
                                        ; implicit-def: $sgpr14_sgpr15
	s_cbranch_execz .LBB85_8
; %bb.7:
	v_lshl_add_u64 v[4:5], v[2:3], 3, s[4:5]
	global_load_dwordx2 v[4:5], v[4:5], off
	s_mov_b64 s[2:3], exec
	s_mov_b32 s15, 0
	s_waitcnt vmcnt(0)
	v_subrev_co_u32_e32 v4, vcc, s18, v4
	s_nop 1
	v_subbrev_co_u32_e32 v5, vcc, 0, v5, vcc
.LBB85_8:
	s_or_b64 exec, exec, s[6:7]
.LBB85_9:
	s_and_saveexec_b64 s[4:5], s[2:3]
	s_cbranch_execnz .LBB85_15
.LBB85_10:
	s_endpgm
.LBB85_11:
                                        ; implicit-def: $vgpr4_vgpr5
                                        ; implicit-def: $sgpr14_sgpr15
	s_cbranch_execz .LBB85_9
; %bb.12:
	s_load_dwordx2 s[4:5], s[0:1], 0x0
                                        ; implicit-def: $vgpr4_vgpr5
	s_waitcnt lgkmcnt(0)
	v_cmp_gt_i64_e32 vcc, s[4:5], v[2:3]
	s_and_saveexec_b64 s[4:5], vcc
                                        ; implicit-def: $sgpr14_sgpr15
; %bb.13:
	s_mov_b32 s15, 0
	s_or_b64 s[2:3], s[2:3], exec
	v_mov_b64_e32 v[4:5], v[2:3]
; %bb.14:
	s_or_b64 exec, exec, s[4:5]
	s_and_saveexec_b64 s[4:5], s[2:3]
	s_cbranch_execz .LBB85_10
.LBB85_15:
	s_load_dwordx8 s[4:11], s[0:1], 0x28
	v_lshlrev_b64 v[2:3], 3, v[4:5]
	v_mov_b32_e32 v10, s15
	v_and_b32_e32 v0, 3, v0
	v_mov_b32_e32 v1, 0
	s_waitcnt lgkmcnt(0)
	v_lshl_add_u64 v[6:7], s[4:5], 0, v[2:3]
	s_cmp_eq_u64 s[6:7], 0
	v_lshl_add_u64 v[2:3], s[6:7], 0, v[2:3]
	global_load_dwordx2 v[8:9], v[6:7], off
	v_lshl_add_u64 v[6:7], v[6:7], 0, 8
	s_cselect_b64 vcc, -1, 0
	v_cndmask_b32_e32 v3, v3, v7, vcc
	v_cndmask_b32_e32 v2, v2, v6, vcc
	global_load_dwordx2 v[6:7], v[2:3], off
	s_load_dword s2, s[0:1], 0x8
	s_load_dwordx2 s[4:5], s[0:1], 0x48
	s_waitcnt lgkmcnt(0)
	s_cmp_eq_u32 s2, 1
	s_waitcnt vmcnt(1)
	v_subrev_co_u32_e32 v2, vcc, s18, v8
	s_nop 1
	v_subb_co_u32_e32 v3, vcc, v9, v10, vcc
	v_lshl_add_u64 v[2:3], v[2:3], 0, v[0:1]
	s_waitcnt vmcnt(0)
	v_subrev_co_u32_e32 v6, vcc, s18, v6
	s_nop 1
	v_subb_co_u32_e32 v7, vcc, v7, v10, vcc
	v_mad_u64_u32 v[10:11], s[2:3], v2, 9, 0
	v_mov_b32_e32 v8, v11
	v_mad_u64_u32 v[8:9], s[2:3], v3, 9, v[8:9]
	v_mov_b32_e32 v11, v8
	v_cmp_lt_i64_e64 s[2:3], v[2:3], v[6:7]
	s_cbranch_scc1 .LBB85_21
; %bb.16:
	v_mov_b32_e32 v8, v1
	v_mov_b32_e32 v18, v1
	s_and_saveexec_b64 s[6:7], s[2:3]
	s_cbranch_execz .LBB85_20
; %bb.17:
	v_mov_b32_e32 v18, 0
	v_lshl_add_u64 v[12:13], s[10:11], 0, v[10:11]
	v_lshl_add_u64 v[14:15], v[2:3], 3, s[8:9]
	s_mov_b64 s[20:21], 0
	v_mov_b32_e32 v1, s15
	v_mov_b64_e32 v[16:17], v[2:3]
	v_mov_b32_e32 v8, 0
	v_mov_b32_e32 v9, v18
.LBB85_18:                              ; =>This Inner Loop Header: Depth=1
	global_load_dwordx2 v[20:21], v[14:15], off
	global_load_dwordx2 v[22:23], v[12:13], off
	global_load_sbyte v19, v[12:13], off offset:8
	v_lshl_add_u64 v[16:17], v[16:17], 0, 4
	v_lshl_add_u64 v[12:13], v[12:13], 0, 36
	;; [unrolled: 1-line block ×3, first 2 shown]
	s_waitcnt vmcnt(2)
	v_subrev_co_u32_e32 v20, vcc, s18, v20
	s_nop 1
	v_subb_co_u32_e32 v25, vcc, v21, v1, vcc
	v_mad_u64_u32 v[20:21], s[22:23], v20, 3, s[4:5]
	v_mov_b32_e32 v24, v21
	v_mad_u64_u32 v[24:25], s[22:23], v25, 3, v[24:25]
	v_mov_b32_e32 v21, v24
	global_load_ushort v26, v[20:21], off
	global_load_sbyte v27, v[20:21], off offset:2
	s_waitcnt vmcnt(3)
	v_lshrrev_b32_e32 v21, 8, v22
	v_lshrrev_b32_e32 v28, 8, v23
	v_bfe_i32 v20, v22, 0, 8
	v_lshrrev_b32_e32 v24, 16, v22
	v_lshrrev_b32_e32 v22, 24, v22
	v_bfe_i32 v25, v23, 0, 8
	;; [unrolled: 3-line block ×3, first 2 shown]
	v_bfe_i32 v28, v28, 0, 8
	v_bfe_i32 v21, v22, 0, 8
	;; [unrolled: 1-line block ×4, first 2 shown]
	v_cvt_f32_i32_sdwa v23, sext(v25) dst_sel:DWORD dst_unused:UNUSED_PAD src0_sel:WORD_0
	v_cvt_f32_i32_sdwa v22, sext(v30) dst_sel:DWORD dst_unused:UNUSED_PAD src0_sel:WORD_0
	;; [unrolled: 1-line block ×6, first 2 shown]
	v_bfe_i32 v24, v24, 0, 8
	v_cvt_f32_i32_sdwa v31, sext(v31) dst_sel:DWORD dst_unused:UNUSED_PAD src0_sel:WORD_0
	s_waitcnt vmcnt(2)
	v_cvt_f32_i32_e32 v19, v19
	v_cvt_f32_i32_sdwa v24, sext(v24) dst_sel:DWORD dst_unused:UNUSED_PAD src0_sel:WORD_0
	v_cmp_ge_i64_e32 vcc, v[16:17], v[6:7]
	s_or_b64 s[20:21], vcc, s[20:21]
	s_waitcnt vmcnt(1)
	v_bfe_i32 v28, v26, 0, 8
	v_lshrrev_b32_e32 v30, 8, v26
	s_waitcnt vmcnt(0)
	v_cvt_f32_i32_e32 v26, v27
	v_cvt_f32_i32_sdwa v28, sext(v28) dst_sel:DWORD dst_unused:UNUSED_PAD src0_sel:WORD_0
	v_bfe_i32 v27, v30, 0, 8
	v_cvt_f32_i32_sdwa v30, sext(v27) dst_sel:DWORD dst_unused:UNUSED_PAD src0_sel:WORD_0
	v_pk_fma_f32 v[8:9], v[20:21], v[28:29], v[8:9] op_sel_hi:[1,0,1]
	v_fmac_f32_e32 v18, v29, v28
	v_pk_fma_f32 v[8:9], v[22:23], v[30:31], v[8:9] op_sel_hi:[1,0,1]
	v_fmac_f32_e32 v18, v31, v30
	;; [unrolled: 2-line block ×3, first 2 shown]
	s_andn2_b64 exec, exec, s[20:21]
	s_cbranch_execnz .LBB85_18
; %bb.19:
	s_or_b64 exec, exec, s[20:21]
	v_mov_b32_e32 v1, v9
.LBB85_20:
	s_or_b64 exec, exec, s[6:7]
	v_mov_b32_e32 v9, v1
	s_cbranch_execz .LBB85_22
	s_branch .LBB85_27
.LBB85_21:
                                        ; implicit-def: $vgpr9
                                        ; implicit-def: $vgpr18
.LBB85_22:
	v_mov_b32_e32 v9, 0
	v_mov_b32_e32 v8, v9
	;; [unrolled: 1-line block ×3, first 2 shown]
	s_and_saveexec_b64 s[6:7], s[2:3]
	s_cbranch_execz .LBB85_26
; %bb.23:
	v_lshl_add_u64 v[8:9], v[10:11], 0, s[10:11]
	v_mov_b32_e32 v18, 0
	v_lshl_add_u64 v[10:11], v[8:9], 0, 5
	v_lshl_add_u64 v[12:13], v[2:3], 3, s[8:9]
	s_mov_b64 s[2:3], 0
	v_mov_b32_e32 v1, s15
	v_mov_b32_e32 v8, 0
	;; [unrolled: 1-line block ×3, first 2 shown]
.LBB85_24:                              ; =>This Inner Loop Header: Depth=1
	global_load_dwordx2 v[14:15], v[12:13], off
	global_load_dwordx2 v[16:17], v[10:11], off offset:-5
	global_load_sbyte v19, v[10:11], off offset:3
	v_lshl_add_u64 v[2:3], v[2:3], 0, 4
	v_lshl_add_u64 v[10:11], v[10:11], 0, 36
	;; [unrolled: 1-line block ×3, first 2 shown]
	s_waitcnt vmcnt(2)
	v_subrev_co_u32_e32 v14, vcc, s18, v14
	s_nop 1
	v_subb_co_u32_e32 v21, vcc, v15, v1, vcc
	v_mad_u64_u32 v[14:15], s[8:9], v14, 3, s[4:5]
	v_mov_b32_e32 v20, v15
	v_mad_u64_u32 v[20:21], s[8:9], v21, 3, v[20:21]
	v_mov_b32_e32 v15, v20
	global_load_ushort v22, v[14:15], off
	global_load_sbyte v23, v[14:15], off offset:2
	s_waitcnt vmcnt(3)
	v_lshrrev_b32_e32 v20, 16, v16
	v_lshrrev_b32_e32 v24, 8, v17
	;; [unrolled: 1-line block ×4, first 2 shown]
	v_bfe_i32 v20, v20, 0, 8
	v_bfe_i32 v24, v24, 0, 8
	;; [unrolled: 1-line block ×4, first 2 shown]
	v_lshrrev_b32_e32 v16, 24, v16
	v_bfe_i32 v26, v14, 0, 8
	v_cvt_f32_i32_sdwa v28, sext(v20) dst_sel:DWORD dst_unused:UNUSED_PAD src0_sel:WORD_0
	v_cvt_f32_i32_sdwa v29, sext(v24) dst_sel:DWORD dst_unused:UNUSED_PAD src0_sel:WORD_0
	v_cvt_f32_i32_sdwa v20, sext(v25) dst_sel:DWORD dst_unused:UNUSED_PAD src0_sel:WORD_0
	v_bfe_i32 v21, v17, 0, 8
	v_lshrrev_b32_e32 v17, 24, v17
	v_bfe_i32 v16, v16, 0, 8
	v_cvt_f32_i32_sdwa v14, sext(v15) dst_sel:DWORD dst_unused:UNUSED_PAD src0_sel:WORD_0
	v_cvt_f32_i32_sdwa v15, sext(v26) dst_sel:DWORD dst_unused:UNUSED_PAD src0_sel:WORD_0
	v_bfe_i32 v27, v17, 0, 8
	v_cvt_f32_i32_sdwa v17, sext(v21) dst_sel:DWORD dst_unused:UNUSED_PAD src0_sel:WORD_0
	v_cvt_f32_i32_sdwa v16, sext(v16) dst_sel:DWORD dst_unused:UNUSED_PAD src0_sel:WORD_0
	s_waitcnt vmcnt(2)
	v_cvt_f32_i32_e32 v19, v19
	v_cvt_f32_i32_sdwa v21, sext(v27) dst_sel:DWORD dst_unused:UNUSED_PAD src0_sel:WORD_0
	v_cmp_ge_i64_e32 vcc, v[2:3], v[6:7]
	s_or_b64 s[2:3], vcc, s[2:3]
	s_waitcnt vmcnt(1)
	v_bfe_i32 v24, v22, 0, 8
	v_lshrrev_b32_e32 v25, 8, v22
	s_waitcnt vmcnt(0)
	v_cvt_f32_i32_e32 v22, v23
	v_cvt_f32_i32_sdwa v24, sext(v24) dst_sel:DWORD dst_unused:UNUSED_PAD src0_sel:WORD_0
	v_bfe_i32 v23, v25, 0, 8
	v_cvt_f32_i32_sdwa v26, sext(v23) dst_sel:DWORD dst_unused:UNUSED_PAD src0_sel:WORD_0
	v_fmac_f32_e32 v18, v28, v24
	v_pk_fma_f32 v[8:9], v[14:15], v[24:25], v[8:9] op_sel_hi:[1,0,1]
	v_fmac_f32_e32 v18, v29, v26
	v_pk_fma_f32 v[8:9], v[16:17], v[26:27], v[8:9] op_sel_hi:[1,0,1]
	;; [unrolled: 2-line block ×3, first 2 shown]
	s_andn2_b64 exec, exec, s[2:3]
	s_cbranch_execnz .LBB85_24
; %bb.25:
	s_or_b64 exec, exec, s[2:3]
.LBB85_26:
	s_or_b64 exec, exec, s[6:7]
.LBB85_27:
	v_mov_b32_dpp v2, v8 row_shr:1 row_mask:0xf bank_mask:0xf
	v_mov_b32_dpp v3, v9 row_shr:1 row_mask:0xf bank_mask:0xf
	;; [unrolled: 1-line block ×3, first 2 shown]
	v_pk_add_f32 v[2:3], v[8:9], v[2:3]
	v_add_f32_e32 v1, v18, v1
	v_cmp_eq_u32_e32 vcc, 3, v0
	v_mov_b32_dpp v6, v2 row_shr:2 row_mask:0xf bank_mask:0xf
	v_mov_b32_dpp v7, v3 row_shr:2 row_mask:0xf bank_mask:0xf
	;; [unrolled: 1-line block ×3, first 2 shown]
	s_and_b64 exec, exec, vcc
	s_cbranch_execz .LBB85_10
; %bb.28:
	s_load_dwordx2 s[0:1], s[0:1], 0x58
	v_add_f32_e32 v0, v1, v8
	v_cmp_eq_f32_e64 s[2:3], s16, 0
	v_pk_add_f32 v[6:7], v[2:3], v[6:7]
	s_and_b64 vcc, exec, s[2:3]
	v_mul_f32_e32 v2, s12, v0
	s_cbranch_vccz .LBB85_30
; %bb.29:
	s_waitcnt lgkmcnt(0)
	v_mad_u64_u32 v[8:9], s[2:3], v4, 12, s[0:1]
	v_mov_b32_e32 v0, v9
	v_mad_u64_u32 v[0:1], s[2:3], v5, 12, v[0:1]
	v_mov_b32_e32 v9, v0
	v_pk_mul_f32 v[0:1], s[12:13], v[6:7] op_sel_hi:[0,1]
	global_store_dwordx3 v[8:9], v[0:2], off
	s_cbranch_execnz .LBB85_10
	s_branch .LBB85_31
.LBB85_30:
.LBB85_31:
	s_waitcnt lgkmcnt(0)
	v_mad_u64_u32 v[12:13], s[0:1], v4, 12, s[0:1]
	v_mov_b32_e32 v0, v13
	v_mad_u64_u32 v[0:1], s[0:1], v5, 12, v[0:1]
	v_mov_b32_e32 v13, v0
	global_load_dwordx3 v[8:10], v[12:13], off
	v_pk_mul_f32 v[0:1], s[12:13], v[6:7] op_sel_hi:[0,1]
	s_waitcnt vmcnt(0)
	v_pk_fma_f32 v[0:1], s[16:17], v[8:9], v[0:1] op_sel_hi:[0,1,1]
	v_fmac_f32_e32 v2, s16, v10
	global_store_dwordx3 v[12:13], v[0:2], off
	s_endpgm
	.section	.rodata,"a",@progbits
	.p2align	6, 0x0
	.amdhsa_kernel _ZN9rocsparseL18bsrxmvn_3x3_kernelILj256ELj4EfllaafEEvT3_20rocsparse_direction_NS_24const_host_device_scalarIT1_EES1_PKS1_PKT2_SA_S7_PKT4_PKT5_S5_PT6_21rocsparse_index_base_b
		.amdhsa_group_segment_fixed_size 0
		.amdhsa_private_segment_fixed_size 0
		.amdhsa_kernarg_size 104
		.amdhsa_user_sgpr_count 2
		.amdhsa_user_sgpr_dispatch_ptr 0
		.amdhsa_user_sgpr_queue_ptr 0
		.amdhsa_user_sgpr_kernarg_segment_ptr 1
		.amdhsa_user_sgpr_dispatch_id 0
		.amdhsa_user_sgpr_kernarg_preload_length 0
		.amdhsa_user_sgpr_kernarg_preload_offset 0
		.amdhsa_user_sgpr_private_segment_size 0
		.amdhsa_uses_dynamic_stack 0
		.amdhsa_enable_private_segment 0
		.amdhsa_system_sgpr_workgroup_id_x 1
		.amdhsa_system_sgpr_workgroup_id_y 0
		.amdhsa_system_sgpr_workgroup_id_z 0
		.amdhsa_system_sgpr_workgroup_info 0
		.amdhsa_system_vgpr_workitem_id 0
		.amdhsa_next_free_vgpr 32
		.amdhsa_next_free_sgpr 24
		.amdhsa_accum_offset 32
		.amdhsa_reserve_vcc 1
		.amdhsa_float_round_mode_32 0
		.amdhsa_float_round_mode_16_64 0
		.amdhsa_float_denorm_mode_32 3
		.amdhsa_float_denorm_mode_16_64 3
		.amdhsa_dx10_clamp 1
		.amdhsa_ieee_mode 1
		.amdhsa_fp16_overflow 0
		.amdhsa_tg_split 0
		.amdhsa_exception_fp_ieee_invalid_op 0
		.amdhsa_exception_fp_denorm_src 0
		.amdhsa_exception_fp_ieee_div_zero 0
		.amdhsa_exception_fp_ieee_overflow 0
		.amdhsa_exception_fp_ieee_underflow 0
		.amdhsa_exception_fp_ieee_inexact 0
		.amdhsa_exception_int_div_zero 0
	.end_amdhsa_kernel
	.section	.text._ZN9rocsparseL18bsrxmvn_3x3_kernelILj256ELj4EfllaafEEvT3_20rocsparse_direction_NS_24const_host_device_scalarIT1_EES1_PKS1_PKT2_SA_S7_PKT4_PKT5_S5_PT6_21rocsparse_index_base_b,"axG",@progbits,_ZN9rocsparseL18bsrxmvn_3x3_kernelILj256ELj4EfllaafEEvT3_20rocsparse_direction_NS_24const_host_device_scalarIT1_EES1_PKS1_PKT2_SA_S7_PKT4_PKT5_S5_PT6_21rocsparse_index_base_b,comdat
.Lfunc_end85:
	.size	_ZN9rocsparseL18bsrxmvn_3x3_kernelILj256ELj4EfllaafEEvT3_20rocsparse_direction_NS_24const_host_device_scalarIT1_EES1_PKS1_PKT2_SA_S7_PKT4_PKT5_S5_PT6_21rocsparse_index_base_b, .Lfunc_end85-_ZN9rocsparseL18bsrxmvn_3x3_kernelILj256ELj4EfllaafEEvT3_20rocsparse_direction_NS_24const_host_device_scalarIT1_EES1_PKS1_PKT2_SA_S7_PKT4_PKT5_S5_PT6_21rocsparse_index_base_b
                                        ; -- End function
	.section	.AMDGPU.csdata,"",@progbits
; Kernel info:
; codeLenInByte = 1576
; NumSgprs: 30
; NumVgprs: 32
; NumAgprs: 0
; TotalNumVgprs: 32
; ScratchSize: 0
; MemoryBound: 0
; FloatMode: 240
; IeeeMode: 1
; LDSByteSize: 0 bytes/workgroup (compile time only)
; SGPRBlocks: 3
; VGPRBlocks: 3
; NumSGPRsForWavesPerEU: 30
; NumVGPRsForWavesPerEU: 32
; AccumOffset: 32
; Occupancy: 8
; WaveLimiterHint : 1
; COMPUTE_PGM_RSRC2:SCRATCH_EN: 0
; COMPUTE_PGM_RSRC2:USER_SGPR: 2
; COMPUTE_PGM_RSRC2:TRAP_HANDLER: 0
; COMPUTE_PGM_RSRC2:TGID_X_EN: 1
; COMPUTE_PGM_RSRC2:TGID_Y_EN: 0
; COMPUTE_PGM_RSRC2:TGID_Z_EN: 0
; COMPUTE_PGM_RSRC2:TIDIG_COMP_CNT: 0
; COMPUTE_PGM_RSRC3_GFX90A:ACCUM_OFFSET: 7
; COMPUTE_PGM_RSRC3_GFX90A:TG_SPLIT: 0
	.section	.text._ZN9rocsparseL18bsrxmvn_3x3_kernelILj256ELj8EfllaafEEvT3_20rocsparse_direction_NS_24const_host_device_scalarIT1_EES1_PKS1_PKT2_SA_S7_PKT4_PKT5_S5_PT6_21rocsparse_index_base_b,"axG",@progbits,_ZN9rocsparseL18bsrxmvn_3x3_kernelILj256ELj8EfllaafEEvT3_20rocsparse_direction_NS_24const_host_device_scalarIT1_EES1_PKS1_PKT2_SA_S7_PKT4_PKT5_S5_PT6_21rocsparse_index_base_b,comdat
	.globl	_ZN9rocsparseL18bsrxmvn_3x3_kernelILj256ELj8EfllaafEEvT3_20rocsparse_direction_NS_24const_host_device_scalarIT1_EES1_PKS1_PKT2_SA_S7_PKT4_PKT5_S5_PT6_21rocsparse_index_base_b ; -- Begin function _ZN9rocsparseL18bsrxmvn_3x3_kernelILj256ELj8EfllaafEEvT3_20rocsparse_direction_NS_24const_host_device_scalarIT1_EES1_PKS1_PKT2_SA_S7_PKT4_PKT5_S5_PT6_21rocsparse_index_base_b
	.p2align	8
	.type	_ZN9rocsparseL18bsrxmvn_3x3_kernelILj256ELj8EfllaafEEvT3_20rocsparse_direction_NS_24const_host_device_scalarIT1_EES1_PKS1_PKT2_SA_S7_PKT4_PKT5_S5_PT6_21rocsparse_index_base_b,@function
_ZN9rocsparseL18bsrxmvn_3x3_kernelILj256ELj8EfllaafEEvT3_20rocsparse_direction_NS_24const_host_device_scalarIT1_EES1_PKS1_PKT2_SA_S7_PKT4_PKT5_S5_PT6_21rocsparse_index_base_b: ; @_ZN9rocsparseL18bsrxmvn_3x3_kernelILj256ELj8EfllaafEEvT3_20rocsparse_direction_NS_24const_host_device_scalarIT1_EES1_PKS1_PKT2_SA_S7_PKT4_PKT5_S5_PT6_21rocsparse_index_base_b
; %bb.0:
	s_load_dwordx2 s[18:19], s[0:1], 0x60
	s_load_dwordx4 s[12:15], s[0:1], 0x10
	s_load_dwordx2 s[16:17], s[0:1], 0x50
	s_waitcnt lgkmcnt(0)
	s_bitcmp1_b32 s19, 0
	s_cselect_b64 s[6:7], -1, 0
	s_xor_b64 s[4:5], s[6:7], -1
	s_and_b64 vcc, exec, s[6:7]
	s_cbranch_vccnz .LBB86_2
; %bb.1:
	s_load_dword s12, s[12:13], 0x0
.LBB86_2:
	s_andn2_b64 vcc, exec, s[4:5]
	s_cbranch_vccnz .LBB86_4
; %bb.3:
	s_load_dword s16, s[16:17], 0x0
.LBB86_4:
	s_waitcnt lgkmcnt(0)
	v_cmp_neq_f32_e64 s[4:5], s12, 0
	v_cmp_neq_f32_e64 s[6:7], s16, 1.0
	s_or_b64 s[4:5], s[4:5], s[6:7]
	s_andn2_b64 vcc, exec, s[4:5]
	s_cbranch_vccnz .LBB86_10
; %bb.5:
	s_load_dwordx2 s[4:5], s[0:1], 0x20
	v_lshrrev_b32_e32 v1, 3, v0
	v_lshl_or_b32 v2, s2, 5, v1
	v_mov_b32_e32 v3, 0
	s_mov_b64 s[2:3], 0
	s_waitcnt lgkmcnt(0)
	s_cmp_lg_u64 s[4:5], 0
	s_cbranch_scc0 .LBB86_11
; %bb.6:
	v_cmp_gt_i64_e32 vcc, s[14:15], v[2:3]
                                        ; implicit-def: $vgpr4_vgpr5
	s_and_saveexec_b64 s[6:7], vcc
	s_xor_b64 s[6:7], exec, s[6:7]
                                        ; implicit-def: $sgpr14_sgpr15
	s_cbranch_execz .LBB86_8
; %bb.7:
	v_lshl_add_u64 v[4:5], v[2:3], 3, s[4:5]
	global_load_dwordx2 v[4:5], v[4:5], off
	s_mov_b64 s[2:3], exec
	s_mov_b32 s15, 0
	s_waitcnt vmcnt(0)
	v_subrev_co_u32_e32 v4, vcc, s18, v4
	s_nop 1
	v_subbrev_co_u32_e32 v5, vcc, 0, v5, vcc
.LBB86_8:
	s_or_b64 exec, exec, s[6:7]
.LBB86_9:
	s_and_saveexec_b64 s[4:5], s[2:3]
	s_cbranch_execnz .LBB86_15
.LBB86_10:
	s_endpgm
.LBB86_11:
                                        ; implicit-def: $vgpr4_vgpr5
                                        ; implicit-def: $sgpr14_sgpr15
	s_cbranch_execz .LBB86_9
; %bb.12:
	s_load_dwordx2 s[4:5], s[0:1], 0x0
                                        ; implicit-def: $vgpr4_vgpr5
	s_waitcnt lgkmcnt(0)
	v_cmp_gt_i64_e32 vcc, s[4:5], v[2:3]
	s_and_saveexec_b64 s[4:5], vcc
                                        ; implicit-def: $sgpr14_sgpr15
; %bb.13:
	s_mov_b32 s15, 0
	s_or_b64 s[2:3], s[2:3], exec
	v_mov_b64_e32 v[4:5], v[2:3]
; %bb.14:
	s_or_b64 exec, exec, s[4:5]
	s_and_saveexec_b64 s[4:5], s[2:3]
	s_cbranch_execz .LBB86_10
.LBB86_15:
	s_load_dwordx8 s[4:11], s[0:1], 0x28
	v_lshlrev_b64 v[2:3], 3, v[4:5]
	v_mov_b32_e32 v10, s15
	v_and_b32_e32 v0, 7, v0
	v_mov_b32_e32 v1, 0
	s_waitcnt lgkmcnt(0)
	v_lshl_add_u64 v[6:7], s[4:5], 0, v[2:3]
	s_cmp_eq_u64 s[6:7], 0
	v_lshl_add_u64 v[2:3], s[6:7], 0, v[2:3]
	global_load_dwordx2 v[8:9], v[6:7], off
	v_lshl_add_u64 v[6:7], v[6:7], 0, 8
	s_cselect_b64 vcc, -1, 0
	v_cndmask_b32_e32 v3, v3, v7, vcc
	v_cndmask_b32_e32 v2, v2, v6, vcc
	global_load_dwordx2 v[6:7], v[2:3], off
	s_load_dword s2, s[0:1], 0x8
	s_load_dwordx2 s[4:5], s[0:1], 0x48
	s_waitcnt lgkmcnt(0)
	s_cmp_eq_u32 s2, 1
	s_waitcnt vmcnt(1)
	v_subrev_co_u32_e32 v2, vcc, s18, v8
	s_nop 1
	v_subb_co_u32_e32 v3, vcc, v9, v10, vcc
	v_lshl_add_u64 v[2:3], v[2:3], 0, v[0:1]
	s_waitcnt vmcnt(0)
	v_subrev_co_u32_e32 v6, vcc, s18, v6
	s_nop 1
	v_subb_co_u32_e32 v7, vcc, v7, v10, vcc
	v_mad_u64_u32 v[10:11], s[2:3], v2, 9, 0
	v_mov_b32_e32 v8, v11
	v_mad_u64_u32 v[8:9], s[2:3], v3, 9, v[8:9]
	v_mov_b32_e32 v11, v8
	v_cmp_lt_i64_e64 s[2:3], v[2:3], v[6:7]
	s_cbranch_scc1 .LBB86_21
; %bb.16:
	v_mov_b32_e32 v8, v1
	v_mov_b32_e32 v18, v1
	s_and_saveexec_b64 s[6:7], s[2:3]
	s_cbranch_execz .LBB86_20
; %bb.17:
	v_mov_b32_e32 v18, 0
	v_lshl_add_u64 v[12:13], s[10:11], 0, v[10:11]
	v_lshl_add_u64 v[14:15], v[2:3], 3, s[8:9]
	s_mov_b64 s[20:21], 0
	v_mov_b32_e32 v1, s15
	s_mov_b64 s[22:23], 0x48
	v_mov_b64_e32 v[16:17], v[2:3]
	v_mov_b32_e32 v8, 0
	v_mov_b32_e32 v9, v18
.LBB86_18:                              ; =>This Inner Loop Header: Depth=1
	global_load_dwordx2 v[20:21], v[14:15], off
	global_load_dwordx2 v[22:23], v[12:13], off
	global_load_sbyte v19, v[12:13], off offset:8
	v_lshl_add_u64 v[16:17], v[16:17], 0, 8
	v_lshl_add_u64 v[12:13], v[12:13], 0, s[22:23]
	;; [unrolled: 1-line block ×3, first 2 shown]
	s_waitcnt vmcnt(2)
	v_subrev_co_u32_e32 v20, vcc, s18, v20
	s_nop 1
	v_subb_co_u32_e32 v25, vcc, v21, v1, vcc
	v_mad_u64_u32 v[20:21], s[24:25], v20, 3, s[4:5]
	v_mov_b32_e32 v24, v21
	v_mad_u64_u32 v[24:25], s[24:25], v25, 3, v[24:25]
	v_mov_b32_e32 v21, v24
	global_load_ushort v26, v[20:21], off
	global_load_sbyte v27, v[20:21], off offset:2
	s_waitcnt vmcnt(3)
	v_lshrrev_b32_e32 v21, 8, v22
	v_lshrrev_b32_e32 v28, 8, v23
	v_bfe_i32 v20, v22, 0, 8
	v_lshrrev_b32_e32 v24, 16, v22
	v_lshrrev_b32_e32 v22, 24, v22
	v_bfe_i32 v25, v23, 0, 8
	;; [unrolled: 3-line block ×3, first 2 shown]
	v_bfe_i32 v28, v28, 0, 8
	v_bfe_i32 v21, v22, 0, 8
	;; [unrolled: 1-line block ×4, first 2 shown]
	v_cvt_f32_i32_sdwa v23, sext(v25) dst_sel:DWORD dst_unused:UNUSED_PAD src0_sel:WORD_0
	v_cvt_f32_i32_sdwa v22, sext(v30) dst_sel:DWORD dst_unused:UNUSED_PAD src0_sel:WORD_0
	;; [unrolled: 1-line block ×6, first 2 shown]
	v_bfe_i32 v24, v24, 0, 8
	v_cvt_f32_i32_sdwa v31, sext(v31) dst_sel:DWORD dst_unused:UNUSED_PAD src0_sel:WORD_0
	s_waitcnt vmcnt(2)
	v_cvt_f32_i32_e32 v19, v19
	v_cvt_f32_i32_sdwa v24, sext(v24) dst_sel:DWORD dst_unused:UNUSED_PAD src0_sel:WORD_0
	v_cmp_ge_i64_e32 vcc, v[16:17], v[6:7]
	s_or_b64 s[20:21], vcc, s[20:21]
	s_waitcnt vmcnt(1)
	v_bfe_i32 v28, v26, 0, 8
	v_lshrrev_b32_e32 v30, 8, v26
	s_waitcnt vmcnt(0)
	v_cvt_f32_i32_e32 v26, v27
	v_cvt_f32_i32_sdwa v28, sext(v28) dst_sel:DWORD dst_unused:UNUSED_PAD src0_sel:WORD_0
	v_bfe_i32 v27, v30, 0, 8
	v_cvt_f32_i32_sdwa v30, sext(v27) dst_sel:DWORD dst_unused:UNUSED_PAD src0_sel:WORD_0
	v_pk_fma_f32 v[8:9], v[20:21], v[28:29], v[8:9] op_sel_hi:[1,0,1]
	v_fmac_f32_e32 v18, v29, v28
	v_pk_fma_f32 v[8:9], v[22:23], v[30:31], v[8:9] op_sel_hi:[1,0,1]
	v_fmac_f32_e32 v18, v31, v30
	;; [unrolled: 2-line block ×3, first 2 shown]
	s_andn2_b64 exec, exec, s[20:21]
	s_cbranch_execnz .LBB86_18
; %bb.19:
	s_or_b64 exec, exec, s[20:21]
	v_mov_b32_e32 v1, v9
.LBB86_20:
	s_or_b64 exec, exec, s[6:7]
	v_mov_b32_e32 v9, v1
	s_cbranch_execz .LBB86_22
	s_branch .LBB86_27
.LBB86_21:
                                        ; implicit-def: $vgpr9
                                        ; implicit-def: $vgpr18
.LBB86_22:
	v_mov_b32_e32 v9, 0
	v_mov_b32_e32 v8, v9
	;; [unrolled: 1-line block ×3, first 2 shown]
	s_and_saveexec_b64 s[6:7], s[2:3]
	s_cbranch_execz .LBB86_26
; %bb.23:
	v_lshl_add_u64 v[8:9], v[10:11], 0, s[10:11]
	v_mov_b32_e32 v18, 0
	v_lshl_add_u64 v[10:11], v[8:9], 0, 5
	v_lshl_add_u64 v[12:13], v[2:3], 3, s[8:9]
	s_mov_b64 s[2:3], 0
	v_mov_b32_e32 v1, s15
	s_mov_b64 s[8:9], 0x48
	v_mov_b32_e32 v8, 0
	v_mov_b32_e32 v9, v18
.LBB86_24:                              ; =>This Inner Loop Header: Depth=1
	global_load_dwordx2 v[14:15], v[12:13], off
	global_load_dwordx2 v[16:17], v[10:11], off offset:-5
	global_load_sbyte v19, v[10:11], off offset:3
	v_lshl_add_u64 v[2:3], v[2:3], 0, 8
	v_lshl_add_u64 v[10:11], v[10:11], 0, s[8:9]
	;; [unrolled: 1-line block ×3, first 2 shown]
	s_waitcnt vmcnt(2)
	v_subrev_co_u32_e32 v14, vcc, s18, v14
	s_nop 1
	v_subb_co_u32_e32 v21, vcc, v15, v1, vcc
	v_mad_u64_u32 v[14:15], s[10:11], v14, 3, s[4:5]
	v_mov_b32_e32 v20, v15
	v_mad_u64_u32 v[20:21], s[10:11], v21, 3, v[20:21]
	v_mov_b32_e32 v15, v20
	global_load_ushort v22, v[14:15], off
	global_load_sbyte v23, v[14:15], off offset:2
	s_waitcnt vmcnt(3)
	v_lshrrev_b32_e32 v20, 16, v16
	v_lshrrev_b32_e32 v24, 8, v17
	v_lshrrev_b32_e32 v25, 16, v17
	v_lshrrev_b32_e32 v14, 8, v16
	v_bfe_i32 v20, v20, 0, 8
	v_bfe_i32 v24, v24, 0, 8
	;; [unrolled: 1-line block ×4, first 2 shown]
	v_lshrrev_b32_e32 v16, 24, v16
	v_bfe_i32 v26, v14, 0, 8
	v_cvt_f32_i32_sdwa v28, sext(v20) dst_sel:DWORD dst_unused:UNUSED_PAD src0_sel:WORD_0
	v_cvt_f32_i32_sdwa v29, sext(v24) dst_sel:DWORD dst_unused:UNUSED_PAD src0_sel:WORD_0
	;; [unrolled: 1-line block ×3, first 2 shown]
	v_bfe_i32 v21, v17, 0, 8
	v_lshrrev_b32_e32 v17, 24, v17
	v_bfe_i32 v16, v16, 0, 8
	v_cvt_f32_i32_sdwa v14, sext(v15) dst_sel:DWORD dst_unused:UNUSED_PAD src0_sel:WORD_0
	v_cvt_f32_i32_sdwa v15, sext(v26) dst_sel:DWORD dst_unused:UNUSED_PAD src0_sel:WORD_0
	v_bfe_i32 v27, v17, 0, 8
	v_cvt_f32_i32_sdwa v17, sext(v21) dst_sel:DWORD dst_unused:UNUSED_PAD src0_sel:WORD_0
	v_cvt_f32_i32_sdwa v16, sext(v16) dst_sel:DWORD dst_unused:UNUSED_PAD src0_sel:WORD_0
	s_waitcnt vmcnt(2)
	v_cvt_f32_i32_e32 v19, v19
	v_cvt_f32_i32_sdwa v21, sext(v27) dst_sel:DWORD dst_unused:UNUSED_PAD src0_sel:WORD_0
	v_cmp_ge_i64_e32 vcc, v[2:3], v[6:7]
	s_or_b64 s[2:3], vcc, s[2:3]
	s_waitcnt vmcnt(1)
	v_bfe_i32 v24, v22, 0, 8
	v_lshrrev_b32_e32 v25, 8, v22
	s_waitcnt vmcnt(0)
	v_cvt_f32_i32_e32 v22, v23
	v_cvt_f32_i32_sdwa v24, sext(v24) dst_sel:DWORD dst_unused:UNUSED_PAD src0_sel:WORD_0
	v_bfe_i32 v23, v25, 0, 8
	v_cvt_f32_i32_sdwa v26, sext(v23) dst_sel:DWORD dst_unused:UNUSED_PAD src0_sel:WORD_0
	v_fmac_f32_e32 v18, v28, v24
	v_pk_fma_f32 v[8:9], v[14:15], v[24:25], v[8:9] op_sel_hi:[1,0,1]
	v_fmac_f32_e32 v18, v29, v26
	v_pk_fma_f32 v[8:9], v[16:17], v[26:27], v[8:9] op_sel_hi:[1,0,1]
	;; [unrolled: 2-line block ×3, first 2 shown]
	s_andn2_b64 exec, exec, s[2:3]
	s_cbranch_execnz .LBB86_24
; %bb.25:
	s_or_b64 exec, exec, s[2:3]
.LBB86_26:
	s_or_b64 exec, exec, s[6:7]
.LBB86_27:
	v_mov_b32_dpp v2, v8 row_shr:1 row_mask:0xf bank_mask:0xf
	v_mov_b32_dpp v3, v9 row_shr:1 row_mask:0xf bank_mask:0xf
	;; [unrolled: 1-line block ×3, first 2 shown]
	v_pk_add_f32 v[2:3], v[8:9], v[2:3]
	v_add_f32_e32 v1, v18, v1
	v_cmp_eq_u32_e32 vcc, 7, v0
	v_mov_b32_dpp v6, v2 row_shr:2 row_mask:0xf bank_mask:0xf
	v_mov_b32_dpp v7, v3 row_shr:2 row_mask:0xf bank_mask:0xf
	;; [unrolled: 1-line block ×3, first 2 shown]
	v_pk_add_f32 v[2:3], v[2:3], v[6:7]
	v_add_f32_e32 v1, v1, v8
	s_nop 0
	v_mov_b32_dpp v6, v2 row_shr:4 row_mask:0xf bank_mask:0xe
	v_mov_b32_dpp v7, v3 row_shr:4 row_mask:0xf bank_mask:0xe
	;; [unrolled: 1-line block ×3, first 2 shown]
	s_and_b64 exec, exec, vcc
	s_cbranch_execz .LBB86_10
; %bb.28:
	s_load_dwordx2 s[0:1], s[0:1], 0x58
	v_add_f32_e32 v0, v1, v8
	v_cmp_eq_f32_e64 s[2:3], s16, 0
	v_pk_add_f32 v[6:7], v[2:3], v[6:7]
	s_and_b64 vcc, exec, s[2:3]
	v_mul_f32_e32 v2, s12, v0
	s_cbranch_vccz .LBB86_30
; %bb.29:
	s_waitcnt lgkmcnt(0)
	v_mad_u64_u32 v[8:9], s[2:3], v4, 12, s[0:1]
	v_mov_b32_e32 v0, v9
	v_mad_u64_u32 v[0:1], s[2:3], v5, 12, v[0:1]
	v_mov_b32_e32 v9, v0
	v_pk_mul_f32 v[0:1], s[12:13], v[6:7] op_sel_hi:[0,1]
	global_store_dwordx3 v[8:9], v[0:2], off
	s_cbranch_execnz .LBB86_10
	s_branch .LBB86_31
.LBB86_30:
.LBB86_31:
	s_waitcnt lgkmcnt(0)
	v_mad_u64_u32 v[12:13], s[0:1], v4, 12, s[0:1]
	v_mov_b32_e32 v0, v13
	v_mad_u64_u32 v[0:1], s[0:1], v5, 12, v[0:1]
	v_mov_b32_e32 v13, v0
	global_load_dwordx3 v[8:10], v[12:13], off
	v_pk_mul_f32 v[0:1], s[12:13], v[6:7] op_sel_hi:[0,1]
	s_waitcnt vmcnt(0)
	v_pk_fma_f32 v[0:1], s[16:17], v[8:9], v[0:1] op_sel_hi:[0,1,1]
	v_fmac_f32_e32 v2, s16, v10
	global_store_dwordx3 v[12:13], v[0:2], off
	s_endpgm
	.section	.rodata,"a",@progbits
	.p2align	6, 0x0
	.amdhsa_kernel _ZN9rocsparseL18bsrxmvn_3x3_kernelILj256ELj8EfllaafEEvT3_20rocsparse_direction_NS_24const_host_device_scalarIT1_EES1_PKS1_PKT2_SA_S7_PKT4_PKT5_S5_PT6_21rocsparse_index_base_b
		.amdhsa_group_segment_fixed_size 0
		.amdhsa_private_segment_fixed_size 0
		.amdhsa_kernarg_size 104
		.amdhsa_user_sgpr_count 2
		.amdhsa_user_sgpr_dispatch_ptr 0
		.amdhsa_user_sgpr_queue_ptr 0
		.amdhsa_user_sgpr_kernarg_segment_ptr 1
		.amdhsa_user_sgpr_dispatch_id 0
		.amdhsa_user_sgpr_kernarg_preload_length 0
		.amdhsa_user_sgpr_kernarg_preload_offset 0
		.amdhsa_user_sgpr_private_segment_size 0
		.amdhsa_uses_dynamic_stack 0
		.amdhsa_enable_private_segment 0
		.amdhsa_system_sgpr_workgroup_id_x 1
		.amdhsa_system_sgpr_workgroup_id_y 0
		.amdhsa_system_sgpr_workgroup_id_z 0
		.amdhsa_system_sgpr_workgroup_info 0
		.amdhsa_system_vgpr_workitem_id 0
		.amdhsa_next_free_vgpr 32
		.amdhsa_next_free_sgpr 26
		.amdhsa_accum_offset 32
		.amdhsa_reserve_vcc 1
		.amdhsa_float_round_mode_32 0
		.amdhsa_float_round_mode_16_64 0
		.amdhsa_float_denorm_mode_32 3
		.amdhsa_float_denorm_mode_16_64 3
		.amdhsa_dx10_clamp 1
		.amdhsa_ieee_mode 1
		.amdhsa_fp16_overflow 0
		.amdhsa_tg_split 0
		.amdhsa_exception_fp_ieee_invalid_op 0
		.amdhsa_exception_fp_denorm_src 0
		.amdhsa_exception_fp_ieee_div_zero 0
		.amdhsa_exception_fp_ieee_overflow 0
		.amdhsa_exception_fp_ieee_underflow 0
		.amdhsa_exception_fp_ieee_inexact 0
		.amdhsa_exception_int_div_zero 0
	.end_amdhsa_kernel
	.section	.text._ZN9rocsparseL18bsrxmvn_3x3_kernelILj256ELj8EfllaafEEvT3_20rocsparse_direction_NS_24const_host_device_scalarIT1_EES1_PKS1_PKT2_SA_S7_PKT4_PKT5_S5_PT6_21rocsparse_index_base_b,"axG",@progbits,_ZN9rocsparseL18bsrxmvn_3x3_kernelILj256ELj8EfllaafEEvT3_20rocsparse_direction_NS_24const_host_device_scalarIT1_EES1_PKS1_PKT2_SA_S7_PKT4_PKT5_S5_PT6_21rocsparse_index_base_b,comdat
.Lfunc_end86:
	.size	_ZN9rocsparseL18bsrxmvn_3x3_kernelILj256ELj8EfllaafEEvT3_20rocsparse_direction_NS_24const_host_device_scalarIT1_EES1_PKS1_PKT2_SA_S7_PKT4_PKT5_S5_PT6_21rocsparse_index_base_b, .Lfunc_end86-_ZN9rocsparseL18bsrxmvn_3x3_kernelILj256ELj8EfllaafEEvT3_20rocsparse_direction_NS_24const_host_device_scalarIT1_EES1_PKS1_PKT2_SA_S7_PKT4_PKT5_S5_PT6_21rocsparse_index_base_b
                                        ; -- End function
	.section	.AMDGPU.csdata,"",@progbits
; Kernel info:
; codeLenInByte = 1632
; NumSgprs: 32
; NumVgprs: 32
; NumAgprs: 0
; TotalNumVgprs: 32
; ScratchSize: 0
; MemoryBound: 0
; FloatMode: 240
; IeeeMode: 1
; LDSByteSize: 0 bytes/workgroup (compile time only)
; SGPRBlocks: 3
; VGPRBlocks: 3
; NumSGPRsForWavesPerEU: 32
; NumVGPRsForWavesPerEU: 32
; AccumOffset: 32
; Occupancy: 8
; WaveLimiterHint : 1
; COMPUTE_PGM_RSRC2:SCRATCH_EN: 0
; COMPUTE_PGM_RSRC2:USER_SGPR: 2
; COMPUTE_PGM_RSRC2:TRAP_HANDLER: 0
; COMPUTE_PGM_RSRC2:TGID_X_EN: 1
; COMPUTE_PGM_RSRC2:TGID_Y_EN: 0
; COMPUTE_PGM_RSRC2:TGID_Z_EN: 0
; COMPUTE_PGM_RSRC2:TIDIG_COMP_CNT: 0
; COMPUTE_PGM_RSRC3_GFX90A:ACCUM_OFFSET: 7
; COMPUTE_PGM_RSRC3_GFX90A:TG_SPLIT: 0
	.section	.text._ZN9rocsparseL18bsrxmvn_3x3_kernelILj256ELj16EfllaafEEvT3_20rocsparse_direction_NS_24const_host_device_scalarIT1_EES1_PKS1_PKT2_SA_S7_PKT4_PKT5_S5_PT6_21rocsparse_index_base_b,"axG",@progbits,_ZN9rocsparseL18bsrxmvn_3x3_kernelILj256ELj16EfllaafEEvT3_20rocsparse_direction_NS_24const_host_device_scalarIT1_EES1_PKS1_PKT2_SA_S7_PKT4_PKT5_S5_PT6_21rocsparse_index_base_b,comdat
	.globl	_ZN9rocsparseL18bsrxmvn_3x3_kernelILj256ELj16EfllaafEEvT3_20rocsparse_direction_NS_24const_host_device_scalarIT1_EES1_PKS1_PKT2_SA_S7_PKT4_PKT5_S5_PT6_21rocsparse_index_base_b ; -- Begin function _ZN9rocsparseL18bsrxmvn_3x3_kernelILj256ELj16EfllaafEEvT3_20rocsparse_direction_NS_24const_host_device_scalarIT1_EES1_PKS1_PKT2_SA_S7_PKT4_PKT5_S5_PT6_21rocsparse_index_base_b
	.p2align	8
	.type	_ZN9rocsparseL18bsrxmvn_3x3_kernelILj256ELj16EfllaafEEvT3_20rocsparse_direction_NS_24const_host_device_scalarIT1_EES1_PKS1_PKT2_SA_S7_PKT4_PKT5_S5_PT6_21rocsparse_index_base_b,@function
_ZN9rocsparseL18bsrxmvn_3x3_kernelILj256ELj16EfllaafEEvT3_20rocsparse_direction_NS_24const_host_device_scalarIT1_EES1_PKS1_PKT2_SA_S7_PKT4_PKT5_S5_PT6_21rocsparse_index_base_b: ; @_ZN9rocsparseL18bsrxmvn_3x3_kernelILj256ELj16EfllaafEEvT3_20rocsparse_direction_NS_24const_host_device_scalarIT1_EES1_PKS1_PKT2_SA_S7_PKT4_PKT5_S5_PT6_21rocsparse_index_base_b
; %bb.0:
	s_load_dwordx2 s[18:19], s[0:1], 0x60
	s_load_dwordx4 s[12:15], s[0:1], 0x10
	s_load_dwordx2 s[16:17], s[0:1], 0x50
	s_waitcnt lgkmcnt(0)
	s_bitcmp1_b32 s19, 0
	s_cselect_b64 s[6:7], -1, 0
	s_xor_b64 s[4:5], s[6:7], -1
	s_and_b64 vcc, exec, s[6:7]
	s_cbranch_vccnz .LBB87_2
; %bb.1:
	s_load_dword s12, s[12:13], 0x0
.LBB87_2:
	s_andn2_b64 vcc, exec, s[4:5]
	s_cbranch_vccnz .LBB87_4
; %bb.3:
	s_load_dword s16, s[16:17], 0x0
.LBB87_4:
	s_waitcnt lgkmcnt(0)
	v_cmp_neq_f32_e64 s[4:5], s12, 0
	v_cmp_neq_f32_e64 s[6:7], s16, 1.0
	s_or_b64 s[4:5], s[4:5], s[6:7]
	s_andn2_b64 vcc, exec, s[4:5]
	s_cbranch_vccnz .LBB87_10
; %bb.5:
	s_load_dwordx2 s[4:5], s[0:1], 0x20
	v_lshrrev_b32_e32 v1, 4, v0
	v_lshl_or_b32 v2, s2, 4, v1
	v_mov_b32_e32 v3, 0
	s_mov_b64 s[2:3], 0
	s_waitcnt lgkmcnt(0)
	s_cmp_lg_u64 s[4:5], 0
	s_cbranch_scc0 .LBB87_11
; %bb.6:
	v_cmp_gt_i64_e32 vcc, s[14:15], v[2:3]
                                        ; implicit-def: $vgpr4_vgpr5
	s_and_saveexec_b64 s[6:7], vcc
	s_xor_b64 s[6:7], exec, s[6:7]
                                        ; implicit-def: $sgpr14_sgpr15
	s_cbranch_execz .LBB87_8
; %bb.7:
	v_lshl_add_u64 v[4:5], v[2:3], 3, s[4:5]
	global_load_dwordx2 v[4:5], v[4:5], off
	s_mov_b64 s[2:3], exec
	s_mov_b32 s15, 0
	s_waitcnt vmcnt(0)
	v_subrev_co_u32_e32 v4, vcc, s18, v4
	s_nop 1
	v_subbrev_co_u32_e32 v5, vcc, 0, v5, vcc
.LBB87_8:
	s_or_b64 exec, exec, s[6:7]
.LBB87_9:
	s_and_saveexec_b64 s[4:5], s[2:3]
	s_cbranch_execnz .LBB87_15
.LBB87_10:
	s_endpgm
.LBB87_11:
                                        ; implicit-def: $vgpr4_vgpr5
                                        ; implicit-def: $sgpr14_sgpr15
	s_cbranch_execz .LBB87_9
; %bb.12:
	s_load_dwordx2 s[4:5], s[0:1], 0x0
                                        ; implicit-def: $vgpr4_vgpr5
	s_waitcnt lgkmcnt(0)
	v_cmp_gt_i64_e32 vcc, s[4:5], v[2:3]
	s_and_saveexec_b64 s[4:5], vcc
                                        ; implicit-def: $sgpr14_sgpr15
; %bb.13:
	s_mov_b32 s15, 0
	s_or_b64 s[2:3], s[2:3], exec
	v_mov_b64_e32 v[4:5], v[2:3]
; %bb.14:
	s_or_b64 exec, exec, s[4:5]
	s_and_saveexec_b64 s[4:5], s[2:3]
	s_cbranch_execz .LBB87_10
.LBB87_15:
	s_load_dwordx8 s[4:11], s[0:1], 0x28
	v_lshlrev_b64 v[2:3], 3, v[4:5]
	v_mov_b32_e32 v10, s15
	v_and_b32_e32 v0, 15, v0
	v_mov_b32_e32 v1, 0
	s_waitcnt lgkmcnt(0)
	v_lshl_add_u64 v[6:7], s[4:5], 0, v[2:3]
	s_cmp_eq_u64 s[6:7], 0
	global_load_dwordx2 v[8:9], v[6:7], off
	v_lshl_add_u64 v[2:3], s[6:7], 0, v[2:3]
	v_lshl_add_u64 v[6:7], v[6:7], 0, 8
	s_cselect_b64 vcc, -1, 0
	v_cndmask_b32_e32 v3, v3, v7, vcc
	v_cndmask_b32_e32 v2, v2, v6, vcc
	global_load_dwordx2 v[6:7], v[2:3], off
	s_load_dword s2, s[0:1], 0x8
	s_load_dwordx2 s[4:5], s[0:1], 0x48
	s_waitcnt lgkmcnt(0)
	s_cmp_eq_u32 s2, 1
	s_waitcnt vmcnt(1)
	v_subrev_co_u32_e32 v2, vcc, s18, v8
	s_nop 1
	v_subb_co_u32_e32 v3, vcc, v9, v10, vcc
	v_lshl_add_u64 v[2:3], v[2:3], 0, v[0:1]
	v_mad_u64_u32 v[8:9], s[2:3], v2, 9, s[10:11]
	s_waitcnt vmcnt(0)
	v_subrev_co_u32_e32 v6, vcc, s18, v6
	s_nop 1
	v_subb_co_u32_e32 v7, vcc, v7, v10, vcc
	v_mov_b32_e32 v10, v9
	v_mad_u64_u32 v[10:11], s[2:3], v3, 9, v[10:11]
	v_mov_b32_e32 v9, v10
	v_cmp_lt_i64_e64 s[2:3], v[2:3], v[6:7]
	s_cbranch_scc1 .LBB87_21
; %bb.16:
	v_mov_b32_e32 v10, v1
	v_mov_b32_e32 v18, v1
	s_and_saveexec_b64 s[6:7], s[2:3]
	s_cbranch_execz .LBB87_20
; %bb.17:
	v_mov_b32_e32 v18, 0
	v_lshl_add_u64 v[12:13], v[2:3], 3, s[8:9]
	s_mov_b64 s[10:11], 0
	v_mov_b32_e32 v1, s15
	s_mov_b64 s[20:21], 0x90
	s_mov_b64 s[22:23], 0x80
	v_mov_b64_e32 v[14:15], v[8:9]
	v_mov_b64_e32 v[16:17], v[2:3]
	v_mov_b32_e32 v10, 0
	v_mov_b32_e32 v11, v18
.LBB87_18:                              ; =>This Inner Loop Header: Depth=1
	global_load_dwordx2 v[20:21], v[12:13], off
	global_load_dwordx2 v[22:23], v[14:15], off
	global_load_sbyte v19, v[14:15], off offset:8
	v_lshl_add_u64 v[16:17], v[16:17], 0, 16
	v_lshl_add_u64 v[14:15], v[14:15], 0, s[20:21]
	;; [unrolled: 1-line block ×3, first 2 shown]
	s_waitcnt vmcnt(2)
	v_subrev_co_u32_e32 v20, vcc, s18, v20
	s_nop 1
	v_subb_co_u32_e32 v25, vcc, v21, v1, vcc
	v_mad_u64_u32 v[20:21], s[24:25], v20, 3, s[4:5]
	v_mov_b32_e32 v24, v21
	v_mad_u64_u32 v[24:25], s[24:25], v25, 3, v[24:25]
	v_mov_b32_e32 v21, v24
	global_load_ushort v26, v[20:21], off
	global_load_sbyte v27, v[20:21], off offset:2
	s_waitcnt vmcnt(3)
	v_lshrrev_b32_e32 v21, 8, v22
	v_lshrrev_b32_e32 v28, 8, v23
	v_bfe_i32 v20, v22, 0, 8
	v_lshrrev_b32_e32 v24, 16, v22
	v_lshrrev_b32_e32 v22, 24, v22
	v_bfe_i32 v25, v23, 0, 8
	;; [unrolled: 3-line block ×3, first 2 shown]
	v_bfe_i32 v28, v28, 0, 8
	v_bfe_i32 v21, v22, 0, 8
	;; [unrolled: 1-line block ×4, first 2 shown]
	v_cvt_f32_i32_sdwa v23, sext(v25) dst_sel:DWORD dst_unused:UNUSED_PAD src0_sel:WORD_0
	v_cvt_f32_i32_sdwa v22, sext(v30) dst_sel:DWORD dst_unused:UNUSED_PAD src0_sel:WORD_0
	;; [unrolled: 1-line block ×6, first 2 shown]
	v_bfe_i32 v24, v24, 0, 8
	v_cvt_f32_i32_sdwa v31, sext(v31) dst_sel:DWORD dst_unused:UNUSED_PAD src0_sel:WORD_0
	s_waitcnt vmcnt(2)
	v_cvt_f32_i32_e32 v19, v19
	v_cvt_f32_i32_sdwa v24, sext(v24) dst_sel:DWORD dst_unused:UNUSED_PAD src0_sel:WORD_0
	v_cmp_ge_i64_e32 vcc, v[16:17], v[6:7]
	s_or_b64 s[10:11], vcc, s[10:11]
	s_waitcnt vmcnt(1)
	v_bfe_i32 v28, v26, 0, 8
	v_lshrrev_b32_e32 v30, 8, v26
	s_waitcnt vmcnt(0)
	v_cvt_f32_i32_e32 v26, v27
	v_cvt_f32_i32_sdwa v28, sext(v28) dst_sel:DWORD dst_unused:UNUSED_PAD src0_sel:WORD_0
	v_bfe_i32 v27, v30, 0, 8
	v_cvt_f32_i32_sdwa v30, sext(v27) dst_sel:DWORD dst_unused:UNUSED_PAD src0_sel:WORD_0
	v_pk_fma_f32 v[10:11], v[20:21], v[28:29], v[10:11] op_sel_hi:[1,0,1]
	v_fmac_f32_e32 v18, v29, v28
	v_pk_fma_f32 v[10:11], v[22:23], v[30:31], v[10:11] op_sel_hi:[1,0,1]
	v_fmac_f32_e32 v18, v31, v30
	;; [unrolled: 2-line block ×3, first 2 shown]
	s_andn2_b64 exec, exec, s[10:11]
	s_cbranch_execnz .LBB87_18
; %bb.19:
	s_or_b64 exec, exec, s[10:11]
	v_mov_b32_e32 v1, v11
.LBB87_20:
	s_or_b64 exec, exec, s[6:7]
	v_mov_b32_e32 v11, v1
	s_cbranch_execz .LBB87_22
	s_branch .LBB87_27
.LBB87_21:
                                        ; implicit-def: $vgpr11
                                        ; implicit-def: $vgpr18
.LBB87_22:
	v_mov_b32_e32 v11, 0
	v_mov_b32_e32 v10, v11
	v_mov_b32_e32 v18, v11
	s_and_saveexec_b64 s[6:7], s[2:3]
	s_cbranch_execz .LBB87_26
; %bb.23:
	v_mov_b32_e32 v18, 0
	v_lshl_add_u64 v[12:13], v[2:3], 3, s[8:9]
	s_mov_b64 s[2:3], 0
	v_mov_b32_e32 v1, s15
	s_mov_b64 s[8:9], 0x90
	s_mov_b64 s[10:11], 0x80
	v_mov_b32_e32 v10, 0
	v_mov_b32_e32 v11, v18
.LBB87_24:                              ; =>This Inner Loop Header: Depth=1
	global_load_dwordx2 v[14:15], v[12:13], off
	global_load_dwordx2 v[16:17], v[8:9], off
	global_load_sbyte v19, v[8:9], off offset:8
	v_lshl_add_u64 v[2:3], v[2:3], 0, 16
	v_lshl_add_u64 v[8:9], v[8:9], 0, s[8:9]
	;; [unrolled: 1-line block ×3, first 2 shown]
	s_waitcnt vmcnt(2)
	v_subrev_co_u32_e32 v14, vcc, s18, v14
	s_nop 1
	v_subb_co_u32_e32 v21, vcc, v15, v1, vcc
	v_mad_u64_u32 v[14:15], s[14:15], v14, 3, s[4:5]
	v_mov_b32_e32 v20, v15
	v_mad_u64_u32 v[20:21], s[14:15], v21, 3, v[20:21]
	v_mov_b32_e32 v15, v20
	global_load_ushort v22, v[14:15], off
	global_load_sbyte v23, v[14:15], off offset:2
	s_waitcnt vmcnt(3)
	v_lshrrev_b32_e32 v15, 24, v16
	v_lshrrev_b32_e32 v21, 8, v17
	;; [unrolled: 1-line block ×5, first 2 shown]
	v_bfe_i32 v20, v17, 0, 8
	v_lshrrev_b32_e32 v17, 24, v17
	v_bfe_i32 v27, v15, 0, 8
	v_bfe_i32 v15, v21, 0, 8
	;; [unrolled: 1-line block ×7, first 2 shown]
	v_cvt_f32_i32_sdwa v17, sext(v20) dst_sel:DWORD dst_unused:UNUSED_PAD src0_sel:WORD_0
	v_cvt_f32_i32_sdwa v29, sext(v15) dst_sel:DWORD dst_unused:UNUSED_PAD src0_sel:WORD_0
	;; [unrolled: 1-line block ×7, first 2 shown]
	s_waitcnt vmcnt(2)
	v_cvt_f32_i32_e32 v19, v19
	v_cvt_f32_i32_sdwa v21, sext(v21) dst_sel:DWORD dst_unused:UNUSED_PAD src0_sel:WORD_0
	v_cmp_ge_i64_e32 vcc, v[2:3], v[6:7]
	s_or_b64 s[2:3], vcc, s[2:3]
	s_waitcnt vmcnt(1)
	v_bfe_i32 v24, v22, 0, 8
	v_lshrrev_b32_e32 v25, 8, v22
	s_waitcnt vmcnt(0)
	v_cvt_f32_i32_e32 v22, v23
	v_cvt_f32_i32_sdwa v24, sext(v24) dst_sel:DWORD dst_unused:UNUSED_PAD src0_sel:WORD_0
	v_bfe_i32 v23, v25, 0, 8
	v_cvt_f32_i32_sdwa v26, sext(v23) dst_sel:DWORD dst_unused:UNUSED_PAD src0_sel:WORD_0
	v_fmac_f32_e32 v18, v28, v24
	v_pk_fma_f32 v[10:11], v[14:15], v[24:25], v[10:11] op_sel_hi:[1,0,1]
	v_fmac_f32_e32 v18, v29, v26
	v_pk_fma_f32 v[10:11], v[16:17], v[26:27], v[10:11] op_sel_hi:[1,0,1]
	;; [unrolled: 2-line block ×3, first 2 shown]
	s_andn2_b64 exec, exec, s[2:3]
	s_cbranch_execnz .LBB87_24
; %bb.25:
	s_or_b64 exec, exec, s[2:3]
.LBB87_26:
	s_or_b64 exec, exec, s[6:7]
.LBB87_27:
	v_mov_b32_dpp v2, v10 row_shr:1 row_mask:0xf bank_mask:0xf
	v_mov_b32_dpp v3, v11 row_shr:1 row_mask:0xf bank_mask:0xf
	;; [unrolled: 1-line block ×3, first 2 shown]
	v_pk_add_f32 v[2:3], v[10:11], v[2:3]
	v_add_f32_e32 v1, v18, v1
	v_cmp_eq_u32_e32 vcc, 15, v0
	v_mov_b32_dpp v6, v2 row_shr:2 row_mask:0xf bank_mask:0xf
	v_mov_b32_dpp v7, v3 row_shr:2 row_mask:0xf bank_mask:0xf
	;; [unrolled: 1-line block ×3, first 2 shown]
	v_pk_add_f32 v[2:3], v[2:3], v[6:7]
	v_add_f32_e32 v1, v1, v8
	s_nop 0
	v_mov_b32_dpp v6, v2 row_shr:4 row_mask:0xf bank_mask:0xe
	v_mov_b32_dpp v7, v3 row_shr:4 row_mask:0xf bank_mask:0xe
	v_mov_b32_dpp v8, v1 row_shr:4 row_mask:0xf bank_mask:0xe
	v_pk_add_f32 v[2:3], v[2:3], v[6:7]
	v_add_f32_e32 v1, v1, v8
	s_nop 0
	v_mov_b32_dpp v6, v2 row_shr:8 row_mask:0xf bank_mask:0xc
	v_mov_b32_dpp v7, v3 row_shr:8 row_mask:0xf bank_mask:0xc
	;; [unrolled: 1-line block ×3, first 2 shown]
	s_and_b64 exec, exec, vcc
	s_cbranch_execz .LBB87_10
; %bb.28:
	s_load_dwordx2 s[0:1], s[0:1], 0x58
	v_add_f32_e32 v0, v1, v8
	v_cmp_eq_f32_e64 s[2:3], s16, 0
	v_pk_add_f32 v[6:7], v[2:3], v[6:7]
	s_and_b64 vcc, exec, s[2:3]
	v_mul_f32_e32 v2, s12, v0
	s_cbranch_vccz .LBB87_30
; %bb.29:
	s_waitcnt lgkmcnt(0)
	v_mad_u64_u32 v[8:9], s[2:3], v4, 12, s[0:1]
	v_mov_b32_e32 v0, v9
	v_mad_u64_u32 v[0:1], s[2:3], v5, 12, v[0:1]
	v_mov_b32_e32 v9, v0
	v_pk_mul_f32 v[0:1], s[12:13], v[6:7] op_sel_hi:[0,1]
	global_store_dwordx3 v[8:9], v[0:2], off
	s_cbranch_execnz .LBB87_10
	s_branch .LBB87_31
.LBB87_30:
.LBB87_31:
	s_waitcnt lgkmcnt(0)
	v_mad_u64_u32 v[12:13], s[0:1], v4, 12, s[0:1]
	v_mov_b32_e32 v0, v13
	v_mad_u64_u32 v[0:1], s[0:1], v5, 12, v[0:1]
	v_mov_b32_e32 v13, v0
	global_load_dwordx3 v[8:10], v[12:13], off
	v_pk_mul_f32 v[0:1], s[12:13], v[6:7] op_sel_hi:[0,1]
	s_waitcnt vmcnt(0)
	v_pk_fma_f32 v[0:1], s[16:17], v[8:9], v[0:1] op_sel_hi:[0,1,1]
	v_fmac_f32_e32 v2, s16, v10
	global_store_dwordx3 v[12:13], v[0:2], off
	s_endpgm
	.section	.rodata,"a",@progbits
	.p2align	6, 0x0
	.amdhsa_kernel _ZN9rocsparseL18bsrxmvn_3x3_kernelILj256ELj16EfllaafEEvT3_20rocsparse_direction_NS_24const_host_device_scalarIT1_EES1_PKS1_PKT2_SA_S7_PKT4_PKT5_S5_PT6_21rocsparse_index_base_b
		.amdhsa_group_segment_fixed_size 0
		.amdhsa_private_segment_fixed_size 0
		.amdhsa_kernarg_size 104
		.amdhsa_user_sgpr_count 2
		.amdhsa_user_sgpr_dispatch_ptr 0
		.amdhsa_user_sgpr_queue_ptr 0
		.amdhsa_user_sgpr_kernarg_segment_ptr 1
		.amdhsa_user_sgpr_dispatch_id 0
		.amdhsa_user_sgpr_kernarg_preload_length 0
		.amdhsa_user_sgpr_kernarg_preload_offset 0
		.amdhsa_user_sgpr_private_segment_size 0
		.amdhsa_uses_dynamic_stack 0
		.amdhsa_enable_private_segment 0
		.amdhsa_system_sgpr_workgroup_id_x 1
		.amdhsa_system_sgpr_workgroup_id_y 0
		.amdhsa_system_sgpr_workgroup_id_z 0
		.amdhsa_system_sgpr_workgroup_info 0
		.amdhsa_system_vgpr_workitem_id 0
		.amdhsa_next_free_vgpr 32
		.amdhsa_next_free_sgpr 26
		.amdhsa_accum_offset 32
		.amdhsa_reserve_vcc 1
		.amdhsa_float_round_mode_32 0
		.amdhsa_float_round_mode_16_64 0
		.amdhsa_float_denorm_mode_32 3
		.amdhsa_float_denorm_mode_16_64 3
		.amdhsa_dx10_clamp 1
		.amdhsa_ieee_mode 1
		.amdhsa_fp16_overflow 0
		.amdhsa_tg_split 0
		.amdhsa_exception_fp_ieee_invalid_op 0
		.amdhsa_exception_fp_denorm_src 0
		.amdhsa_exception_fp_ieee_div_zero 0
		.amdhsa_exception_fp_ieee_overflow 0
		.amdhsa_exception_fp_ieee_underflow 0
		.amdhsa_exception_fp_ieee_inexact 0
		.amdhsa_exception_int_div_zero 0
	.end_amdhsa_kernel
	.section	.text._ZN9rocsparseL18bsrxmvn_3x3_kernelILj256ELj16EfllaafEEvT3_20rocsparse_direction_NS_24const_host_device_scalarIT1_EES1_PKS1_PKT2_SA_S7_PKT4_PKT5_S5_PT6_21rocsparse_index_base_b,"axG",@progbits,_ZN9rocsparseL18bsrxmvn_3x3_kernelILj256ELj16EfllaafEEvT3_20rocsparse_direction_NS_24const_host_device_scalarIT1_EES1_PKS1_PKT2_SA_S7_PKT4_PKT5_S5_PT6_21rocsparse_index_base_b,comdat
.Lfunc_end87:
	.size	_ZN9rocsparseL18bsrxmvn_3x3_kernelILj256ELj16EfllaafEEvT3_20rocsparse_direction_NS_24const_host_device_scalarIT1_EES1_PKS1_PKT2_SA_S7_PKT4_PKT5_S5_PT6_21rocsparse_index_base_b, .Lfunc_end87-_ZN9rocsparseL18bsrxmvn_3x3_kernelILj256ELj16EfllaafEEvT3_20rocsparse_direction_NS_24const_host_device_scalarIT1_EES1_PKS1_PKT2_SA_S7_PKT4_PKT5_S5_PT6_21rocsparse_index_base_b
                                        ; -- End function
	.section	.AMDGPU.csdata,"",@progbits
; Kernel info:
; codeLenInByte = 1668
; NumSgprs: 32
; NumVgprs: 32
; NumAgprs: 0
; TotalNumVgprs: 32
; ScratchSize: 0
; MemoryBound: 0
; FloatMode: 240
; IeeeMode: 1
; LDSByteSize: 0 bytes/workgroup (compile time only)
; SGPRBlocks: 3
; VGPRBlocks: 3
; NumSGPRsForWavesPerEU: 32
; NumVGPRsForWavesPerEU: 32
; AccumOffset: 32
; Occupancy: 8
; WaveLimiterHint : 1
; COMPUTE_PGM_RSRC2:SCRATCH_EN: 0
; COMPUTE_PGM_RSRC2:USER_SGPR: 2
; COMPUTE_PGM_RSRC2:TRAP_HANDLER: 0
; COMPUTE_PGM_RSRC2:TGID_X_EN: 1
; COMPUTE_PGM_RSRC2:TGID_Y_EN: 0
; COMPUTE_PGM_RSRC2:TGID_Z_EN: 0
; COMPUTE_PGM_RSRC2:TIDIG_COMP_CNT: 0
; COMPUTE_PGM_RSRC3_GFX90A:ACCUM_OFFSET: 7
; COMPUTE_PGM_RSRC3_GFX90A:TG_SPLIT: 0
	.section	.text._ZN9rocsparseL18bsrxmvn_3x3_kernelILj256ELj32EfllaafEEvT3_20rocsparse_direction_NS_24const_host_device_scalarIT1_EES1_PKS1_PKT2_SA_S7_PKT4_PKT5_S5_PT6_21rocsparse_index_base_b,"axG",@progbits,_ZN9rocsparseL18bsrxmvn_3x3_kernelILj256ELj32EfllaafEEvT3_20rocsparse_direction_NS_24const_host_device_scalarIT1_EES1_PKS1_PKT2_SA_S7_PKT4_PKT5_S5_PT6_21rocsparse_index_base_b,comdat
	.globl	_ZN9rocsparseL18bsrxmvn_3x3_kernelILj256ELj32EfllaafEEvT3_20rocsparse_direction_NS_24const_host_device_scalarIT1_EES1_PKS1_PKT2_SA_S7_PKT4_PKT5_S5_PT6_21rocsparse_index_base_b ; -- Begin function _ZN9rocsparseL18bsrxmvn_3x3_kernelILj256ELj32EfllaafEEvT3_20rocsparse_direction_NS_24const_host_device_scalarIT1_EES1_PKS1_PKT2_SA_S7_PKT4_PKT5_S5_PT6_21rocsparse_index_base_b
	.p2align	8
	.type	_ZN9rocsparseL18bsrxmvn_3x3_kernelILj256ELj32EfllaafEEvT3_20rocsparse_direction_NS_24const_host_device_scalarIT1_EES1_PKS1_PKT2_SA_S7_PKT4_PKT5_S5_PT6_21rocsparse_index_base_b,@function
_ZN9rocsparseL18bsrxmvn_3x3_kernelILj256ELj32EfllaafEEvT3_20rocsparse_direction_NS_24const_host_device_scalarIT1_EES1_PKS1_PKT2_SA_S7_PKT4_PKT5_S5_PT6_21rocsparse_index_base_b: ; @_ZN9rocsparseL18bsrxmvn_3x3_kernelILj256ELj32EfllaafEEvT3_20rocsparse_direction_NS_24const_host_device_scalarIT1_EES1_PKS1_PKT2_SA_S7_PKT4_PKT5_S5_PT6_21rocsparse_index_base_b
; %bb.0:
	s_load_dwordx2 s[18:19], s[0:1], 0x60
	s_load_dwordx4 s[12:15], s[0:1], 0x10
	s_load_dwordx2 s[16:17], s[0:1], 0x50
	s_waitcnt lgkmcnt(0)
	s_bitcmp1_b32 s19, 0
	s_cselect_b64 s[6:7], -1, 0
	s_xor_b64 s[4:5], s[6:7], -1
	s_and_b64 vcc, exec, s[6:7]
	s_cbranch_vccnz .LBB88_2
; %bb.1:
	s_load_dword s12, s[12:13], 0x0
.LBB88_2:
	s_andn2_b64 vcc, exec, s[4:5]
	s_cbranch_vccnz .LBB88_4
; %bb.3:
	s_load_dword s16, s[16:17], 0x0
.LBB88_4:
	s_waitcnt lgkmcnt(0)
	v_cmp_neq_f32_e64 s[4:5], s12, 0
	v_cmp_neq_f32_e64 s[6:7], s16, 1.0
	s_or_b64 s[4:5], s[4:5], s[6:7]
	s_andn2_b64 vcc, exec, s[4:5]
	s_cbranch_vccnz .LBB88_10
; %bb.5:
	s_load_dwordx2 s[4:5], s[0:1], 0x20
	v_lshrrev_b32_e32 v1, 5, v0
	v_lshl_or_b32 v2, s2, 3, v1
	v_mov_b32_e32 v3, 0
	s_mov_b64 s[2:3], 0
	s_waitcnt lgkmcnt(0)
	s_cmp_lg_u64 s[4:5], 0
	s_cbranch_scc0 .LBB88_11
; %bb.6:
	v_cmp_gt_i64_e32 vcc, s[14:15], v[2:3]
                                        ; implicit-def: $vgpr4_vgpr5
	s_and_saveexec_b64 s[6:7], vcc
	s_xor_b64 s[6:7], exec, s[6:7]
                                        ; implicit-def: $sgpr14_sgpr15
	s_cbranch_execz .LBB88_8
; %bb.7:
	v_lshl_add_u64 v[4:5], v[2:3], 3, s[4:5]
	global_load_dwordx2 v[4:5], v[4:5], off
	s_mov_b64 s[2:3], exec
	s_mov_b32 s15, 0
	s_waitcnt vmcnt(0)
	v_subrev_co_u32_e32 v4, vcc, s18, v4
	s_nop 1
	v_subbrev_co_u32_e32 v5, vcc, 0, v5, vcc
.LBB88_8:
	s_or_b64 exec, exec, s[6:7]
.LBB88_9:
	s_and_saveexec_b64 s[4:5], s[2:3]
	s_cbranch_execnz .LBB88_15
.LBB88_10:
	s_endpgm
.LBB88_11:
                                        ; implicit-def: $vgpr4_vgpr5
                                        ; implicit-def: $sgpr14_sgpr15
	s_cbranch_execz .LBB88_9
; %bb.12:
	s_load_dwordx2 s[4:5], s[0:1], 0x0
                                        ; implicit-def: $vgpr4_vgpr5
	s_waitcnt lgkmcnt(0)
	v_cmp_gt_i64_e32 vcc, s[4:5], v[2:3]
	s_and_saveexec_b64 s[4:5], vcc
                                        ; implicit-def: $sgpr14_sgpr15
; %bb.13:
	s_mov_b32 s15, 0
	s_or_b64 s[2:3], s[2:3], exec
	v_mov_b64_e32 v[4:5], v[2:3]
; %bb.14:
	s_or_b64 exec, exec, s[4:5]
	s_and_saveexec_b64 s[4:5], s[2:3]
	s_cbranch_execz .LBB88_10
.LBB88_15:
	s_load_dwordx8 s[4:11], s[0:1], 0x28
	v_lshlrev_b64 v[2:3], 3, v[4:5]
	v_mov_b32_e32 v10, s15
	v_and_b32_e32 v0, 31, v0
	v_mov_b32_e32 v1, 0
	s_waitcnt lgkmcnt(0)
	v_lshl_add_u64 v[6:7], s[4:5], 0, v[2:3]
	s_cmp_eq_u64 s[6:7], 0
	global_load_dwordx2 v[8:9], v[6:7], off
	v_lshl_add_u64 v[2:3], s[6:7], 0, v[2:3]
	v_lshl_add_u64 v[6:7], v[6:7], 0, 8
	s_cselect_b64 vcc, -1, 0
	v_cndmask_b32_e32 v3, v3, v7, vcc
	v_cndmask_b32_e32 v2, v2, v6, vcc
	global_load_dwordx2 v[6:7], v[2:3], off
	s_load_dword s2, s[0:1], 0x8
	s_load_dwordx2 s[4:5], s[0:1], 0x48
	s_waitcnt lgkmcnt(0)
	s_cmp_eq_u32 s2, 1
	s_waitcnt vmcnt(1)
	v_subrev_co_u32_e32 v2, vcc, s18, v8
	s_nop 1
	v_subb_co_u32_e32 v3, vcc, v9, v10, vcc
	v_lshl_add_u64 v[2:3], v[2:3], 0, v[0:1]
	v_mad_u64_u32 v[8:9], s[2:3], v2, 9, s[10:11]
	s_waitcnt vmcnt(0)
	v_subrev_co_u32_e32 v6, vcc, s18, v6
	s_nop 1
	v_subb_co_u32_e32 v7, vcc, v7, v10, vcc
	v_mov_b32_e32 v10, v9
	v_mad_u64_u32 v[10:11], s[2:3], v3, 9, v[10:11]
	v_mov_b32_e32 v9, v10
	v_cmp_lt_i64_e64 s[2:3], v[2:3], v[6:7]
	s_cbranch_scc1 .LBB88_21
; %bb.16:
	v_mov_b32_e32 v10, v1
	v_mov_b32_e32 v18, v1
	s_and_saveexec_b64 s[6:7], s[2:3]
	s_cbranch_execz .LBB88_20
; %bb.17:
	v_mov_b32_e32 v18, 0
	v_lshl_add_u64 v[12:13], v[2:3], 3, s[8:9]
	s_mov_b64 s[10:11], 0
	v_mov_b32_e32 v1, s15
	s_mov_b64 s[20:21], 0x120
	s_mov_b64 s[22:23], 0x100
	v_mov_b64_e32 v[14:15], v[8:9]
	v_mov_b64_e32 v[16:17], v[2:3]
	v_mov_b32_e32 v11, 0
	v_mov_b32_e32 v10, v18
.LBB88_18:                              ; =>This Inner Loop Header: Depth=1
	global_load_dwordx2 v[20:21], v[12:13], off
	global_load_dwordx2 v[22:23], v[14:15], off
	global_load_sbyte v19, v[14:15], off offset:8
	v_lshl_add_u64 v[16:17], v[16:17], 0, 32
	v_lshl_add_u64 v[14:15], v[14:15], 0, s[20:21]
	;; [unrolled: 1-line block ×3, first 2 shown]
	s_waitcnt vmcnt(2)
	v_subrev_co_u32_e32 v20, vcc, s18, v20
	s_nop 1
	v_subb_co_u32_e32 v25, vcc, v21, v1, vcc
	v_mad_u64_u32 v[20:21], s[24:25], v20, 3, s[4:5]
	v_mov_b32_e32 v24, v21
	v_mad_u64_u32 v[24:25], s[24:25], v25, 3, v[24:25]
	v_mov_b32_e32 v21, v24
	global_load_ushort v26, v[20:21], off
	global_load_sbyte v27, v[20:21], off offset:2
	s_waitcnt vmcnt(3)
	v_lshrrev_b32_e32 v21, 8, v22
	v_lshrrev_b32_e32 v28, 8, v23
	v_bfe_i32 v20, v22, 0, 8
	v_lshrrev_b32_e32 v24, 16, v22
	v_lshrrev_b32_e32 v22, 24, v22
	v_bfe_i32 v25, v23, 0, 8
	;; [unrolled: 3-line block ×3, first 2 shown]
	v_bfe_i32 v28, v28, 0, 8
	v_bfe_i32 v21, v22, 0, 8
	;; [unrolled: 1-line block ×4, first 2 shown]
	v_cvt_f32_i32_sdwa v23, sext(v25) dst_sel:DWORD dst_unused:UNUSED_PAD src0_sel:WORD_0
	v_cvt_f32_i32_sdwa v22, sext(v30) dst_sel:DWORD dst_unused:UNUSED_PAD src0_sel:WORD_0
	v_cvt_f32_i32_sdwa v25, sext(v28) dst_sel:DWORD dst_unused:UNUSED_PAD src0_sel:WORD_0
	v_cvt_f32_i32_sdwa v20, sext(v20) dst_sel:DWORD dst_unused:UNUSED_PAD src0_sel:WORD_0
	v_cvt_f32_i32_sdwa v21, sext(v21) dst_sel:DWORD dst_unused:UNUSED_PAD src0_sel:WORD_0
	v_cvt_f32_i32_sdwa v29, sext(v29) dst_sel:DWORD dst_unused:UNUSED_PAD src0_sel:WORD_0
	v_bfe_i32 v24, v24, 0, 8
	v_cvt_f32_i32_sdwa v31, sext(v31) dst_sel:DWORD dst_unused:UNUSED_PAD src0_sel:WORD_0
	s_waitcnt vmcnt(2)
	v_cvt_f32_i32_e32 v19, v19
	v_cvt_f32_i32_sdwa v24, sext(v24) dst_sel:DWORD dst_unused:UNUSED_PAD src0_sel:WORD_0
	v_cmp_ge_i64_e32 vcc, v[16:17], v[6:7]
	s_or_b64 s[10:11], vcc, s[10:11]
	s_waitcnt vmcnt(1)
	v_bfe_i32 v28, v26, 0, 8
	v_lshrrev_b32_e32 v30, 8, v26
	s_waitcnt vmcnt(0)
	v_cvt_f32_i32_e32 v26, v27
	v_cvt_f32_i32_sdwa v28, sext(v28) dst_sel:DWORD dst_unused:UNUSED_PAD src0_sel:WORD_0
	v_bfe_i32 v27, v30, 0, 8
	v_cvt_f32_i32_sdwa v30, sext(v27) dst_sel:DWORD dst_unused:UNUSED_PAD src0_sel:WORD_0
	v_pk_fma_f32 v[10:11], v[20:21], v[28:29], v[10:11] op_sel_hi:[1,0,1]
	v_fmac_f32_e32 v18, v29, v28
	v_pk_fma_f32 v[10:11], v[22:23], v[30:31], v[10:11] op_sel_hi:[1,0,1]
	v_fmac_f32_e32 v18, v31, v30
	;; [unrolled: 2-line block ×3, first 2 shown]
	s_andn2_b64 exec, exec, s[10:11]
	s_cbranch_execnz .LBB88_18
; %bb.19:
	s_or_b64 exec, exec, s[10:11]
	v_mov_b32_e32 v1, v11
.LBB88_20:
	s_or_b64 exec, exec, s[6:7]
	v_mov_b32_e32 v11, v1
	s_cbranch_execz .LBB88_22
	s_branch .LBB88_27
.LBB88_21:
                                        ; implicit-def: $vgpr11
                                        ; implicit-def: $vgpr18
.LBB88_22:
	v_mov_b32_e32 v11, 0
	v_mov_b32_e32 v10, v11
	;; [unrolled: 1-line block ×3, first 2 shown]
	s_and_saveexec_b64 s[6:7], s[2:3]
	s_cbranch_execz .LBB88_26
; %bb.23:
	v_mov_b32_e32 v18, 0
	v_lshl_add_u64 v[12:13], v[2:3], 3, s[8:9]
	s_mov_b64 s[2:3], 0
	v_mov_b32_e32 v1, s15
	s_mov_b64 s[8:9], 0x120
	s_mov_b64 s[10:11], 0x100
	v_mov_b32_e32 v11, 0
	v_mov_b32_e32 v10, v18
.LBB88_24:                              ; =>This Inner Loop Header: Depth=1
	global_load_dwordx2 v[14:15], v[12:13], off
	global_load_dwordx2 v[16:17], v[8:9], off
	global_load_sbyte v19, v[8:9], off offset:8
	v_lshl_add_u64 v[2:3], v[2:3], 0, 32
	v_lshl_add_u64 v[8:9], v[8:9], 0, s[8:9]
	;; [unrolled: 1-line block ×3, first 2 shown]
	s_waitcnt vmcnt(2)
	v_subrev_co_u32_e32 v14, vcc, s18, v14
	s_nop 1
	v_subb_co_u32_e32 v21, vcc, v15, v1, vcc
	v_mad_u64_u32 v[14:15], s[14:15], v14, 3, s[4:5]
	v_mov_b32_e32 v20, v15
	v_mad_u64_u32 v[20:21], s[14:15], v21, 3, v[20:21]
	v_mov_b32_e32 v15, v20
	global_load_ushort v22, v[14:15], off
	global_load_sbyte v23, v[14:15], off offset:2
	s_waitcnt vmcnt(3)
	v_lshrrev_b32_e32 v20, 16, v16
	v_lshrrev_b32_e32 v24, 8, v17
	v_lshrrev_b32_e32 v25, 16, v17
	v_lshrrev_b32_e32 v15, 8, v16
	v_bfe_i32 v20, v20, 0, 8
	v_bfe_i32 v24, v24, 0, 8
	;; [unrolled: 1-line block ×4, first 2 shown]
	v_lshrrev_b32_e32 v16, 24, v16
	v_bfe_i32 v21, v17, 0, 8
	v_lshrrev_b32_e32 v17, 24, v17
	v_bfe_i32 v15, v15, 0, 8
	v_cvt_f32_i32_sdwa v27, sext(v20) dst_sel:DWORD dst_unused:UNUSED_PAD src0_sel:WORD_0
	v_cvt_f32_i32_sdwa v28, sext(v24) dst_sel:DWORD dst_unused:UNUSED_PAD src0_sel:WORD_0
	;; [unrolled: 1-line block ×3, first 2 shown]
	v_bfe_i32 v16, v16, 0, 8
	v_bfe_i32 v26, v17, 0, 8
	v_cvt_f32_i32_sdwa v14, sext(v14) dst_sel:DWORD dst_unused:UNUSED_PAD src0_sel:WORD_0
	v_cvt_f32_i32_sdwa v15, sext(v15) dst_sel:DWORD dst_unused:UNUSED_PAD src0_sel:WORD_0
	v_cvt_f32_i32_sdwa v17, sext(v21) dst_sel:DWORD dst_unused:UNUSED_PAD src0_sel:WORD_0
	v_cvt_f32_i32_sdwa v16, sext(v16) dst_sel:DWORD dst_unused:UNUSED_PAD src0_sel:WORD_0
	v_cvt_f32_i32_sdwa v21, sext(v26) dst_sel:DWORD dst_unused:UNUSED_PAD src0_sel:WORD_0
	s_waitcnt vmcnt(2)
	v_cvt_f32_i32_e32 v19, v19
	v_cmp_ge_i64_e32 vcc, v[2:3], v[6:7]
	s_or_b64 s[2:3], vcc, s[2:3]
	s_waitcnt vmcnt(1)
	v_bfe_i32 v24, v22, 0, 8
	v_lshrrev_b32_e32 v25, 8, v22
	s_waitcnt vmcnt(0)
	v_cvt_f32_i32_e32 v22, v23
	v_cvt_f32_i32_sdwa v24, sext(v24) dst_sel:DWORD dst_unused:UNUSED_PAD src0_sel:WORD_0
	v_bfe_i32 v23, v25, 0, 8
	v_cvt_f32_i32_sdwa v26, sext(v23) dst_sel:DWORD dst_unused:UNUSED_PAD src0_sel:WORD_0
	v_fmac_f32_e32 v18, v27, v24
	v_pk_fma_f32 v[10:11], v[14:15], v[24:25], v[10:11] op_sel_hi:[1,0,1]
	v_fmac_f32_e32 v18, v28, v26
	v_pk_fma_f32 v[10:11], v[16:17], v[26:27], v[10:11] op_sel_hi:[1,0,1]
	;; [unrolled: 2-line block ×3, first 2 shown]
	s_andn2_b64 exec, exec, s[2:3]
	s_cbranch_execnz .LBB88_24
; %bb.25:
	s_or_b64 exec, exec, s[2:3]
.LBB88_26:
	s_or_b64 exec, exec, s[6:7]
.LBB88_27:
	v_mov_b32_dpp v2, v10 row_shr:1 row_mask:0xf bank_mask:0xf
	v_mov_b32_dpp v3, v11 row_shr:1 row_mask:0xf bank_mask:0xf
	;; [unrolled: 1-line block ×3, first 2 shown]
	v_pk_add_f32 v[2:3], v[10:11], v[2:3]
	v_add_f32_e32 v1, v18, v1
	v_cmp_eq_u32_e32 vcc, 31, v0
	v_mov_b32_dpp v6, v2 row_shr:2 row_mask:0xf bank_mask:0xf
	v_mov_b32_dpp v7, v3 row_shr:2 row_mask:0xf bank_mask:0xf
	v_mov_b32_dpp v8, v1 row_shr:2 row_mask:0xf bank_mask:0xf
	v_pk_add_f32 v[2:3], v[2:3], v[6:7]
	v_add_f32_e32 v1, v1, v8
	s_nop 0
	v_mov_b32_dpp v6, v2 row_shr:4 row_mask:0xf bank_mask:0xe
	v_mov_b32_dpp v7, v3 row_shr:4 row_mask:0xf bank_mask:0xe
	v_mov_b32_dpp v8, v1 row_shr:4 row_mask:0xf bank_mask:0xe
	v_pk_add_f32 v[2:3], v[2:3], v[6:7]
	v_add_f32_e32 v1, v1, v8
	s_nop 0
	;; [unrolled: 6-line block ×3, first 2 shown]
	v_mov_b32_dpp v6, v2 row_bcast:15 row_mask:0xa bank_mask:0xf
	v_mov_b32_dpp v7, v3 row_bcast:15 row_mask:0xa bank_mask:0xf
	;; [unrolled: 1-line block ×3, first 2 shown]
	s_and_b64 exec, exec, vcc
	s_cbranch_execz .LBB88_10
; %bb.28:
	s_load_dwordx2 s[0:1], s[0:1], 0x58
	v_add_f32_e32 v0, v1, v8
	v_cmp_eq_f32_e64 s[2:3], s16, 0
	v_pk_add_f32 v[6:7], v[2:3], v[6:7]
	s_and_b64 vcc, exec, s[2:3]
	v_mul_f32_e32 v2, s12, v0
	s_cbranch_vccz .LBB88_30
; %bb.29:
	s_waitcnt lgkmcnt(0)
	v_mad_u64_u32 v[8:9], s[2:3], v4, 12, s[0:1]
	v_mov_b32_e32 v0, v9
	v_mad_u64_u32 v[0:1], s[2:3], v5, 12, v[0:1]
	v_mov_b32_e32 v9, v0
	v_pk_mul_f32 v[0:1], s[12:13], v[6:7] op_sel_hi:[0,1]
	global_store_dwordx3 v[8:9], v[0:2], off
	s_cbranch_execnz .LBB88_10
	s_branch .LBB88_31
.LBB88_30:
.LBB88_31:
	s_waitcnt lgkmcnt(0)
	v_mad_u64_u32 v[12:13], s[0:1], v4, 12, s[0:1]
	v_mov_b32_e32 v0, v13
	v_mad_u64_u32 v[0:1], s[0:1], v5, 12, v[0:1]
	v_mov_b32_e32 v13, v0
	global_load_dwordx3 v[8:10], v[12:13], off
	v_pk_mul_f32 v[0:1], s[12:13], v[6:7] op_sel_hi:[0,1]
	s_waitcnt vmcnt(0)
	v_pk_fma_f32 v[0:1], s[16:17], v[8:9], v[0:1] op_sel_hi:[0,1,1]
	v_fmac_f32_e32 v2, s16, v10
	global_store_dwordx3 v[12:13], v[0:2], off
	s_endpgm
	.section	.rodata,"a",@progbits
	.p2align	6, 0x0
	.amdhsa_kernel _ZN9rocsparseL18bsrxmvn_3x3_kernelILj256ELj32EfllaafEEvT3_20rocsparse_direction_NS_24const_host_device_scalarIT1_EES1_PKS1_PKT2_SA_S7_PKT4_PKT5_S5_PT6_21rocsparse_index_base_b
		.amdhsa_group_segment_fixed_size 0
		.amdhsa_private_segment_fixed_size 0
		.amdhsa_kernarg_size 104
		.amdhsa_user_sgpr_count 2
		.amdhsa_user_sgpr_dispatch_ptr 0
		.amdhsa_user_sgpr_queue_ptr 0
		.amdhsa_user_sgpr_kernarg_segment_ptr 1
		.amdhsa_user_sgpr_dispatch_id 0
		.amdhsa_user_sgpr_kernarg_preload_length 0
		.amdhsa_user_sgpr_kernarg_preload_offset 0
		.amdhsa_user_sgpr_private_segment_size 0
		.amdhsa_uses_dynamic_stack 0
		.amdhsa_enable_private_segment 0
		.amdhsa_system_sgpr_workgroup_id_x 1
		.amdhsa_system_sgpr_workgroup_id_y 0
		.amdhsa_system_sgpr_workgroup_id_z 0
		.amdhsa_system_sgpr_workgroup_info 0
		.amdhsa_system_vgpr_workitem_id 0
		.amdhsa_next_free_vgpr 32
		.amdhsa_next_free_sgpr 26
		.amdhsa_accum_offset 32
		.amdhsa_reserve_vcc 1
		.amdhsa_float_round_mode_32 0
		.amdhsa_float_round_mode_16_64 0
		.amdhsa_float_denorm_mode_32 3
		.amdhsa_float_denorm_mode_16_64 3
		.amdhsa_dx10_clamp 1
		.amdhsa_ieee_mode 1
		.amdhsa_fp16_overflow 0
		.amdhsa_tg_split 0
		.amdhsa_exception_fp_ieee_invalid_op 0
		.amdhsa_exception_fp_denorm_src 0
		.amdhsa_exception_fp_ieee_div_zero 0
		.amdhsa_exception_fp_ieee_overflow 0
		.amdhsa_exception_fp_ieee_underflow 0
		.amdhsa_exception_fp_ieee_inexact 0
		.amdhsa_exception_int_div_zero 0
	.end_amdhsa_kernel
	.section	.text._ZN9rocsparseL18bsrxmvn_3x3_kernelILj256ELj32EfllaafEEvT3_20rocsparse_direction_NS_24const_host_device_scalarIT1_EES1_PKS1_PKT2_SA_S7_PKT4_PKT5_S5_PT6_21rocsparse_index_base_b,"axG",@progbits,_ZN9rocsparseL18bsrxmvn_3x3_kernelILj256ELj32EfllaafEEvT3_20rocsparse_direction_NS_24const_host_device_scalarIT1_EES1_PKS1_PKT2_SA_S7_PKT4_PKT5_S5_PT6_21rocsparse_index_base_b,comdat
.Lfunc_end88:
	.size	_ZN9rocsparseL18bsrxmvn_3x3_kernelILj256ELj32EfllaafEEvT3_20rocsparse_direction_NS_24const_host_device_scalarIT1_EES1_PKS1_PKT2_SA_S7_PKT4_PKT5_S5_PT6_21rocsparse_index_base_b, .Lfunc_end88-_ZN9rocsparseL18bsrxmvn_3x3_kernelILj256ELj32EfllaafEEvT3_20rocsparse_direction_NS_24const_host_device_scalarIT1_EES1_PKS1_PKT2_SA_S7_PKT4_PKT5_S5_PT6_21rocsparse_index_base_b
                                        ; -- End function
	.section	.AMDGPU.csdata,"",@progbits
; Kernel info:
; codeLenInByte = 1708
; NumSgprs: 32
; NumVgprs: 32
; NumAgprs: 0
; TotalNumVgprs: 32
; ScratchSize: 0
; MemoryBound: 0
; FloatMode: 240
; IeeeMode: 1
; LDSByteSize: 0 bytes/workgroup (compile time only)
; SGPRBlocks: 3
; VGPRBlocks: 3
; NumSGPRsForWavesPerEU: 32
; NumVGPRsForWavesPerEU: 32
; AccumOffset: 32
; Occupancy: 8
; WaveLimiterHint : 1
; COMPUTE_PGM_RSRC2:SCRATCH_EN: 0
; COMPUTE_PGM_RSRC2:USER_SGPR: 2
; COMPUTE_PGM_RSRC2:TRAP_HANDLER: 0
; COMPUTE_PGM_RSRC2:TGID_X_EN: 1
; COMPUTE_PGM_RSRC2:TGID_Y_EN: 0
; COMPUTE_PGM_RSRC2:TGID_Z_EN: 0
; COMPUTE_PGM_RSRC2:TIDIG_COMP_CNT: 0
; COMPUTE_PGM_RSRC3_GFX90A:ACCUM_OFFSET: 7
; COMPUTE_PGM_RSRC3_GFX90A:TG_SPLIT: 0
	.section	.text._ZN9rocsparseL18bsrxmvn_3x3_kernelILj256ELj64EfllaafEEvT3_20rocsparse_direction_NS_24const_host_device_scalarIT1_EES1_PKS1_PKT2_SA_S7_PKT4_PKT5_S5_PT6_21rocsparse_index_base_b,"axG",@progbits,_ZN9rocsparseL18bsrxmvn_3x3_kernelILj256ELj64EfllaafEEvT3_20rocsparse_direction_NS_24const_host_device_scalarIT1_EES1_PKS1_PKT2_SA_S7_PKT4_PKT5_S5_PT6_21rocsparse_index_base_b,comdat
	.globl	_ZN9rocsparseL18bsrxmvn_3x3_kernelILj256ELj64EfllaafEEvT3_20rocsparse_direction_NS_24const_host_device_scalarIT1_EES1_PKS1_PKT2_SA_S7_PKT4_PKT5_S5_PT6_21rocsparse_index_base_b ; -- Begin function _ZN9rocsparseL18bsrxmvn_3x3_kernelILj256ELj64EfllaafEEvT3_20rocsparse_direction_NS_24const_host_device_scalarIT1_EES1_PKS1_PKT2_SA_S7_PKT4_PKT5_S5_PT6_21rocsparse_index_base_b
	.p2align	8
	.type	_ZN9rocsparseL18bsrxmvn_3x3_kernelILj256ELj64EfllaafEEvT3_20rocsparse_direction_NS_24const_host_device_scalarIT1_EES1_PKS1_PKT2_SA_S7_PKT4_PKT5_S5_PT6_21rocsparse_index_base_b,@function
_ZN9rocsparseL18bsrxmvn_3x3_kernelILj256ELj64EfllaafEEvT3_20rocsparse_direction_NS_24const_host_device_scalarIT1_EES1_PKS1_PKT2_SA_S7_PKT4_PKT5_S5_PT6_21rocsparse_index_base_b: ; @_ZN9rocsparseL18bsrxmvn_3x3_kernelILj256ELj64EfllaafEEvT3_20rocsparse_direction_NS_24const_host_device_scalarIT1_EES1_PKS1_PKT2_SA_S7_PKT4_PKT5_S5_PT6_21rocsparse_index_base_b
; %bb.0:
	s_load_dwordx2 s[18:19], s[0:1], 0x60
	s_load_dwordx4 s[12:15], s[0:1], 0x10
	s_load_dwordx2 s[16:17], s[0:1], 0x50
	s_waitcnt lgkmcnt(0)
	s_bitcmp1_b32 s19, 0
	s_cselect_b64 s[6:7], -1, 0
	s_xor_b64 s[4:5], s[6:7], -1
	s_and_b64 vcc, exec, s[6:7]
	s_cbranch_vccnz .LBB89_2
; %bb.1:
	s_load_dword s12, s[12:13], 0x0
.LBB89_2:
	s_andn2_b64 vcc, exec, s[4:5]
	s_cbranch_vccnz .LBB89_4
; %bb.3:
	s_load_dword s16, s[16:17], 0x0
.LBB89_4:
	s_waitcnt lgkmcnt(0)
	v_cmp_neq_f32_e64 s[4:5], s12, 0
	v_cmp_neq_f32_e64 s[6:7], s16, 1.0
	s_or_b64 s[4:5], s[4:5], s[6:7]
	s_andn2_b64 vcc, exec, s[4:5]
	s_cbranch_vccnz .LBB89_10
; %bb.5:
	s_load_dwordx2 s[4:5], s[0:1], 0x20
	v_lshrrev_b32_e32 v1, 6, v0
	v_lshl_or_b32 v2, s2, 2, v1
	v_mov_b32_e32 v3, 0
	s_mov_b64 s[2:3], 0
	s_waitcnt lgkmcnt(0)
	s_cmp_lg_u64 s[4:5], 0
	s_cbranch_scc0 .LBB89_11
; %bb.6:
	v_cmp_gt_i64_e32 vcc, s[14:15], v[2:3]
                                        ; implicit-def: $vgpr4_vgpr5
	s_and_saveexec_b64 s[6:7], vcc
	s_xor_b64 s[6:7], exec, s[6:7]
                                        ; implicit-def: $sgpr14_sgpr15
	s_cbranch_execz .LBB89_8
; %bb.7:
	v_lshl_add_u64 v[4:5], v[2:3], 3, s[4:5]
	global_load_dwordx2 v[4:5], v[4:5], off
	s_mov_b64 s[2:3], exec
	s_mov_b32 s15, 0
	s_waitcnt vmcnt(0)
	v_subrev_co_u32_e32 v4, vcc, s18, v4
	s_nop 1
	v_subbrev_co_u32_e32 v5, vcc, 0, v5, vcc
.LBB89_8:
	s_or_b64 exec, exec, s[6:7]
.LBB89_9:
	s_and_saveexec_b64 s[4:5], s[2:3]
	s_cbranch_execnz .LBB89_15
.LBB89_10:
	s_endpgm
.LBB89_11:
                                        ; implicit-def: $vgpr4_vgpr5
                                        ; implicit-def: $sgpr14_sgpr15
	s_cbranch_execz .LBB89_9
; %bb.12:
	s_load_dwordx2 s[4:5], s[0:1], 0x0
                                        ; implicit-def: $vgpr4_vgpr5
	s_waitcnt lgkmcnt(0)
	v_cmp_gt_i64_e32 vcc, s[4:5], v[2:3]
	s_and_saveexec_b64 s[4:5], vcc
                                        ; implicit-def: $sgpr14_sgpr15
; %bb.13:
	s_mov_b32 s15, 0
	s_or_b64 s[2:3], s[2:3], exec
	v_mov_b64_e32 v[4:5], v[2:3]
; %bb.14:
	s_or_b64 exec, exec, s[4:5]
	s_and_saveexec_b64 s[4:5], s[2:3]
	s_cbranch_execz .LBB89_10
.LBB89_15:
	s_load_dwordx8 s[4:11], s[0:1], 0x28
	v_lshlrev_b64 v[2:3], 3, v[4:5]
	v_mov_b32_e32 v10, s15
	v_and_b32_e32 v0, 63, v0
	v_mov_b32_e32 v1, 0
	s_waitcnt lgkmcnt(0)
	v_lshl_add_u64 v[6:7], s[4:5], 0, v[2:3]
	s_cmp_eq_u64 s[6:7], 0
	global_load_dwordx2 v[8:9], v[6:7], off
	v_lshl_add_u64 v[2:3], s[6:7], 0, v[2:3]
	v_lshl_add_u64 v[6:7], v[6:7], 0, 8
	s_cselect_b64 vcc, -1, 0
	v_cndmask_b32_e32 v3, v3, v7, vcc
	v_cndmask_b32_e32 v2, v2, v6, vcc
	global_load_dwordx2 v[6:7], v[2:3], off
	s_load_dword s2, s[0:1], 0x8
	s_load_dwordx2 s[4:5], s[0:1], 0x48
	s_waitcnt lgkmcnt(0)
	s_cmp_eq_u32 s2, 1
	s_waitcnt vmcnt(1)
	v_subrev_co_u32_e32 v2, vcc, s18, v8
	s_nop 1
	v_subb_co_u32_e32 v3, vcc, v9, v10, vcc
	v_lshl_add_u64 v[2:3], v[2:3], 0, v[0:1]
	v_mad_u64_u32 v[8:9], s[2:3], v2, 9, s[10:11]
	s_waitcnt vmcnt(0)
	v_subrev_co_u32_e32 v6, vcc, s18, v6
	s_nop 1
	v_subb_co_u32_e32 v7, vcc, v7, v10, vcc
	v_mov_b32_e32 v10, v9
	v_mad_u64_u32 v[10:11], s[2:3], v3, 9, v[10:11]
	v_mov_b32_e32 v9, v10
	v_cmp_lt_i64_e64 s[2:3], v[2:3], v[6:7]
	s_cbranch_scc1 .LBB89_21
; %bb.16:
	v_mov_b32_e32 v10, v1
	v_mov_b32_e32 v18, v1
	s_and_saveexec_b64 s[6:7], s[2:3]
	s_cbranch_execz .LBB89_20
; %bb.17:
	v_mov_b32_e32 v18, 0
	v_lshl_add_u64 v[12:13], v[2:3], 3, s[8:9]
	s_mov_b64 s[10:11], 0
	v_mov_b32_e32 v1, s15
	s_mov_b64 s[20:21], 0x240
	s_mov_b64 s[22:23], 0x200
	v_mov_b64_e32 v[14:15], v[8:9]
	v_mov_b64_e32 v[16:17], v[2:3]
	v_mov_b32_e32 v11, 0
	v_mov_b32_e32 v10, v18
.LBB89_18:                              ; =>This Inner Loop Header: Depth=1
	global_load_dwordx2 v[20:21], v[12:13], off
	global_load_dwordx2 v[22:23], v[14:15], off
	global_load_sbyte v19, v[14:15], off offset:8
	v_lshl_add_u64 v[16:17], v[16:17], 0, 64
	v_lshl_add_u64 v[14:15], v[14:15], 0, s[20:21]
	;; [unrolled: 1-line block ×3, first 2 shown]
	s_waitcnt vmcnt(2)
	v_subrev_co_u32_e32 v20, vcc, s18, v20
	s_nop 1
	v_subb_co_u32_e32 v25, vcc, v21, v1, vcc
	v_mad_u64_u32 v[20:21], s[24:25], v20, 3, s[4:5]
	v_mov_b32_e32 v24, v21
	v_mad_u64_u32 v[24:25], s[24:25], v25, 3, v[24:25]
	v_mov_b32_e32 v21, v24
	global_load_ushort v24, v[20:21], off
	global_load_sbyte v25, v[20:21], off offset:2
	s_waitcnt vmcnt(3)
	v_bfe_i32 v20, v22, 0, 8
	v_lshrrev_b32_e32 v21, 8, v22
	v_lshrrev_b32_e32 v26, 16, v22
	;; [unrolled: 1-line block ×3, first 2 shown]
	v_bfe_i32 v27, v23, 0, 8
	v_lshrrev_b32_e32 v28, 8, v23
	v_lshrrev_b32_e32 v29, 16, v23
	v_bfe_i32 v30, v21, 0, 8
	v_bfe_i32 v26, v26, 0, 8
	;; [unrolled: 1-line block ×3, first 2 shown]
	v_lshrrev_b32_e32 v23, 24, v23
	v_bfe_i32 v28, v28, 0, 8
	v_bfe_i32 v29, v29, 0, 8
	v_cvt_f32_i32_sdwa v32, sext(v20) dst_sel:DWORD dst_unused:UNUSED_PAD src0_sel:WORD_0
	v_cvt_f32_i32_sdwa v21, sext(v27) dst_sel:DWORD dst_unused:UNUSED_PAD src0_sel:WORD_0
	;; [unrolled: 1-line block ×5, first 2 shown]
	v_bfe_i32 v31, v23, 0, 8
	v_cvt_f32_i32_sdwa v23, sext(v28) dst_sel:DWORD dst_unused:UNUSED_PAD src0_sel:WORD_0
	v_cvt_f32_i32_sdwa v28, sext(v29) dst_sel:DWORD dst_unused:UNUSED_PAD src0_sel:WORD_0
	;; [unrolled: 1-line block ×3, first 2 shown]
	s_waitcnt vmcnt(2)
	v_cvt_f32_i32_e32 v19, v19
	v_cmp_ge_i64_e32 vcc, v[16:17], v[6:7]
	s_or_b64 s[10:11], vcc, s[10:11]
	s_waitcnt vmcnt(1)
	v_bfe_i32 v26, v24, 0, 8
	v_lshrrev_b32_e32 v30, 8, v24
	s_waitcnt vmcnt(0)
	v_cvt_f32_i32_e32 v24, v25
	v_cvt_f32_i32_sdwa v25, sext(v26) dst_sel:DWORD dst_unused:UNUSED_PAD src0_sel:WORD_0
	v_bfe_i32 v26, v30, 0, 8
	v_cvt_f32_i32_sdwa v26, sext(v26) dst_sel:DWORD dst_unused:UNUSED_PAD src0_sel:WORD_0
	v_fmac_f32_e32 v10, v32, v25
	v_fmac_f32_e32 v11, v27, v25
	;; [unrolled: 1-line block ×3, first 2 shown]
	v_pk_fma_f32 v[10:11], v[20:21], v[26:27], v[10:11] op_sel_hi:[1,0,1]
	v_fmac_f32_e32 v18, v29, v26
	v_pk_fma_f32 v[10:11], v[22:23], v[24:25], v[10:11] op_sel_hi:[1,0,1]
	v_fmac_f32_e32 v18, v19, v24
	s_andn2_b64 exec, exec, s[10:11]
	s_cbranch_execnz .LBB89_18
; %bb.19:
	s_or_b64 exec, exec, s[10:11]
	v_mov_b32_e32 v1, v11
.LBB89_20:
	s_or_b64 exec, exec, s[6:7]
	v_mov_b32_e32 v11, v1
	s_cbranch_execz .LBB89_22
	s_branch .LBB89_27
.LBB89_21:
                                        ; implicit-def: $vgpr11
                                        ; implicit-def: $vgpr18
.LBB89_22:
	v_mov_b32_e32 v11, 0
	v_mov_b32_e32 v10, v11
	;; [unrolled: 1-line block ×3, first 2 shown]
	s_and_saveexec_b64 s[6:7], s[2:3]
	s_cbranch_execz .LBB89_26
; %bb.23:
	v_mov_b32_e32 v18, 0
	v_lshl_add_u64 v[12:13], v[2:3], 3, s[8:9]
	s_mov_b64 s[2:3], 0
	v_mov_b32_e32 v1, s15
	s_mov_b64 s[8:9], 0x240
	s_mov_b64 s[10:11], 0x200
	v_mov_b32_e32 v10, 0
	v_mov_b32_e32 v11, v18
.LBB89_24:                              ; =>This Inner Loop Header: Depth=1
	global_load_dwordx2 v[14:15], v[12:13], off
	global_load_dwordx2 v[16:17], v[8:9], off
	global_load_sbyte v19, v[8:9], off offset:8
	v_lshl_add_u64 v[2:3], v[2:3], 0, 64
	v_lshl_add_u64 v[8:9], v[8:9], 0, s[8:9]
	;; [unrolled: 1-line block ×3, first 2 shown]
	s_waitcnt vmcnt(2)
	v_subrev_co_u32_e32 v14, vcc, s18, v14
	s_nop 1
	v_subb_co_u32_e32 v21, vcc, v15, v1, vcc
	v_mad_u64_u32 v[14:15], s[14:15], v14, 3, s[4:5]
	v_mov_b32_e32 v20, v15
	v_mad_u64_u32 v[20:21], s[14:15], v21, 3, v[20:21]
	v_mov_b32_e32 v15, v20
	global_load_ushort v22, v[14:15], off
	global_load_sbyte v23, v[14:15], off offset:2
	s_waitcnt vmcnt(3)
	v_lshrrev_b32_e32 v14, 8, v16
	v_lshrrev_b32_e32 v20, 16, v16
	;; [unrolled: 1-line block ×4, first 2 shown]
	v_bfe_i32 v15, v16, 0, 8
	v_bfe_i32 v27, v14, 0, 8
	;; [unrolled: 1-line block ×5, first 2 shown]
	v_lshrrev_b32_e32 v16, 24, v16
	v_cvt_f32_i32_sdwa v14, sext(v15) dst_sel:DWORD dst_unused:UNUSED_PAD src0_sel:WORD_0
	v_cvt_f32_i32_sdwa v15, sext(v27) dst_sel:DWORD dst_unused:UNUSED_PAD src0_sel:WORD_0
	;; [unrolled: 1-line block ×5, first 2 shown]
	v_bfe_i32 v21, v17, 0, 8
	v_lshrrev_b32_e32 v26, 24, v17
	v_bfe_i32 v16, v16, 0, 8
	v_cvt_f32_i32_sdwa v17, sext(v21) dst_sel:DWORD dst_unused:UNUSED_PAD src0_sel:WORD_0
	v_bfe_i32 v21, v26, 0, 8
	v_cvt_f32_i32_sdwa v16, sext(v16) dst_sel:DWORD dst_unused:UNUSED_PAD src0_sel:WORD_0
	s_waitcnt vmcnt(2)
	v_cvt_f32_i32_e32 v19, v19
	v_cvt_f32_i32_sdwa v21, sext(v21) dst_sel:DWORD dst_unused:UNUSED_PAD src0_sel:WORD_0
	v_cmp_ge_i64_e32 vcc, v[2:3], v[6:7]
	s_or_b64 s[2:3], vcc, s[2:3]
	s_waitcnt vmcnt(1)
	v_bfe_i32 v24, v22, 0, 8
	v_lshrrev_b32_e32 v25, 8, v22
	s_waitcnt vmcnt(0)
	v_cvt_f32_i32_e32 v22, v23
	v_cvt_f32_i32_sdwa v24, sext(v24) dst_sel:DWORD dst_unused:UNUSED_PAD src0_sel:WORD_0
	v_bfe_i32 v23, v25, 0, 8
	v_cvt_f32_i32_sdwa v26, sext(v23) dst_sel:DWORD dst_unused:UNUSED_PAD src0_sel:WORD_0
	v_pk_fma_f32 v[10:11], v[14:15], v[24:25], v[10:11] op_sel_hi:[1,0,1]
	v_fmac_f32_e32 v18, v27, v24
	v_fmac_f32_e32 v18, v28, v26
	v_pk_fma_f32 v[10:11], v[16:17], v[26:27], v[10:11] op_sel_hi:[1,0,1]
	v_fmac_f32_e32 v18, v19, v22
	v_pk_fma_f32 v[10:11], v[20:21], v[22:23], v[10:11] op_sel_hi:[1,0,1]
	s_andn2_b64 exec, exec, s[2:3]
	s_cbranch_execnz .LBB89_24
; %bb.25:
	s_or_b64 exec, exec, s[2:3]
.LBB89_26:
	s_or_b64 exec, exec, s[6:7]
.LBB89_27:
	v_mov_b32_dpp v2, v10 row_shr:1 row_mask:0xf bank_mask:0xf
	v_mov_b32_dpp v3, v11 row_shr:1 row_mask:0xf bank_mask:0xf
	;; [unrolled: 1-line block ×3, first 2 shown]
	v_pk_add_f32 v[2:3], v[10:11], v[2:3]
	v_add_f32_e32 v1, v18, v1
	v_cmp_eq_u32_e32 vcc, 63, v0
	v_mov_b32_dpp v6, v2 row_shr:2 row_mask:0xf bank_mask:0xf
	v_mov_b32_dpp v7, v3 row_shr:2 row_mask:0xf bank_mask:0xf
	v_mov_b32_dpp v8, v1 row_shr:2 row_mask:0xf bank_mask:0xf
	v_pk_add_f32 v[2:3], v[2:3], v[6:7]
	v_add_f32_e32 v1, v1, v8
	s_nop 0
	v_mov_b32_dpp v6, v2 row_shr:4 row_mask:0xf bank_mask:0xe
	v_mov_b32_dpp v7, v3 row_shr:4 row_mask:0xf bank_mask:0xe
	v_mov_b32_dpp v8, v1 row_shr:4 row_mask:0xf bank_mask:0xe
	v_pk_add_f32 v[2:3], v[2:3], v[6:7]
	v_add_f32_e32 v1, v1, v8
	s_nop 0
	;; [unrolled: 6-line block ×3, first 2 shown]
	v_mov_b32_dpp v6, v2 row_bcast:15 row_mask:0xa bank_mask:0xf
	v_mov_b32_dpp v7, v3 row_bcast:15 row_mask:0xa bank_mask:0xf
	;; [unrolled: 1-line block ×3, first 2 shown]
	v_pk_add_f32 v[2:3], v[2:3], v[6:7]
	v_add_f32_e32 v1, v1, v8
	s_nop 0
	v_mov_b32_dpp v6, v2 row_bcast:31 row_mask:0xc bank_mask:0xf
	v_mov_b32_dpp v7, v3 row_bcast:31 row_mask:0xc bank_mask:0xf
	;; [unrolled: 1-line block ×3, first 2 shown]
	s_and_b64 exec, exec, vcc
	s_cbranch_execz .LBB89_10
; %bb.28:
	s_load_dwordx2 s[0:1], s[0:1], 0x58
	v_add_f32_e32 v0, v1, v8
	v_cmp_eq_f32_e64 s[2:3], s16, 0
	v_pk_add_f32 v[6:7], v[2:3], v[6:7]
	s_and_b64 vcc, exec, s[2:3]
	v_mul_f32_e32 v2, s12, v0
	s_cbranch_vccz .LBB89_30
; %bb.29:
	s_waitcnt lgkmcnt(0)
	v_mad_u64_u32 v[8:9], s[2:3], v4, 12, s[0:1]
	v_mov_b32_e32 v0, v9
	v_mad_u64_u32 v[0:1], s[2:3], v5, 12, v[0:1]
	v_mov_b32_e32 v9, v0
	v_pk_mul_f32 v[0:1], s[12:13], v[6:7] op_sel_hi:[0,1]
	global_store_dwordx3 v[8:9], v[0:2], off
	s_cbranch_execnz .LBB89_10
	s_branch .LBB89_31
.LBB89_30:
.LBB89_31:
	s_waitcnt lgkmcnt(0)
	v_mad_u64_u32 v[12:13], s[0:1], v4, 12, s[0:1]
	v_mov_b32_e32 v0, v13
	v_mad_u64_u32 v[0:1], s[0:1], v5, 12, v[0:1]
	v_mov_b32_e32 v13, v0
	global_load_dwordx3 v[8:10], v[12:13], off
	v_pk_mul_f32 v[0:1], s[12:13], v[6:7] op_sel_hi:[0,1]
	s_waitcnt vmcnt(0)
	v_pk_fma_f32 v[0:1], s[16:17], v[8:9], v[0:1] op_sel_hi:[0,1,1]
	v_fmac_f32_e32 v2, s16, v10
	global_store_dwordx3 v[12:13], v[0:2], off
	s_endpgm
	.section	.rodata,"a",@progbits
	.p2align	6, 0x0
	.amdhsa_kernel _ZN9rocsparseL18bsrxmvn_3x3_kernelILj256ELj64EfllaafEEvT3_20rocsparse_direction_NS_24const_host_device_scalarIT1_EES1_PKS1_PKT2_SA_S7_PKT4_PKT5_S5_PT6_21rocsparse_index_base_b
		.amdhsa_group_segment_fixed_size 0
		.amdhsa_private_segment_fixed_size 0
		.amdhsa_kernarg_size 104
		.amdhsa_user_sgpr_count 2
		.amdhsa_user_sgpr_dispatch_ptr 0
		.amdhsa_user_sgpr_queue_ptr 0
		.amdhsa_user_sgpr_kernarg_segment_ptr 1
		.amdhsa_user_sgpr_dispatch_id 0
		.amdhsa_user_sgpr_kernarg_preload_length 0
		.amdhsa_user_sgpr_kernarg_preload_offset 0
		.amdhsa_user_sgpr_private_segment_size 0
		.amdhsa_uses_dynamic_stack 0
		.amdhsa_enable_private_segment 0
		.amdhsa_system_sgpr_workgroup_id_x 1
		.amdhsa_system_sgpr_workgroup_id_y 0
		.amdhsa_system_sgpr_workgroup_id_z 0
		.amdhsa_system_sgpr_workgroup_info 0
		.amdhsa_system_vgpr_workitem_id 0
		.amdhsa_next_free_vgpr 33
		.amdhsa_next_free_sgpr 26
		.amdhsa_accum_offset 36
		.amdhsa_reserve_vcc 1
		.amdhsa_float_round_mode_32 0
		.amdhsa_float_round_mode_16_64 0
		.amdhsa_float_denorm_mode_32 3
		.amdhsa_float_denorm_mode_16_64 3
		.amdhsa_dx10_clamp 1
		.amdhsa_ieee_mode 1
		.amdhsa_fp16_overflow 0
		.amdhsa_tg_split 0
		.amdhsa_exception_fp_ieee_invalid_op 0
		.amdhsa_exception_fp_denorm_src 0
		.amdhsa_exception_fp_ieee_div_zero 0
		.amdhsa_exception_fp_ieee_overflow 0
		.amdhsa_exception_fp_ieee_underflow 0
		.amdhsa_exception_fp_ieee_inexact 0
		.amdhsa_exception_int_div_zero 0
	.end_amdhsa_kernel
	.section	.text._ZN9rocsparseL18bsrxmvn_3x3_kernelILj256ELj64EfllaafEEvT3_20rocsparse_direction_NS_24const_host_device_scalarIT1_EES1_PKS1_PKT2_SA_S7_PKT4_PKT5_S5_PT6_21rocsparse_index_base_b,"axG",@progbits,_ZN9rocsparseL18bsrxmvn_3x3_kernelILj256ELj64EfllaafEEvT3_20rocsparse_direction_NS_24const_host_device_scalarIT1_EES1_PKS1_PKT2_SA_S7_PKT4_PKT5_S5_PT6_21rocsparse_index_base_b,comdat
.Lfunc_end89:
	.size	_ZN9rocsparseL18bsrxmvn_3x3_kernelILj256ELj64EfllaafEEvT3_20rocsparse_direction_NS_24const_host_device_scalarIT1_EES1_PKS1_PKT2_SA_S7_PKT4_PKT5_S5_PT6_21rocsparse_index_base_b, .Lfunc_end89-_ZN9rocsparseL18bsrxmvn_3x3_kernelILj256ELj64EfllaafEEvT3_20rocsparse_direction_NS_24const_host_device_scalarIT1_EES1_PKS1_PKT2_SA_S7_PKT4_PKT5_S5_PT6_21rocsparse_index_base_b
                                        ; -- End function
	.section	.AMDGPU.csdata,"",@progbits
; Kernel info:
; codeLenInByte = 1748
; NumSgprs: 32
; NumVgprs: 33
; NumAgprs: 0
; TotalNumVgprs: 33
; ScratchSize: 0
; MemoryBound: 0
; FloatMode: 240
; IeeeMode: 1
; LDSByteSize: 0 bytes/workgroup (compile time only)
; SGPRBlocks: 3
; VGPRBlocks: 4
; NumSGPRsForWavesPerEU: 32
; NumVGPRsForWavesPerEU: 33
; AccumOffset: 36
; Occupancy: 8
; WaveLimiterHint : 1
; COMPUTE_PGM_RSRC2:SCRATCH_EN: 0
; COMPUTE_PGM_RSRC2:USER_SGPR: 2
; COMPUTE_PGM_RSRC2:TRAP_HANDLER: 0
; COMPUTE_PGM_RSRC2:TGID_X_EN: 1
; COMPUTE_PGM_RSRC2:TGID_Y_EN: 0
; COMPUTE_PGM_RSRC2:TGID_Z_EN: 0
; COMPUTE_PGM_RSRC2:TIDIG_COMP_CNT: 0
; COMPUTE_PGM_RSRC3_GFX90A:ACCUM_OFFSET: 8
; COMPUTE_PGM_RSRC3_GFX90A:TG_SPLIT: 0
	.section	.text._ZN9rocsparseL18bsrxmvn_3x3_kernelILj256ELj4EfiiDF16_DF16_fEEvT3_20rocsparse_direction_NS_24const_host_device_scalarIT1_EES1_PKS1_PKT2_SA_S7_PKT4_PKT5_S5_PT6_21rocsparse_index_base_b,"axG",@progbits,_ZN9rocsparseL18bsrxmvn_3x3_kernelILj256ELj4EfiiDF16_DF16_fEEvT3_20rocsparse_direction_NS_24const_host_device_scalarIT1_EES1_PKS1_PKT2_SA_S7_PKT4_PKT5_S5_PT6_21rocsparse_index_base_b,comdat
	.globl	_ZN9rocsparseL18bsrxmvn_3x3_kernelILj256ELj4EfiiDF16_DF16_fEEvT3_20rocsparse_direction_NS_24const_host_device_scalarIT1_EES1_PKS1_PKT2_SA_S7_PKT4_PKT5_S5_PT6_21rocsparse_index_base_b ; -- Begin function _ZN9rocsparseL18bsrxmvn_3x3_kernelILj256ELj4EfiiDF16_DF16_fEEvT3_20rocsparse_direction_NS_24const_host_device_scalarIT1_EES1_PKS1_PKT2_SA_S7_PKT4_PKT5_S5_PT6_21rocsparse_index_base_b
	.p2align	8
	.type	_ZN9rocsparseL18bsrxmvn_3x3_kernelILj256ELj4EfiiDF16_DF16_fEEvT3_20rocsparse_direction_NS_24const_host_device_scalarIT1_EES1_PKS1_PKT2_SA_S7_PKT4_PKT5_S5_PT6_21rocsparse_index_base_b,@function
_ZN9rocsparseL18bsrxmvn_3x3_kernelILj256ELj4EfiiDF16_DF16_fEEvT3_20rocsparse_direction_NS_24const_host_device_scalarIT1_EES1_PKS1_PKT2_SA_S7_PKT4_PKT5_S5_PT6_21rocsparse_index_base_b: ; @_ZN9rocsparseL18bsrxmvn_3x3_kernelILj256ELj4EfiiDF16_DF16_fEEvT3_20rocsparse_direction_NS_24const_host_device_scalarIT1_EES1_PKS1_PKT2_SA_S7_PKT4_PKT5_S5_PT6_21rocsparse_index_base_b
; %bb.0:
	s_load_dwordx2 s[16:17], s[0:1], 0x58
	s_load_dwordx2 s[12:13], s[0:1], 0x8
	;; [unrolled: 1-line block ×3, first 2 shown]
	s_waitcnt lgkmcnt(0)
	s_bitcmp1_b32 s17, 0
	s_cselect_b64 s[6:7], -1, 0
	s_xor_b64 s[4:5], s[6:7], -1
	s_and_b64 vcc, exec, s[6:7]
	s_cbranch_vccnz .LBB90_2
; %bb.1:
	s_load_dword s12, s[12:13], 0x0
.LBB90_2:
	s_andn2_b64 vcc, exec, s[4:5]
	s_cbranch_vccnz .LBB90_4
; %bb.3:
	s_load_dword s14, s[14:15], 0x0
.LBB90_4:
	s_waitcnt lgkmcnt(0)
	v_cmp_neq_f32_e64 s[4:5], s12, 0
	v_cmp_neq_f32_e64 s[6:7], s14, 1.0
	s_or_b64 s[4:5], s[4:5], s[6:7]
	s_andn2_b64 vcc, exec, s[4:5]
	s_cbranch_vccnz .LBB90_10
; %bb.5:
	s_load_dwordx2 s[4:5], s[0:1], 0x18
	s_load_dwordx2 s[18:19], s[0:1], 0x0
	v_lshrrev_b32_e32 v1, 2, v0
	v_lshl_or_b32 v2, s2, 6, v1
	s_mov_b64 s[2:3], 0
	s_waitcnt lgkmcnt(0)
	s_cmp_lg_u64 s[4:5], 0
	s_cbranch_scc0 .LBB90_11
; %bb.6:
	s_load_dword s6, s[0:1], 0x10
                                        ; implicit-def: $vgpr1
	s_waitcnt lgkmcnt(0)
	v_cmp_gt_i32_e32 vcc, s6, v2
	s_and_saveexec_b64 s[6:7], vcc
	s_xor_b64 s[6:7], exec, s[6:7]
	s_cbranch_execz .LBB90_8
; %bb.7:
	v_ashrrev_i32_e32 v3, 31, v2
	v_lshl_add_u64 v[4:5], v[2:3], 2, s[4:5]
	global_load_dword v1, v[4:5], off
	s_mov_b64 s[2:3], exec
	s_waitcnt vmcnt(0)
	v_subrev_u32_e32 v1, s16, v1
.LBB90_8:
	s_or_b64 exec, exec, s[6:7]
	s_branch .LBB90_12
.LBB90_9:
	v_cmp_gt_i32_e32 vcc, s18, v2
	s_andn2_b64 s[2:3], s[2:3], exec
	s_and_b64 s[4:5], vcc, exec
	s_or_b64 s[2:3], s[2:3], s[4:5]
	s_and_saveexec_b64 s[4:5], s[2:3]
	s_cbranch_execnz .LBB90_13
.LBB90_10:
	s_endpgm
.LBB90_11:
                                        ; implicit-def: $vgpr1
	s_cbranch_execnz .LBB90_9
.LBB90_12:
	v_mov_b32_e32 v2, v1
	s_and_saveexec_b64 s[4:5], s[2:3]
	s_cbranch_execz .LBB90_10
.LBB90_13:
	s_load_dwordx8 s[4:11], s[0:1], 0x20
	v_ashrrev_i32_e32 v3, 31, v2
	v_lshlrev_b64 v[4:5], 2, v[2:3]
	v_and_b32_e32 v3, 3, v0
	s_waitcnt lgkmcnt(0)
	v_lshl_add_u64 v[6:7], s[4:5], 0, v[4:5]
	s_cmp_eq_u64 s[6:7], 0
	global_load_dword v1, v[6:7], off
	v_lshl_add_u64 v[6:7], v[6:7], 0, 4
	v_lshl_add_u64 v[4:5], s[6:7], 0, v[4:5]
	s_cselect_b64 vcc, -1, 0
	v_cndmask_b32_e32 v5, v5, v7, vcc
	v_cndmask_b32_e32 v4, v4, v6, vcc
	global_load_dword v4, v[4:5], off
	s_load_dwordx2 s[4:5], s[0:1], 0x40
	s_cmp_eq_u32 s19, 1
	s_waitcnt vmcnt(1)
	v_subrev_u32_e32 v0, s16, v1
	v_add_u32_e32 v0, v0, v3
	s_waitcnt vmcnt(0)
	v_subrev_u32_e32 v13, s16, v4
	v_mad_i64_i32 v[4:5], s[2:3], v0, 18, s[10:11]
	v_cmp_lt_i32_e64 s[2:3], v0, v13
	s_cbranch_scc1 .LBB90_19
; %bb.14:
	v_mov_b32_e32 v7, 0
	v_mov_b32_e32 v6, v7
	;; [unrolled: 1-line block ×3, first 2 shown]
	s_and_saveexec_b64 s[6:7], s[2:3]
	s_cbranch_execz .LBB90_18
; %bb.15:
	v_mov_b32_e32 v12, 0
	s_mov_b64 s[10:11], 0
	s_mov_b64 s[18:19], 0x48
	v_mov_b64_e32 v[8:9], v[4:5]
	v_mov_b32_e32 v10, v0
	v_mov_b32_e32 v6, 0
	;; [unrolled: 1-line block ×3, first 2 shown]
.LBB90_16:                              ; =>This Inner Loop Header: Depth=1
	v_ashrrev_i32_e32 v11, 31, v10
	v_lshl_add_u64 v[18:19], v[10:11], 2, s[8:9]
	global_load_dword v1, v[18:19], off
	global_load_dwordx4 v[14:17], v[8:9], off
	v_add_u32_e32 v10, 4, v10
	v_cmp_ge_i32_e32 vcc, v10, v13
	s_or_b64 s[10:11], vcc, s[10:11]
	s_waitcnt vmcnt(1)
	v_subrev_u32_e32 v1, s16, v1
	v_lshl_add_u32 v18, v1, 1, v1
	v_ashrrev_i32_e32 v19, 31, v18
	s_waitcnt lgkmcnt(0)
	v_lshl_add_u64 v[18:19], v[18:19], 1, s[4:5]
	global_load_dword v1, v[18:19], off
	global_load_ushort v11, v[18:19], off offset:4
	global_load_ushort v25, v[8:9], off offset:16
	s_waitcnt vmcnt(3)
	v_cvt_f32_f16_sdwa v19, v15 dst_sel:DWORD dst_unused:UNUSED_PAD src0_sel:WORD_1
	v_cvt_f32_f16_e32 v18, v14
	v_cvt_f32_f16_sdwa v20, v14 dst_sel:DWORD dst_unused:UNUSED_PAD src0_sel:WORD_1
	v_cvt_f32_f16_e32 v21, v16
	;; [unrolled: 2-line block ×3, first 2 shown]
	v_lshl_add_u64 v[8:9], v[8:9], 0, s[18:19]
	s_waitcnt vmcnt(2)
	v_cvt_f32_f16_e32 v14, v1
	v_cvt_f32_f16_sdwa v16, v1 dst_sel:DWORD dst_unused:UNUSED_PAD src0_sel:WORD_1
	s_waitcnt vmcnt(1)
	v_cvt_f32_f16_e32 v24, v11
	v_fma_mix_f32 v12, v17, v1, v12 op_sel_hi:[1,1,0]
	v_pk_fma_f32 v[6:7], v[18:19], v[14:15], v[6:7] op_sel_hi:[1,0,1]
	v_fma_mix_f32 v1, v17, v1, v12 op_sel:[1,1,0] op_sel_hi:[1,1,0]
	v_pk_fma_f32 v[6:7], v[20:21], v[16:17], v[6:7] op_sel_hi:[1,0,1]
	s_waitcnt vmcnt(0)
	v_fma_mix_f32 v12, v25, v11, v1 op_sel_hi:[1,1,0]
	v_pk_fma_f32 v[6:7], v[22:23], v[24:25], v[6:7] op_sel_hi:[1,0,1]
	s_andn2_b64 exec, exec, s[10:11]
	s_cbranch_execnz .LBB90_16
; %bb.17:
	s_or_b64 exec, exec, s[10:11]
.LBB90_18:
	s_or_b64 exec, exec, s[6:7]
	s_cbranch_execz .LBB90_20
	s_branch .LBB90_25
.LBB90_19:
                                        ; implicit-def: $vgpr7
                                        ; implicit-def: $vgpr12
.LBB90_20:
	v_mov_b32_e32 v7, 0
	v_mov_b32_e32 v6, v7
	;; [unrolled: 1-line block ×3, first 2 shown]
	s_and_saveexec_b64 s[6:7], s[2:3]
	s_cbranch_execz .LBB90_24
; %bb.21:
	v_mov_b32_e32 v12, 0
	s_mov_b64 s[2:3], 0
	s_mov_b64 s[10:11], 0x48
	v_mov_b32_e32 v6, 0
	v_mov_b32_e32 v7, v12
.LBB90_22:                              ; =>This Inner Loop Header: Depth=1
	v_ashrrev_i32_e32 v1, 31, v0
	v_lshl_add_u64 v[14:15], v[0:1], 2, s[8:9]
	global_load_dword v1, v[14:15], off
	global_load_dwordx4 v[8:11], v[4:5], off
	v_add_u32_e32 v0, 4, v0
	v_cmp_ge_i32_e32 vcc, v0, v13
	s_or_b64 s[2:3], vcc, s[2:3]
	s_waitcnt vmcnt(1)
	v_subrev_u32_e32 v1, s16, v1
	v_lshl_add_u32 v14, v1, 1, v1
	v_ashrrev_i32_e32 v15, 31, v14
	s_waitcnt lgkmcnt(0)
	v_lshl_add_u64 v[14:15], v[14:15], 1, s[4:5]
	global_load_dword v1, v[14:15], off
	global_load_ushort v21, v[14:15], off offset:4
	global_load_ushort v23, v[4:5], off offset:16
	s_waitcnt vmcnt(3)
	v_cvt_f32_f16_sdwa v15, v8 dst_sel:DWORD dst_unused:UNUSED_PAD src0_sel:WORD_1
	v_cvt_f32_f16_e32 v14, v8
	v_cvt_f32_f16_sdwa v16, v9 dst_sel:DWORD dst_unused:UNUSED_PAD src0_sel:WORD_1
	v_cvt_f32_f16_e32 v17, v10
	;; [unrolled: 2-line block ×3, first 2 shown]
	v_lshl_add_u64 v[4:5], v[4:5], 0, s[10:11]
	s_waitcnt vmcnt(2)
	v_cvt_f32_f16_e32 v8, v1
	v_cvt_f32_f16_sdwa v20, v1 dst_sel:DWORD dst_unused:UNUSED_PAD src0_sel:WORD_1
	s_waitcnt vmcnt(1)
	v_cvt_f32_f16_e32 v22, v21
	v_fma_mix_f32 v9, v9, v1, v12 op_sel_hi:[1,1,0]
	s_nop 0
	v_pk_fma_f32 v[6:7], v[14:15], v[8:9], v[6:7] op_sel_hi:[1,0,1]
	v_fma_mix_f32 v1, v10, v1, v9 op_sel:[1,1,0] op_sel_hi:[1,1,0]
	v_pk_fma_f32 v[6:7], v[16:17], v[20:21], v[6:7] op_sel_hi:[1,0,1]
	s_waitcnt vmcnt(0)
	v_fma_mix_f32 v12, v23, v21, v1 op_sel_hi:[1,1,0]
	v_pk_fma_f32 v[6:7], v[18:19], v[22:23], v[6:7] op_sel_hi:[1,0,1]
	s_andn2_b64 exec, exec, s[2:3]
	s_cbranch_execnz .LBB90_22
; %bb.23:
	s_or_b64 exec, exec, s[2:3]
.LBB90_24:
	s_or_b64 exec, exec, s[6:7]
.LBB90_25:
	v_mov_b32_dpp v0, v6 row_shr:1 row_mask:0xf bank_mask:0xf
	v_mov_b32_dpp v1, v7 row_shr:1 row_mask:0xf bank_mask:0xf
	v_pk_add_f32 v[0:1], v[6:7], v[0:1]
	v_mov_b32_dpp v6, v12 row_shr:1 row_mask:0xf bank_mask:0xf
	v_add_f32_e32 v6, v12, v6
	v_mov_b32_dpp v4, v0 row_shr:2 row_mask:0xf bank_mask:0xf
	v_mov_b32_dpp v5, v1 row_shr:2 row_mask:0xf bank_mask:0xf
	;; [unrolled: 1-line block ×3, first 2 shown]
	v_cmp_eq_u32_e32 vcc, 3, v3
	s_and_b64 exec, exec, vcc
	s_cbranch_execz .LBB90_10
; %bb.26:
	s_load_dwordx2 s[0:1], s[0:1], 0x50
	v_pk_add_f32 v[4:5], v[0:1], v[4:5]
	v_add_f32_e32 v0, v6, v7
	v_cmp_eq_f32_e64 s[2:3], s14, 0
	v_lshl_add_u32 v6, v2, 1, v2
	s_and_b64 vcc, exec, s[2:3]
	v_mul_f32_e32 v2, s12, v0
	v_ashrrev_i32_e32 v7, 31, v6
	s_cbranch_vccz .LBB90_28
; %bb.27:
	s_waitcnt lgkmcnt(0)
	v_lshl_add_u64 v[8:9], v[6:7], 2, s[0:1]
	v_pk_mul_f32 v[0:1], s[12:13], v[4:5] op_sel_hi:[0,1]
	global_store_dwordx3 v[8:9], v[0:2], off
	s_cbranch_execnz .LBB90_10
	s_branch .LBB90_29
.LBB90_28:
.LBB90_29:
	s_waitcnt lgkmcnt(0)
	v_lshl_add_u64 v[10:11], v[6:7], 2, s[0:1]
	global_load_dwordx3 v[6:8], v[10:11], off
	v_pk_mul_f32 v[0:1], s[12:13], v[4:5] op_sel_hi:[0,1]
	s_waitcnt vmcnt(0)
	v_pk_fma_f32 v[0:1], s[14:15], v[6:7], v[0:1] op_sel_hi:[0,1,1]
	v_fmac_f32_e32 v2, s14, v8
	global_store_dwordx3 v[10:11], v[0:2], off
	s_endpgm
	.section	.rodata,"a",@progbits
	.p2align	6, 0x0
	.amdhsa_kernel _ZN9rocsparseL18bsrxmvn_3x3_kernelILj256ELj4EfiiDF16_DF16_fEEvT3_20rocsparse_direction_NS_24const_host_device_scalarIT1_EES1_PKS1_PKT2_SA_S7_PKT4_PKT5_S5_PT6_21rocsparse_index_base_b
		.amdhsa_group_segment_fixed_size 0
		.amdhsa_private_segment_fixed_size 0
		.amdhsa_kernarg_size 96
		.amdhsa_user_sgpr_count 2
		.amdhsa_user_sgpr_dispatch_ptr 0
		.amdhsa_user_sgpr_queue_ptr 0
		.amdhsa_user_sgpr_kernarg_segment_ptr 1
		.amdhsa_user_sgpr_dispatch_id 0
		.amdhsa_user_sgpr_kernarg_preload_length 0
		.amdhsa_user_sgpr_kernarg_preload_offset 0
		.amdhsa_user_sgpr_private_segment_size 0
		.amdhsa_uses_dynamic_stack 0
		.amdhsa_enable_private_segment 0
		.amdhsa_system_sgpr_workgroup_id_x 1
		.amdhsa_system_sgpr_workgroup_id_y 0
		.amdhsa_system_sgpr_workgroup_id_z 0
		.amdhsa_system_sgpr_workgroup_info 0
		.amdhsa_system_vgpr_workitem_id 0
		.amdhsa_next_free_vgpr 26
		.amdhsa_next_free_sgpr 20
		.amdhsa_accum_offset 28
		.amdhsa_reserve_vcc 1
		.amdhsa_float_round_mode_32 0
		.amdhsa_float_round_mode_16_64 0
		.amdhsa_float_denorm_mode_32 3
		.amdhsa_float_denorm_mode_16_64 3
		.amdhsa_dx10_clamp 1
		.amdhsa_ieee_mode 1
		.amdhsa_fp16_overflow 0
		.amdhsa_tg_split 0
		.amdhsa_exception_fp_ieee_invalid_op 0
		.amdhsa_exception_fp_denorm_src 0
		.amdhsa_exception_fp_ieee_div_zero 0
		.amdhsa_exception_fp_ieee_overflow 0
		.amdhsa_exception_fp_ieee_underflow 0
		.amdhsa_exception_fp_ieee_inexact 0
		.amdhsa_exception_int_div_zero 0
	.end_amdhsa_kernel
	.section	.text._ZN9rocsparseL18bsrxmvn_3x3_kernelILj256ELj4EfiiDF16_DF16_fEEvT3_20rocsparse_direction_NS_24const_host_device_scalarIT1_EES1_PKS1_PKT2_SA_S7_PKT4_PKT5_S5_PT6_21rocsparse_index_base_b,"axG",@progbits,_ZN9rocsparseL18bsrxmvn_3x3_kernelILj256ELj4EfiiDF16_DF16_fEEvT3_20rocsparse_direction_NS_24const_host_device_scalarIT1_EES1_PKS1_PKT2_SA_S7_PKT4_PKT5_S5_PT6_21rocsparse_index_base_b,comdat
.Lfunc_end90:
	.size	_ZN9rocsparseL18bsrxmvn_3x3_kernelILj256ELj4EfiiDF16_DF16_fEEvT3_20rocsparse_direction_NS_24const_host_device_scalarIT1_EES1_PKS1_PKT2_SA_S7_PKT4_PKT5_S5_PT6_21rocsparse_index_base_b, .Lfunc_end90-_ZN9rocsparseL18bsrxmvn_3x3_kernelILj256ELj4EfiiDF16_DF16_fEEvT3_20rocsparse_direction_NS_24const_host_device_scalarIT1_EES1_PKS1_PKT2_SA_S7_PKT4_PKT5_S5_PT6_21rocsparse_index_base_b
                                        ; -- End function
	.section	.AMDGPU.csdata,"",@progbits
; Kernel info:
; codeLenInByte = 1192
; NumSgprs: 26
; NumVgprs: 26
; NumAgprs: 0
; TotalNumVgprs: 26
; ScratchSize: 0
; MemoryBound: 0
; FloatMode: 240
; IeeeMode: 1
; LDSByteSize: 0 bytes/workgroup (compile time only)
; SGPRBlocks: 3
; VGPRBlocks: 3
; NumSGPRsForWavesPerEU: 26
; NumVGPRsForWavesPerEU: 26
; AccumOffset: 28
; Occupancy: 8
; WaveLimiterHint : 1
; COMPUTE_PGM_RSRC2:SCRATCH_EN: 0
; COMPUTE_PGM_RSRC2:USER_SGPR: 2
; COMPUTE_PGM_RSRC2:TRAP_HANDLER: 0
; COMPUTE_PGM_RSRC2:TGID_X_EN: 1
; COMPUTE_PGM_RSRC2:TGID_Y_EN: 0
; COMPUTE_PGM_RSRC2:TGID_Z_EN: 0
; COMPUTE_PGM_RSRC2:TIDIG_COMP_CNT: 0
; COMPUTE_PGM_RSRC3_GFX90A:ACCUM_OFFSET: 6
; COMPUTE_PGM_RSRC3_GFX90A:TG_SPLIT: 0
	.section	.text._ZN9rocsparseL18bsrxmvn_3x3_kernelILj256ELj8EfiiDF16_DF16_fEEvT3_20rocsparse_direction_NS_24const_host_device_scalarIT1_EES1_PKS1_PKT2_SA_S7_PKT4_PKT5_S5_PT6_21rocsparse_index_base_b,"axG",@progbits,_ZN9rocsparseL18bsrxmvn_3x3_kernelILj256ELj8EfiiDF16_DF16_fEEvT3_20rocsparse_direction_NS_24const_host_device_scalarIT1_EES1_PKS1_PKT2_SA_S7_PKT4_PKT5_S5_PT6_21rocsparse_index_base_b,comdat
	.globl	_ZN9rocsparseL18bsrxmvn_3x3_kernelILj256ELj8EfiiDF16_DF16_fEEvT3_20rocsparse_direction_NS_24const_host_device_scalarIT1_EES1_PKS1_PKT2_SA_S7_PKT4_PKT5_S5_PT6_21rocsparse_index_base_b ; -- Begin function _ZN9rocsparseL18bsrxmvn_3x3_kernelILj256ELj8EfiiDF16_DF16_fEEvT3_20rocsparse_direction_NS_24const_host_device_scalarIT1_EES1_PKS1_PKT2_SA_S7_PKT4_PKT5_S5_PT6_21rocsparse_index_base_b
	.p2align	8
	.type	_ZN9rocsparseL18bsrxmvn_3x3_kernelILj256ELj8EfiiDF16_DF16_fEEvT3_20rocsparse_direction_NS_24const_host_device_scalarIT1_EES1_PKS1_PKT2_SA_S7_PKT4_PKT5_S5_PT6_21rocsparse_index_base_b,@function
_ZN9rocsparseL18bsrxmvn_3x3_kernelILj256ELj8EfiiDF16_DF16_fEEvT3_20rocsparse_direction_NS_24const_host_device_scalarIT1_EES1_PKS1_PKT2_SA_S7_PKT4_PKT5_S5_PT6_21rocsparse_index_base_b: ; @_ZN9rocsparseL18bsrxmvn_3x3_kernelILj256ELj8EfiiDF16_DF16_fEEvT3_20rocsparse_direction_NS_24const_host_device_scalarIT1_EES1_PKS1_PKT2_SA_S7_PKT4_PKT5_S5_PT6_21rocsparse_index_base_b
; %bb.0:
	s_load_dwordx2 s[16:17], s[0:1], 0x58
	s_load_dwordx2 s[12:13], s[0:1], 0x8
	;; [unrolled: 1-line block ×3, first 2 shown]
	s_waitcnt lgkmcnt(0)
	s_bitcmp1_b32 s17, 0
	s_cselect_b64 s[6:7], -1, 0
	s_xor_b64 s[4:5], s[6:7], -1
	s_and_b64 vcc, exec, s[6:7]
	s_cbranch_vccnz .LBB91_2
; %bb.1:
	s_load_dword s12, s[12:13], 0x0
.LBB91_2:
	s_andn2_b64 vcc, exec, s[4:5]
	s_cbranch_vccnz .LBB91_4
; %bb.3:
	s_load_dword s14, s[14:15], 0x0
.LBB91_4:
	s_waitcnt lgkmcnt(0)
	v_cmp_neq_f32_e64 s[4:5], s12, 0
	v_cmp_neq_f32_e64 s[6:7], s14, 1.0
	s_or_b64 s[4:5], s[4:5], s[6:7]
	s_andn2_b64 vcc, exec, s[4:5]
	s_cbranch_vccnz .LBB91_10
; %bb.5:
	s_load_dwordx2 s[4:5], s[0:1], 0x18
	s_load_dwordx2 s[18:19], s[0:1], 0x0
	v_lshrrev_b32_e32 v1, 3, v0
	v_lshl_or_b32 v2, s2, 5, v1
	s_mov_b64 s[2:3], 0
	s_waitcnt lgkmcnt(0)
	s_cmp_lg_u64 s[4:5], 0
	s_cbranch_scc0 .LBB91_11
; %bb.6:
	s_load_dword s6, s[0:1], 0x10
                                        ; implicit-def: $vgpr1
	s_waitcnt lgkmcnt(0)
	v_cmp_gt_i32_e32 vcc, s6, v2
	s_and_saveexec_b64 s[6:7], vcc
	s_xor_b64 s[6:7], exec, s[6:7]
	s_cbranch_execz .LBB91_8
; %bb.7:
	v_ashrrev_i32_e32 v3, 31, v2
	v_lshl_add_u64 v[4:5], v[2:3], 2, s[4:5]
	global_load_dword v1, v[4:5], off
	s_mov_b64 s[2:3], exec
	s_waitcnt vmcnt(0)
	v_subrev_u32_e32 v1, s16, v1
.LBB91_8:
	s_or_b64 exec, exec, s[6:7]
	s_branch .LBB91_12
.LBB91_9:
	v_cmp_gt_i32_e32 vcc, s18, v2
	s_andn2_b64 s[2:3], s[2:3], exec
	s_and_b64 s[4:5], vcc, exec
	s_or_b64 s[2:3], s[2:3], s[4:5]
	s_and_saveexec_b64 s[4:5], s[2:3]
	s_cbranch_execnz .LBB91_13
.LBB91_10:
	s_endpgm
.LBB91_11:
                                        ; implicit-def: $vgpr1
	s_cbranch_execnz .LBB91_9
.LBB91_12:
	v_mov_b32_e32 v2, v1
	s_and_saveexec_b64 s[4:5], s[2:3]
	s_cbranch_execz .LBB91_10
.LBB91_13:
	s_load_dwordx8 s[4:11], s[0:1], 0x20
	v_ashrrev_i32_e32 v3, 31, v2
	v_lshlrev_b64 v[4:5], 2, v[2:3]
	v_and_b32_e32 v3, 7, v0
	s_waitcnt lgkmcnt(0)
	v_lshl_add_u64 v[6:7], s[4:5], 0, v[4:5]
	s_cmp_eq_u64 s[6:7], 0
	global_load_dword v1, v[6:7], off
	v_lshl_add_u64 v[6:7], v[6:7], 0, 4
	v_lshl_add_u64 v[4:5], s[6:7], 0, v[4:5]
	s_cselect_b64 vcc, -1, 0
	v_cndmask_b32_e32 v5, v5, v7, vcc
	v_cndmask_b32_e32 v4, v4, v6, vcc
	global_load_dword v4, v[4:5], off
	s_load_dwordx2 s[4:5], s[0:1], 0x40
	s_cmp_eq_u32 s19, 1
	s_waitcnt vmcnt(1)
	v_subrev_u32_e32 v0, s16, v1
	v_add_u32_e32 v0, v0, v3
	s_waitcnt vmcnt(0)
	v_subrev_u32_e32 v13, s16, v4
	v_mad_i64_i32 v[4:5], s[2:3], v0, 18, s[10:11]
	v_cmp_lt_i32_e64 s[2:3], v0, v13
	s_cbranch_scc1 .LBB91_19
; %bb.14:
	v_mov_b32_e32 v7, 0
	v_mov_b32_e32 v6, v7
	;; [unrolled: 1-line block ×3, first 2 shown]
	s_and_saveexec_b64 s[6:7], s[2:3]
	s_cbranch_execz .LBB91_18
; %bb.15:
	v_mov_b32_e32 v12, 0
	s_mov_b64 s[10:11], 0
	s_mov_b64 s[18:19], 0x90
	v_mov_b64_e32 v[8:9], v[4:5]
	v_mov_b32_e32 v10, v0
	v_mov_b32_e32 v6, 0
	;; [unrolled: 1-line block ×3, first 2 shown]
.LBB91_16:                              ; =>This Inner Loop Header: Depth=1
	v_ashrrev_i32_e32 v11, 31, v10
	v_lshl_add_u64 v[18:19], v[10:11], 2, s[8:9]
	global_load_dword v1, v[18:19], off
	global_load_dwordx4 v[14:17], v[8:9], off
	v_add_u32_e32 v10, 8, v10
	v_cmp_ge_i32_e32 vcc, v10, v13
	s_or_b64 s[10:11], vcc, s[10:11]
	s_waitcnt vmcnt(1)
	v_subrev_u32_e32 v1, s16, v1
	v_lshl_add_u32 v18, v1, 1, v1
	v_ashrrev_i32_e32 v19, 31, v18
	s_waitcnt lgkmcnt(0)
	v_lshl_add_u64 v[18:19], v[18:19], 1, s[4:5]
	global_load_dword v1, v[18:19], off
	global_load_ushort v11, v[18:19], off offset:4
	global_load_ushort v25, v[8:9], off offset:16
	s_waitcnt vmcnt(3)
	v_cvt_f32_f16_sdwa v19, v15 dst_sel:DWORD dst_unused:UNUSED_PAD src0_sel:WORD_1
	v_cvt_f32_f16_e32 v18, v14
	v_cvt_f32_f16_sdwa v20, v14 dst_sel:DWORD dst_unused:UNUSED_PAD src0_sel:WORD_1
	v_cvt_f32_f16_e32 v21, v16
	;; [unrolled: 2-line block ×3, first 2 shown]
	v_lshl_add_u64 v[8:9], v[8:9], 0, s[18:19]
	s_waitcnt vmcnt(2)
	v_cvt_f32_f16_e32 v14, v1
	v_cvt_f32_f16_sdwa v16, v1 dst_sel:DWORD dst_unused:UNUSED_PAD src0_sel:WORD_1
	s_waitcnt vmcnt(1)
	v_cvt_f32_f16_e32 v24, v11
	v_fma_mix_f32 v12, v17, v1, v12 op_sel_hi:[1,1,0]
	v_pk_fma_f32 v[6:7], v[18:19], v[14:15], v[6:7] op_sel_hi:[1,0,1]
	v_fma_mix_f32 v1, v17, v1, v12 op_sel:[1,1,0] op_sel_hi:[1,1,0]
	v_pk_fma_f32 v[6:7], v[20:21], v[16:17], v[6:7] op_sel_hi:[1,0,1]
	s_waitcnt vmcnt(0)
	v_fma_mix_f32 v12, v25, v11, v1 op_sel_hi:[1,1,0]
	v_pk_fma_f32 v[6:7], v[22:23], v[24:25], v[6:7] op_sel_hi:[1,0,1]
	s_andn2_b64 exec, exec, s[10:11]
	s_cbranch_execnz .LBB91_16
; %bb.17:
	s_or_b64 exec, exec, s[10:11]
.LBB91_18:
	s_or_b64 exec, exec, s[6:7]
	s_cbranch_execz .LBB91_20
	s_branch .LBB91_25
.LBB91_19:
                                        ; implicit-def: $vgpr7
                                        ; implicit-def: $vgpr12
.LBB91_20:
	v_mov_b32_e32 v7, 0
	v_mov_b32_e32 v6, v7
	;; [unrolled: 1-line block ×3, first 2 shown]
	s_and_saveexec_b64 s[6:7], s[2:3]
	s_cbranch_execz .LBB91_24
; %bb.21:
	v_mov_b32_e32 v12, 0
	s_mov_b64 s[2:3], 0
	s_mov_b64 s[10:11], 0x90
	v_mov_b32_e32 v6, 0
	v_mov_b32_e32 v7, v12
.LBB91_22:                              ; =>This Inner Loop Header: Depth=1
	v_ashrrev_i32_e32 v1, 31, v0
	v_lshl_add_u64 v[14:15], v[0:1], 2, s[8:9]
	global_load_dword v1, v[14:15], off
	global_load_dwordx4 v[8:11], v[4:5], off
	v_add_u32_e32 v0, 8, v0
	v_cmp_ge_i32_e32 vcc, v0, v13
	s_or_b64 s[2:3], vcc, s[2:3]
	s_waitcnt vmcnt(1)
	v_subrev_u32_e32 v1, s16, v1
	v_lshl_add_u32 v14, v1, 1, v1
	v_ashrrev_i32_e32 v15, 31, v14
	s_waitcnt lgkmcnt(0)
	v_lshl_add_u64 v[14:15], v[14:15], 1, s[4:5]
	global_load_dword v1, v[14:15], off
	global_load_ushort v21, v[14:15], off offset:4
	global_load_ushort v23, v[4:5], off offset:16
	s_waitcnt vmcnt(3)
	v_cvt_f32_f16_sdwa v15, v8 dst_sel:DWORD dst_unused:UNUSED_PAD src0_sel:WORD_1
	v_cvt_f32_f16_e32 v14, v8
	v_cvt_f32_f16_sdwa v16, v9 dst_sel:DWORD dst_unused:UNUSED_PAD src0_sel:WORD_1
	v_cvt_f32_f16_e32 v17, v10
	;; [unrolled: 2-line block ×3, first 2 shown]
	v_lshl_add_u64 v[4:5], v[4:5], 0, s[10:11]
	s_waitcnt vmcnt(2)
	v_cvt_f32_f16_e32 v8, v1
	v_cvt_f32_f16_sdwa v20, v1 dst_sel:DWORD dst_unused:UNUSED_PAD src0_sel:WORD_1
	s_waitcnt vmcnt(1)
	v_cvt_f32_f16_e32 v22, v21
	v_fma_mix_f32 v9, v9, v1, v12 op_sel_hi:[1,1,0]
	s_nop 0
	v_pk_fma_f32 v[6:7], v[14:15], v[8:9], v[6:7] op_sel_hi:[1,0,1]
	v_fma_mix_f32 v1, v10, v1, v9 op_sel:[1,1,0] op_sel_hi:[1,1,0]
	v_pk_fma_f32 v[6:7], v[16:17], v[20:21], v[6:7] op_sel_hi:[1,0,1]
	s_waitcnt vmcnt(0)
	v_fma_mix_f32 v12, v23, v21, v1 op_sel_hi:[1,1,0]
	v_pk_fma_f32 v[6:7], v[18:19], v[22:23], v[6:7] op_sel_hi:[1,0,1]
	s_andn2_b64 exec, exec, s[2:3]
	s_cbranch_execnz .LBB91_22
; %bb.23:
	s_or_b64 exec, exec, s[2:3]
.LBB91_24:
	s_or_b64 exec, exec, s[6:7]
.LBB91_25:
	v_mov_b32_dpp v0, v6 row_shr:1 row_mask:0xf bank_mask:0xf
	v_mov_b32_dpp v1, v7 row_shr:1 row_mask:0xf bank_mask:0xf
	v_pk_add_f32 v[0:1], v[6:7], v[0:1]
	v_mov_b32_dpp v6, v12 row_shr:1 row_mask:0xf bank_mask:0xf
	v_add_f32_e32 v6, v12, v6
	v_mov_b32_dpp v4, v0 row_shr:2 row_mask:0xf bank_mask:0xf
	v_mov_b32_dpp v5, v1 row_shr:2 row_mask:0xf bank_mask:0xf
	v_mov_b32_dpp v7, v6 row_shr:2 row_mask:0xf bank_mask:0xf
	v_pk_add_f32 v[0:1], v[0:1], v[4:5]
	v_add_f32_e32 v6, v6, v7
	v_cmp_eq_u32_e32 vcc, 7, v3
	v_mov_b32_dpp v4, v0 row_shr:4 row_mask:0xf bank_mask:0xe
	v_mov_b32_dpp v5, v1 row_shr:4 row_mask:0xf bank_mask:0xe
	;; [unrolled: 1-line block ×3, first 2 shown]
	s_and_b64 exec, exec, vcc
	s_cbranch_execz .LBB91_10
; %bb.26:
	s_load_dwordx2 s[0:1], s[0:1], 0x50
	v_pk_add_f32 v[4:5], v[0:1], v[4:5]
	v_add_f32_e32 v0, v6, v7
	v_cmp_eq_f32_e64 s[2:3], s14, 0
	v_lshl_add_u32 v6, v2, 1, v2
	s_and_b64 vcc, exec, s[2:3]
	v_mul_f32_e32 v2, s12, v0
	v_ashrrev_i32_e32 v7, 31, v6
	s_cbranch_vccz .LBB91_28
; %bb.27:
	s_waitcnt lgkmcnt(0)
	v_lshl_add_u64 v[8:9], v[6:7], 2, s[0:1]
	v_pk_mul_f32 v[0:1], s[12:13], v[4:5] op_sel_hi:[0,1]
	global_store_dwordx3 v[8:9], v[0:2], off
	s_cbranch_execnz .LBB91_10
	s_branch .LBB91_29
.LBB91_28:
.LBB91_29:
	s_waitcnt lgkmcnt(0)
	v_lshl_add_u64 v[10:11], v[6:7], 2, s[0:1]
	global_load_dwordx3 v[6:8], v[10:11], off
	v_pk_mul_f32 v[0:1], s[12:13], v[4:5] op_sel_hi:[0,1]
	s_waitcnt vmcnt(0)
	v_pk_fma_f32 v[0:1], s[14:15], v[6:7], v[0:1] op_sel_hi:[0,1,1]
	v_fmac_f32_e32 v2, s14, v8
	global_store_dwordx3 v[10:11], v[0:2], off
	s_endpgm
	.section	.rodata,"a",@progbits
	.p2align	6, 0x0
	.amdhsa_kernel _ZN9rocsparseL18bsrxmvn_3x3_kernelILj256ELj8EfiiDF16_DF16_fEEvT3_20rocsparse_direction_NS_24const_host_device_scalarIT1_EES1_PKS1_PKT2_SA_S7_PKT4_PKT5_S5_PT6_21rocsparse_index_base_b
		.amdhsa_group_segment_fixed_size 0
		.amdhsa_private_segment_fixed_size 0
		.amdhsa_kernarg_size 96
		.amdhsa_user_sgpr_count 2
		.amdhsa_user_sgpr_dispatch_ptr 0
		.amdhsa_user_sgpr_queue_ptr 0
		.amdhsa_user_sgpr_kernarg_segment_ptr 1
		.amdhsa_user_sgpr_dispatch_id 0
		.amdhsa_user_sgpr_kernarg_preload_length 0
		.amdhsa_user_sgpr_kernarg_preload_offset 0
		.amdhsa_user_sgpr_private_segment_size 0
		.amdhsa_uses_dynamic_stack 0
		.amdhsa_enable_private_segment 0
		.amdhsa_system_sgpr_workgroup_id_x 1
		.amdhsa_system_sgpr_workgroup_id_y 0
		.amdhsa_system_sgpr_workgroup_id_z 0
		.amdhsa_system_sgpr_workgroup_info 0
		.amdhsa_system_vgpr_workitem_id 0
		.amdhsa_next_free_vgpr 26
		.amdhsa_next_free_sgpr 20
		.amdhsa_accum_offset 28
		.amdhsa_reserve_vcc 1
		.amdhsa_float_round_mode_32 0
		.amdhsa_float_round_mode_16_64 0
		.amdhsa_float_denorm_mode_32 3
		.amdhsa_float_denorm_mode_16_64 3
		.amdhsa_dx10_clamp 1
		.amdhsa_ieee_mode 1
		.amdhsa_fp16_overflow 0
		.amdhsa_tg_split 0
		.amdhsa_exception_fp_ieee_invalid_op 0
		.amdhsa_exception_fp_denorm_src 0
		.amdhsa_exception_fp_ieee_div_zero 0
		.amdhsa_exception_fp_ieee_overflow 0
		.amdhsa_exception_fp_ieee_underflow 0
		.amdhsa_exception_fp_ieee_inexact 0
		.amdhsa_exception_int_div_zero 0
	.end_amdhsa_kernel
	.section	.text._ZN9rocsparseL18bsrxmvn_3x3_kernelILj256ELj8EfiiDF16_DF16_fEEvT3_20rocsparse_direction_NS_24const_host_device_scalarIT1_EES1_PKS1_PKT2_SA_S7_PKT4_PKT5_S5_PT6_21rocsparse_index_base_b,"axG",@progbits,_ZN9rocsparseL18bsrxmvn_3x3_kernelILj256ELj8EfiiDF16_DF16_fEEvT3_20rocsparse_direction_NS_24const_host_device_scalarIT1_EES1_PKS1_PKT2_SA_S7_PKT4_PKT5_S5_PT6_21rocsparse_index_base_b,comdat
.Lfunc_end91:
	.size	_ZN9rocsparseL18bsrxmvn_3x3_kernelILj256ELj8EfiiDF16_DF16_fEEvT3_20rocsparse_direction_NS_24const_host_device_scalarIT1_EES1_PKS1_PKT2_SA_S7_PKT4_PKT5_S5_PT6_21rocsparse_index_base_b, .Lfunc_end91-_ZN9rocsparseL18bsrxmvn_3x3_kernelILj256ELj8EfiiDF16_DF16_fEEvT3_20rocsparse_direction_NS_24const_host_device_scalarIT1_EES1_PKS1_PKT2_SA_S7_PKT4_PKT5_S5_PT6_21rocsparse_index_base_b
                                        ; -- End function
	.section	.AMDGPU.csdata,"",@progbits
; Kernel info:
; codeLenInByte = 1228
; NumSgprs: 26
; NumVgprs: 26
; NumAgprs: 0
; TotalNumVgprs: 26
; ScratchSize: 0
; MemoryBound: 0
; FloatMode: 240
; IeeeMode: 1
; LDSByteSize: 0 bytes/workgroup (compile time only)
; SGPRBlocks: 3
; VGPRBlocks: 3
; NumSGPRsForWavesPerEU: 26
; NumVGPRsForWavesPerEU: 26
; AccumOffset: 28
; Occupancy: 8
; WaveLimiterHint : 1
; COMPUTE_PGM_RSRC2:SCRATCH_EN: 0
; COMPUTE_PGM_RSRC2:USER_SGPR: 2
; COMPUTE_PGM_RSRC2:TRAP_HANDLER: 0
; COMPUTE_PGM_RSRC2:TGID_X_EN: 1
; COMPUTE_PGM_RSRC2:TGID_Y_EN: 0
; COMPUTE_PGM_RSRC2:TGID_Z_EN: 0
; COMPUTE_PGM_RSRC2:TIDIG_COMP_CNT: 0
; COMPUTE_PGM_RSRC3_GFX90A:ACCUM_OFFSET: 6
; COMPUTE_PGM_RSRC3_GFX90A:TG_SPLIT: 0
	.section	.text._ZN9rocsparseL18bsrxmvn_3x3_kernelILj256ELj16EfiiDF16_DF16_fEEvT3_20rocsparse_direction_NS_24const_host_device_scalarIT1_EES1_PKS1_PKT2_SA_S7_PKT4_PKT5_S5_PT6_21rocsparse_index_base_b,"axG",@progbits,_ZN9rocsparseL18bsrxmvn_3x3_kernelILj256ELj16EfiiDF16_DF16_fEEvT3_20rocsparse_direction_NS_24const_host_device_scalarIT1_EES1_PKS1_PKT2_SA_S7_PKT4_PKT5_S5_PT6_21rocsparse_index_base_b,comdat
	.globl	_ZN9rocsparseL18bsrxmvn_3x3_kernelILj256ELj16EfiiDF16_DF16_fEEvT3_20rocsparse_direction_NS_24const_host_device_scalarIT1_EES1_PKS1_PKT2_SA_S7_PKT4_PKT5_S5_PT6_21rocsparse_index_base_b ; -- Begin function _ZN9rocsparseL18bsrxmvn_3x3_kernelILj256ELj16EfiiDF16_DF16_fEEvT3_20rocsparse_direction_NS_24const_host_device_scalarIT1_EES1_PKS1_PKT2_SA_S7_PKT4_PKT5_S5_PT6_21rocsparse_index_base_b
	.p2align	8
	.type	_ZN9rocsparseL18bsrxmvn_3x3_kernelILj256ELj16EfiiDF16_DF16_fEEvT3_20rocsparse_direction_NS_24const_host_device_scalarIT1_EES1_PKS1_PKT2_SA_S7_PKT4_PKT5_S5_PT6_21rocsparse_index_base_b,@function
_ZN9rocsparseL18bsrxmvn_3x3_kernelILj256ELj16EfiiDF16_DF16_fEEvT3_20rocsparse_direction_NS_24const_host_device_scalarIT1_EES1_PKS1_PKT2_SA_S7_PKT4_PKT5_S5_PT6_21rocsparse_index_base_b: ; @_ZN9rocsparseL18bsrxmvn_3x3_kernelILj256ELj16EfiiDF16_DF16_fEEvT3_20rocsparse_direction_NS_24const_host_device_scalarIT1_EES1_PKS1_PKT2_SA_S7_PKT4_PKT5_S5_PT6_21rocsparse_index_base_b
; %bb.0:
	s_load_dwordx2 s[16:17], s[0:1], 0x58
	s_load_dwordx2 s[12:13], s[0:1], 0x8
	;; [unrolled: 1-line block ×3, first 2 shown]
	s_waitcnt lgkmcnt(0)
	s_bitcmp1_b32 s17, 0
	s_cselect_b64 s[6:7], -1, 0
	s_xor_b64 s[4:5], s[6:7], -1
	s_and_b64 vcc, exec, s[6:7]
	s_cbranch_vccnz .LBB92_2
; %bb.1:
	s_load_dword s12, s[12:13], 0x0
.LBB92_2:
	s_andn2_b64 vcc, exec, s[4:5]
	s_cbranch_vccnz .LBB92_4
; %bb.3:
	s_load_dword s14, s[14:15], 0x0
.LBB92_4:
	s_waitcnt lgkmcnt(0)
	v_cmp_neq_f32_e64 s[4:5], s12, 0
	v_cmp_neq_f32_e64 s[6:7], s14, 1.0
	s_or_b64 s[4:5], s[4:5], s[6:7]
	s_andn2_b64 vcc, exec, s[4:5]
	s_cbranch_vccnz .LBB92_10
; %bb.5:
	s_load_dwordx2 s[4:5], s[0:1], 0x18
	s_load_dwordx2 s[18:19], s[0:1], 0x0
	v_lshrrev_b32_e32 v1, 4, v0
	v_lshl_or_b32 v2, s2, 4, v1
	s_mov_b64 s[2:3], 0
	s_waitcnt lgkmcnt(0)
	s_cmp_lg_u64 s[4:5], 0
	s_cbranch_scc0 .LBB92_11
; %bb.6:
	s_load_dword s6, s[0:1], 0x10
                                        ; implicit-def: $vgpr1
	s_waitcnt lgkmcnt(0)
	v_cmp_gt_i32_e32 vcc, s6, v2
	s_and_saveexec_b64 s[6:7], vcc
	s_xor_b64 s[6:7], exec, s[6:7]
	s_cbranch_execz .LBB92_8
; %bb.7:
	v_ashrrev_i32_e32 v3, 31, v2
	v_lshl_add_u64 v[4:5], v[2:3], 2, s[4:5]
	global_load_dword v1, v[4:5], off
	s_mov_b64 s[2:3], exec
	s_waitcnt vmcnt(0)
	v_subrev_u32_e32 v1, s16, v1
.LBB92_8:
	s_or_b64 exec, exec, s[6:7]
	s_branch .LBB92_12
.LBB92_9:
	v_cmp_gt_i32_e32 vcc, s18, v2
	s_andn2_b64 s[2:3], s[2:3], exec
	s_and_b64 s[4:5], vcc, exec
	s_or_b64 s[2:3], s[2:3], s[4:5]
	s_and_saveexec_b64 s[4:5], s[2:3]
	s_cbranch_execnz .LBB92_13
.LBB92_10:
	s_endpgm
.LBB92_11:
                                        ; implicit-def: $vgpr1
	s_cbranch_execnz .LBB92_9
.LBB92_12:
	v_mov_b32_e32 v2, v1
	s_and_saveexec_b64 s[4:5], s[2:3]
	s_cbranch_execz .LBB92_10
.LBB92_13:
	s_load_dwordx8 s[4:11], s[0:1], 0x20
	v_ashrrev_i32_e32 v3, 31, v2
	v_lshlrev_b64 v[4:5], 2, v[2:3]
	v_and_b32_e32 v3, 15, v0
	s_waitcnt lgkmcnt(0)
	v_lshl_add_u64 v[6:7], s[4:5], 0, v[4:5]
	s_cmp_eq_u64 s[6:7], 0
	global_load_dword v1, v[6:7], off
	v_lshl_add_u64 v[6:7], v[6:7], 0, 4
	v_lshl_add_u64 v[4:5], s[6:7], 0, v[4:5]
	s_cselect_b64 vcc, -1, 0
	v_cndmask_b32_e32 v5, v5, v7, vcc
	v_cndmask_b32_e32 v4, v4, v6, vcc
	global_load_dword v4, v[4:5], off
	s_load_dwordx2 s[4:5], s[0:1], 0x40
	s_cmp_eq_u32 s19, 1
	s_waitcnt vmcnt(1)
	v_subrev_u32_e32 v0, s16, v1
	v_add_u32_e32 v0, v0, v3
	s_waitcnt vmcnt(0)
	v_subrev_u32_e32 v13, s16, v4
	v_mad_i64_i32 v[4:5], s[2:3], v0, 18, s[10:11]
	v_cmp_lt_i32_e64 s[2:3], v0, v13
	s_cbranch_scc1 .LBB92_19
; %bb.14:
	v_mov_b32_e32 v7, 0
	v_mov_b32_e32 v6, v7
	;; [unrolled: 1-line block ×3, first 2 shown]
	s_and_saveexec_b64 s[6:7], s[2:3]
	s_cbranch_execz .LBB92_18
; %bb.15:
	v_mov_b32_e32 v12, 0
	s_mov_b64 s[10:11], 0
	s_mov_b64 s[18:19], 0x120
	v_mov_b64_e32 v[8:9], v[4:5]
	v_mov_b32_e32 v10, v0
	v_mov_b32_e32 v6, 0
	;; [unrolled: 1-line block ×3, first 2 shown]
.LBB92_16:                              ; =>This Inner Loop Header: Depth=1
	v_ashrrev_i32_e32 v11, 31, v10
	v_lshl_add_u64 v[18:19], v[10:11], 2, s[8:9]
	global_load_dword v1, v[18:19], off
	global_load_dwordx4 v[14:17], v[8:9], off
	v_add_u32_e32 v10, 16, v10
	v_cmp_ge_i32_e32 vcc, v10, v13
	s_or_b64 s[10:11], vcc, s[10:11]
	s_waitcnt vmcnt(1)
	v_subrev_u32_e32 v1, s16, v1
	v_lshl_add_u32 v18, v1, 1, v1
	v_ashrrev_i32_e32 v19, 31, v18
	s_waitcnt lgkmcnt(0)
	v_lshl_add_u64 v[18:19], v[18:19], 1, s[4:5]
	global_load_dword v1, v[18:19], off
	global_load_ushort v11, v[18:19], off offset:4
	global_load_ushort v25, v[8:9], off offset:16
	s_waitcnt vmcnt(3)
	v_cvt_f32_f16_sdwa v19, v15 dst_sel:DWORD dst_unused:UNUSED_PAD src0_sel:WORD_1
	v_cvt_f32_f16_e32 v18, v14
	v_cvt_f32_f16_sdwa v20, v14 dst_sel:DWORD dst_unused:UNUSED_PAD src0_sel:WORD_1
	v_cvt_f32_f16_e32 v21, v16
	;; [unrolled: 2-line block ×3, first 2 shown]
	v_lshl_add_u64 v[8:9], v[8:9], 0, s[18:19]
	s_waitcnt vmcnt(2)
	v_cvt_f32_f16_e32 v14, v1
	v_cvt_f32_f16_sdwa v16, v1 dst_sel:DWORD dst_unused:UNUSED_PAD src0_sel:WORD_1
	s_waitcnt vmcnt(1)
	v_cvt_f32_f16_e32 v24, v11
	v_fma_mix_f32 v12, v17, v1, v12 op_sel_hi:[1,1,0]
	v_pk_fma_f32 v[6:7], v[18:19], v[14:15], v[6:7] op_sel_hi:[1,0,1]
	v_fma_mix_f32 v1, v17, v1, v12 op_sel:[1,1,0] op_sel_hi:[1,1,0]
	v_pk_fma_f32 v[6:7], v[20:21], v[16:17], v[6:7] op_sel_hi:[1,0,1]
	s_waitcnt vmcnt(0)
	v_fma_mix_f32 v12, v25, v11, v1 op_sel_hi:[1,1,0]
	v_pk_fma_f32 v[6:7], v[22:23], v[24:25], v[6:7] op_sel_hi:[1,0,1]
	s_andn2_b64 exec, exec, s[10:11]
	s_cbranch_execnz .LBB92_16
; %bb.17:
	s_or_b64 exec, exec, s[10:11]
.LBB92_18:
	s_or_b64 exec, exec, s[6:7]
	s_cbranch_execz .LBB92_20
	s_branch .LBB92_25
.LBB92_19:
                                        ; implicit-def: $vgpr7
                                        ; implicit-def: $vgpr12
.LBB92_20:
	v_mov_b32_e32 v7, 0
	v_mov_b32_e32 v6, v7
	;; [unrolled: 1-line block ×3, first 2 shown]
	s_and_saveexec_b64 s[6:7], s[2:3]
	s_cbranch_execz .LBB92_24
; %bb.21:
	v_mov_b32_e32 v12, 0
	s_mov_b64 s[2:3], 0
	s_mov_b64 s[10:11], 0x120
	v_mov_b32_e32 v6, 0
	v_mov_b32_e32 v7, v12
.LBB92_22:                              ; =>This Inner Loop Header: Depth=1
	v_ashrrev_i32_e32 v1, 31, v0
	v_lshl_add_u64 v[14:15], v[0:1], 2, s[8:9]
	global_load_dword v1, v[14:15], off
	global_load_dwordx4 v[8:11], v[4:5], off
	v_add_u32_e32 v0, 16, v0
	v_cmp_ge_i32_e32 vcc, v0, v13
	s_or_b64 s[2:3], vcc, s[2:3]
	s_waitcnt vmcnt(1)
	v_subrev_u32_e32 v1, s16, v1
	v_lshl_add_u32 v14, v1, 1, v1
	v_ashrrev_i32_e32 v15, 31, v14
	s_waitcnt lgkmcnt(0)
	v_lshl_add_u64 v[14:15], v[14:15], 1, s[4:5]
	global_load_dword v1, v[14:15], off
	global_load_ushort v21, v[14:15], off offset:4
	global_load_ushort v23, v[4:5], off offset:16
	s_waitcnt vmcnt(3)
	v_cvt_f32_f16_sdwa v15, v8 dst_sel:DWORD dst_unused:UNUSED_PAD src0_sel:WORD_1
	v_cvt_f32_f16_e32 v14, v8
	v_cvt_f32_f16_sdwa v16, v9 dst_sel:DWORD dst_unused:UNUSED_PAD src0_sel:WORD_1
	v_cvt_f32_f16_e32 v17, v10
	;; [unrolled: 2-line block ×3, first 2 shown]
	v_lshl_add_u64 v[4:5], v[4:5], 0, s[10:11]
	s_waitcnt vmcnt(2)
	v_cvt_f32_f16_e32 v8, v1
	v_cvt_f32_f16_sdwa v20, v1 dst_sel:DWORD dst_unused:UNUSED_PAD src0_sel:WORD_1
	s_waitcnt vmcnt(1)
	v_cvt_f32_f16_e32 v22, v21
	v_fma_mix_f32 v9, v9, v1, v12 op_sel_hi:[1,1,0]
	s_nop 0
	v_pk_fma_f32 v[6:7], v[14:15], v[8:9], v[6:7] op_sel_hi:[1,0,1]
	v_fma_mix_f32 v1, v10, v1, v9 op_sel:[1,1,0] op_sel_hi:[1,1,0]
	v_pk_fma_f32 v[6:7], v[16:17], v[20:21], v[6:7] op_sel_hi:[1,0,1]
	s_waitcnt vmcnt(0)
	v_fma_mix_f32 v12, v23, v21, v1 op_sel_hi:[1,1,0]
	v_pk_fma_f32 v[6:7], v[18:19], v[22:23], v[6:7] op_sel_hi:[1,0,1]
	s_andn2_b64 exec, exec, s[2:3]
	s_cbranch_execnz .LBB92_22
; %bb.23:
	s_or_b64 exec, exec, s[2:3]
.LBB92_24:
	s_or_b64 exec, exec, s[6:7]
.LBB92_25:
	v_mov_b32_dpp v0, v6 row_shr:1 row_mask:0xf bank_mask:0xf
	v_mov_b32_dpp v1, v7 row_shr:1 row_mask:0xf bank_mask:0xf
	v_pk_add_f32 v[0:1], v[6:7], v[0:1]
	v_mov_b32_dpp v6, v12 row_shr:1 row_mask:0xf bank_mask:0xf
	v_add_f32_e32 v6, v12, v6
	v_mov_b32_dpp v4, v0 row_shr:2 row_mask:0xf bank_mask:0xf
	v_mov_b32_dpp v5, v1 row_shr:2 row_mask:0xf bank_mask:0xf
	;; [unrolled: 1-line block ×3, first 2 shown]
	v_pk_add_f32 v[0:1], v[0:1], v[4:5]
	v_add_f32_e32 v6, v6, v7
	v_cmp_eq_u32_e32 vcc, 15, v3
	v_mov_b32_dpp v4, v0 row_shr:4 row_mask:0xf bank_mask:0xe
	v_mov_b32_dpp v5, v1 row_shr:4 row_mask:0xf bank_mask:0xe
	;; [unrolled: 1-line block ×3, first 2 shown]
	v_pk_add_f32 v[0:1], v[0:1], v[4:5]
	v_add_f32_e32 v6, v6, v7
	s_nop 0
	v_mov_b32_dpp v4, v0 row_shr:8 row_mask:0xf bank_mask:0xc
	v_mov_b32_dpp v5, v1 row_shr:8 row_mask:0xf bank_mask:0xc
	;; [unrolled: 1-line block ×3, first 2 shown]
	s_and_b64 exec, exec, vcc
	s_cbranch_execz .LBB92_10
; %bb.26:
	s_load_dwordx2 s[0:1], s[0:1], 0x50
	v_pk_add_f32 v[4:5], v[0:1], v[4:5]
	v_add_f32_e32 v0, v6, v7
	v_cmp_eq_f32_e64 s[2:3], s14, 0
	v_lshl_add_u32 v6, v2, 1, v2
	s_and_b64 vcc, exec, s[2:3]
	v_mul_f32_e32 v2, s12, v0
	v_ashrrev_i32_e32 v7, 31, v6
	s_cbranch_vccz .LBB92_28
; %bb.27:
	s_waitcnt lgkmcnt(0)
	v_lshl_add_u64 v[8:9], v[6:7], 2, s[0:1]
	v_pk_mul_f32 v[0:1], s[12:13], v[4:5] op_sel_hi:[0,1]
	global_store_dwordx3 v[8:9], v[0:2], off
	s_cbranch_execnz .LBB92_10
	s_branch .LBB92_29
.LBB92_28:
.LBB92_29:
	s_waitcnt lgkmcnt(0)
	v_lshl_add_u64 v[10:11], v[6:7], 2, s[0:1]
	global_load_dwordx3 v[6:8], v[10:11], off
	v_pk_mul_f32 v[0:1], s[12:13], v[4:5] op_sel_hi:[0,1]
	s_waitcnt vmcnt(0)
	v_pk_fma_f32 v[0:1], s[14:15], v[6:7], v[0:1] op_sel_hi:[0,1,1]
	v_fmac_f32_e32 v2, s14, v8
	global_store_dwordx3 v[10:11], v[0:2], off
	s_endpgm
	.section	.rodata,"a",@progbits
	.p2align	6, 0x0
	.amdhsa_kernel _ZN9rocsparseL18bsrxmvn_3x3_kernelILj256ELj16EfiiDF16_DF16_fEEvT3_20rocsparse_direction_NS_24const_host_device_scalarIT1_EES1_PKS1_PKT2_SA_S7_PKT4_PKT5_S5_PT6_21rocsparse_index_base_b
		.amdhsa_group_segment_fixed_size 0
		.amdhsa_private_segment_fixed_size 0
		.amdhsa_kernarg_size 96
		.amdhsa_user_sgpr_count 2
		.amdhsa_user_sgpr_dispatch_ptr 0
		.amdhsa_user_sgpr_queue_ptr 0
		.amdhsa_user_sgpr_kernarg_segment_ptr 1
		.amdhsa_user_sgpr_dispatch_id 0
		.amdhsa_user_sgpr_kernarg_preload_length 0
		.amdhsa_user_sgpr_kernarg_preload_offset 0
		.amdhsa_user_sgpr_private_segment_size 0
		.amdhsa_uses_dynamic_stack 0
		.amdhsa_enable_private_segment 0
		.amdhsa_system_sgpr_workgroup_id_x 1
		.amdhsa_system_sgpr_workgroup_id_y 0
		.amdhsa_system_sgpr_workgroup_id_z 0
		.amdhsa_system_sgpr_workgroup_info 0
		.amdhsa_system_vgpr_workitem_id 0
		.amdhsa_next_free_vgpr 26
		.amdhsa_next_free_sgpr 20
		.amdhsa_accum_offset 28
		.amdhsa_reserve_vcc 1
		.amdhsa_float_round_mode_32 0
		.amdhsa_float_round_mode_16_64 0
		.amdhsa_float_denorm_mode_32 3
		.amdhsa_float_denorm_mode_16_64 3
		.amdhsa_dx10_clamp 1
		.amdhsa_ieee_mode 1
		.amdhsa_fp16_overflow 0
		.amdhsa_tg_split 0
		.amdhsa_exception_fp_ieee_invalid_op 0
		.amdhsa_exception_fp_denorm_src 0
		.amdhsa_exception_fp_ieee_div_zero 0
		.amdhsa_exception_fp_ieee_overflow 0
		.amdhsa_exception_fp_ieee_underflow 0
		.amdhsa_exception_fp_ieee_inexact 0
		.amdhsa_exception_int_div_zero 0
	.end_amdhsa_kernel
	.section	.text._ZN9rocsparseL18bsrxmvn_3x3_kernelILj256ELj16EfiiDF16_DF16_fEEvT3_20rocsparse_direction_NS_24const_host_device_scalarIT1_EES1_PKS1_PKT2_SA_S7_PKT4_PKT5_S5_PT6_21rocsparse_index_base_b,"axG",@progbits,_ZN9rocsparseL18bsrxmvn_3x3_kernelILj256ELj16EfiiDF16_DF16_fEEvT3_20rocsparse_direction_NS_24const_host_device_scalarIT1_EES1_PKS1_PKT2_SA_S7_PKT4_PKT5_S5_PT6_21rocsparse_index_base_b,comdat
.Lfunc_end92:
	.size	_ZN9rocsparseL18bsrxmvn_3x3_kernelILj256ELj16EfiiDF16_DF16_fEEvT3_20rocsparse_direction_NS_24const_host_device_scalarIT1_EES1_PKS1_PKT2_SA_S7_PKT4_PKT5_S5_PT6_21rocsparse_index_base_b, .Lfunc_end92-_ZN9rocsparseL18bsrxmvn_3x3_kernelILj256ELj16EfiiDF16_DF16_fEEvT3_20rocsparse_direction_NS_24const_host_device_scalarIT1_EES1_PKS1_PKT2_SA_S7_PKT4_PKT5_S5_PT6_21rocsparse_index_base_b
                                        ; -- End function
	.section	.AMDGPU.csdata,"",@progbits
; Kernel info:
; codeLenInByte = 1268
; NumSgprs: 26
; NumVgprs: 26
; NumAgprs: 0
; TotalNumVgprs: 26
; ScratchSize: 0
; MemoryBound: 0
; FloatMode: 240
; IeeeMode: 1
; LDSByteSize: 0 bytes/workgroup (compile time only)
; SGPRBlocks: 3
; VGPRBlocks: 3
; NumSGPRsForWavesPerEU: 26
; NumVGPRsForWavesPerEU: 26
; AccumOffset: 28
; Occupancy: 8
; WaveLimiterHint : 1
; COMPUTE_PGM_RSRC2:SCRATCH_EN: 0
; COMPUTE_PGM_RSRC2:USER_SGPR: 2
; COMPUTE_PGM_RSRC2:TRAP_HANDLER: 0
; COMPUTE_PGM_RSRC2:TGID_X_EN: 1
; COMPUTE_PGM_RSRC2:TGID_Y_EN: 0
; COMPUTE_PGM_RSRC2:TGID_Z_EN: 0
; COMPUTE_PGM_RSRC2:TIDIG_COMP_CNT: 0
; COMPUTE_PGM_RSRC3_GFX90A:ACCUM_OFFSET: 6
; COMPUTE_PGM_RSRC3_GFX90A:TG_SPLIT: 0
	.section	.text._ZN9rocsparseL18bsrxmvn_3x3_kernelILj256ELj32EfiiDF16_DF16_fEEvT3_20rocsparse_direction_NS_24const_host_device_scalarIT1_EES1_PKS1_PKT2_SA_S7_PKT4_PKT5_S5_PT6_21rocsparse_index_base_b,"axG",@progbits,_ZN9rocsparseL18bsrxmvn_3x3_kernelILj256ELj32EfiiDF16_DF16_fEEvT3_20rocsparse_direction_NS_24const_host_device_scalarIT1_EES1_PKS1_PKT2_SA_S7_PKT4_PKT5_S5_PT6_21rocsparse_index_base_b,comdat
	.globl	_ZN9rocsparseL18bsrxmvn_3x3_kernelILj256ELj32EfiiDF16_DF16_fEEvT3_20rocsparse_direction_NS_24const_host_device_scalarIT1_EES1_PKS1_PKT2_SA_S7_PKT4_PKT5_S5_PT6_21rocsparse_index_base_b ; -- Begin function _ZN9rocsparseL18bsrxmvn_3x3_kernelILj256ELj32EfiiDF16_DF16_fEEvT3_20rocsparse_direction_NS_24const_host_device_scalarIT1_EES1_PKS1_PKT2_SA_S7_PKT4_PKT5_S5_PT6_21rocsparse_index_base_b
	.p2align	8
	.type	_ZN9rocsparseL18bsrxmvn_3x3_kernelILj256ELj32EfiiDF16_DF16_fEEvT3_20rocsparse_direction_NS_24const_host_device_scalarIT1_EES1_PKS1_PKT2_SA_S7_PKT4_PKT5_S5_PT6_21rocsparse_index_base_b,@function
_ZN9rocsparseL18bsrxmvn_3x3_kernelILj256ELj32EfiiDF16_DF16_fEEvT3_20rocsparse_direction_NS_24const_host_device_scalarIT1_EES1_PKS1_PKT2_SA_S7_PKT4_PKT5_S5_PT6_21rocsparse_index_base_b: ; @_ZN9rocsparseL18bsrxmvn_3x3_kernelILj256ELj32EfiiDF16_DF16_fEEvT3_20rocsparse_direction_NS_24const_host_device_scalarIT1_EES1_PKS1_PKT2_SA_S7_PKT4_PKT5_S5_PT6_21rocsparse_index_base_b
; %bb.0:
	s_load_dwordx2 s[16:17], s[0:1], 0x58
	s_load_dwordx2 s[12:13], s[0:1], 0x8
	;; [unrolled: 1-line block ×3, first 2 shown]
	s_waitcnt lgkmcnt(0)
	s_bitcmp1_b32 s17, 0
	s_cselect_b64 s[6:7], -1, 0
	s_xor_b64 s[4:5], s[6:7], -1
	s_and_b64 vcc, exec, s[6:7]
	s_cbranch_vccnz .LBB93_2
; %bb.1:
	s_load_dword s12, s[12:13], 0x0
.LBB93_2:
	s_andn2_b64 vcc, exec, s[4:5]
	s_cbranch_vccnz .LBB93_4
; %bb.3:
	s_load_dword s14, s[14:15], 0x0
.LBB93_4:
	s_waitcnt lgkmcnt(0)
	v_cmp_neq_f32_e64 s[4:5], s12, 0
	v_cmp_neq_f32_e64 s[6:7], s14, 1.0
	s_or_b64 s[4:5], s[4:5], s[6:7]
	s_andn2_b64 vcc, exec, s[4:5]
	s_cbranch_vccnz .LBB93_10
; %bb.5:
	s_load_dwordx2 s[4:5], s[0:1], 0x18
	s_load_dwordx2 s[18:19], s[0:1], 0x0
	v_lshrrev_b32_e32 v1, 5, v0
	v_lshl_or_b32 v2, s2, 3, v1
	s_mov_b64 s[2:3], 0
	s_waitcnt lgkmcnt(0)
	s_cmp_lg_u64 s[4:5], 0
	s_cbranch_scc0 .LBB93_11
; %bb.6:
	s_load_dword s6, s[0:1], 0x10
                                        ; implicit-def: $vgpr1
	s_waitcnt lgkmcnt(0)
	v_cmp_gt_i32_e32 vcc, s6, v2
	s_and_saveexec_b64 s[6:7], vcc
	s_xor_b64 s[6:7], exec, s[6:7]
	s_cbranch_execz .LBB93_8
; %bb.7:
	v_ashrrev_i32_e32 v3, 31, v2
	v_lshl_add_u64 v[4:5], v[2:3], 2, s[4:5]
	global_load_dword v1, v[4:5], off
	s_mov_b64 s[2:3], exec
	s_waitcnt vmcnt(0)
	v_subrev_u32_e32 v1, s16, v1
.LBB93_8:
	s_or_b64 exec, exec, s[6:7]
	s_branch .LBB93_12
.LBB93_9:
	v_cmp_gt_i32_e32 vcc, s18, v2
	s_andn2_b64 s[2:3], s[2:3], exec
	s_and_b64 s[4:5], vcc, exec
	s_or_b64 s[2:3], s[2:3], s[4:5]
	s_and_saveexec_b64 s[4:5], s[2:3]
	s_cbranch_execnz .LBB93_13
.LBB93_10:
	s_endpgm
.LBB93_11:
                                        ; implicit-def: $vgpr1
	s_cbranch_execnz .LBB93_9
.LBB93_12:
	v_mov_b32_e32 v2, v1
	s_and_saveexec_b64 s[4:5], s[2:3]
	s_cbranch_execz .LBB93_10
.LBB93_13:
	s_load_dwordx8 s[4:11], s[0:1], 0x20
	v_ashrrev_i32_e32 v3, 31, v2
	v_lshlrev_b64 v[4:5], 2, v[2:3]
	v_and_b32_e32 v3, 31, v0
	s_waitcnt lgkmcnt(0)
	v_lshl_add_u64 v[6:7], s[4:5], 0, v[4:5]
	s_cmp_eq_u64 s[6:7], 0
	global_load_dword v1, v[6:7], off
	v_lshl_add_u64 v[6:7], v[6:7], 0, 4
	v_lshl_add_u64 v[4:5], s[6:7], 0, v[4:5]
	s_cselect_b64 vcc, -1, 0
	v_cndmask_b32_e32 v5, v5, v7, vcc
	v_cndmask_b32_e32 v4, v4, v6, vcc
	global_load_dword v4, v[4:5], off
	s_load_dwordx2 s[4:5], s[0:1], 0x40
	s_cmp_eq_u32 s19, 1
	s_waitcnt vmcnt(1)
	v_subrev_u32_e32 v0, s16, v1
	v_add_u32_e32 v0, v0, v3
	s_waitcnt vmcnt(0)
	v_subrev_u32_e32 v13, s16, v4
	v_mad_i64_i32 v[4:5], s[2:3], v0, 18, s[10:11]
	v_cmp_lt_i32_e64 s[2:3], v0, v13
	s_cbranch_scc1 .LBB93_19
; %bb.14:
	v_mov_b32_e32 v7, 0
	v_mov_b32_e32 v6, v7
	;; [unrolled: 1-line block ×3, first 2 shown]
	s_and_saveexec_b64 s[6:7], s[2:3]
	s_cbranch_execz .LBB93_18
; %bb.15:
	v_mov_b32_e32 v12, 0
	s_mov_b64 s[10:11], 0
	s_mov_b64 s[18:19], 0x240
	v_mov_b64_e32 v[8:9], v[4:5]
	v_mov_b32_e32 v10, v0
	v_mov_b32_e32 v7, 0
	;; [unrolled: 1-line block ×3, first 2 shown]
.LBB93_16:                              ; =>This Inner Loop Header: Depth=1
	v_ashrrev_i32_e32 v11, 31, v10
	v_lshl_add_u64 v[18:19], v[10:11], 2, s[8:9]
	global_load_dword v1, v[18:19], off
	global_load_dwordx4 v[14:17], v[8:9], off
	v_add_u32_e32 v10, 32, v10
	v_cmp_ge_i32_e32 vcc, v10, v13
	s_or_b64 s[10:11], vcc, s[10:11]
	s_waitcnt vmcnt(1)
	v_subrev_u32_e32 v1, s16, v1
	v_lshl_add_u32 v18, v1, 1, v1
	v_ashrrev_i32_e32 v19, 31, v18
	s_waitcnt lgkmcnt(0)
	v_lshl_add_u64 v[18:19], v[18:19], 1, s[4:5]
	global_load_dword v1, v[18:19], off
	global_load_ushort v11, v[18:19], off offset:4
	global_load_ushort v25, v[8:9], off offset:16
	s_waitcnt vmcnt(3)
	v_cvt_f32_f16_e32 v18, v14
	v_cvt_f32_f16_sdwa v19, v15 dst_sel:DWORD dst_unused:UNUSED_PAD src0_sel:WORD_1
	v_cvt_f32_f16_sdwa v20, v14 dst_sel:DWORD dst_unused:UNUSED_PAD src0_sel:WORD_1
	v_cvt_f32_f16_e32 v21, v16
	v_cvt_f32_f16_sdwa v23, v16 dst_sel:DWORD dst_unused:UNUSED_PAD src0_sel:WORD_1
	v_cvt_f32_f16_e32 v22, v15
	v_lshl_add_u64 v[8:9], v[8:9], 0, s[18:19]
	s_waitcnt vmcnt(2)
	v_cvt_f32_f16_e32 v14, v1
	v_cvt_f32_f16_sdwa v16, v1 dst_sel:DWORD dst_unused:UNUSED_PAD src0_sel:WORD_1
	s_waitcnt vmcnt(1)
	v_cvt_f32_f16_e32 v24, v11
	v_fma_mix_f32 v12, v17, v1, v12 op_sel_hi:[1,1,0]
	v_pk_fma_f32 v[6:7], v[18:19], v[14:15], v[6:7] op_sel_hi:[1,0,1]
	v_fma_mix_f32 v1, v17, v1, v12 op_sel:[1,1,0] op_sel_hi:[1,1,0]
	v_pk_fma_f32 v[6:7], v[20:21], v[16:17], v[6:7] op_sel_hi:[1,0,1]
	s_waitcnt vmcnt(0)
	v_fma_mix_f32 v12, v25, v11, v1 op_sel_hi:[1,1,0]
	v_pk_fma_f32 v[6:7], v[22:23], v[24:25], v[6:7] op_sel_hi:[1,0,1]
	s_andn2_b64 exec, exec, s[10:11]
	s_cbranch_execnz .LBB93_16
; %bb.17:
	s_or_b64 exec, exec, s[10:11]
.LBB93_18:
	s_or_b64 exec, exec, s[6:7]
	s_cbranch_execz .LBB93_20
	s_branch .LBB93_25
.LBB93_19:
                                        ; implicit-def: $vgpr7
                                        ; implicit-def: $vgpr12
.LBB93_20:
	v_mov_b32_e32 v7, 0
	v_mov_b32_e32 v6, v7
	;; [unrolled: 1-line block ×3, first 2 shown]
	s_and_saveexec_b64 s[6:7], s[2:3]
	s_cbranch_execz .LBB93_24
; %bb.21:
	v_mov_b32_e32 v12, 0
	s_mov_b64 s[2:3], 0
	s_mov_b64 s[10:11], 0x240
	v_mov_b32_e32 v7, 0
	v_mov_b32_e32 v6, v12
.LBB93_22:                              ; =>This Inner Loop Header: Depth=1
	v_ashrrev_i32_e32 v1, 31, v0
	v_lshl_add_u64 v[14:15], v[0:1], 2, s[8:9]
	global_load_dword v1, v[14:15], off
	global_load_dwordx4 v[8:11], v[4:5], off
	v_add_u32_e32 v0, 32, v0
	v_cmp_ge_i32_e32 vcc, v0, v13
	s_or_b64 s[2:3], vcc, s[2:3]
	s_waitcnt vmcnt(1)
	v_subrev_u32_e32 v1, s16, v1
	v_lshl_add_u32 v14, v1, 1, v1
	v_ashrrev_i32_e32 v15, 31, v14
	s_waitcnt lgkmcnt(0)
	v_lshl_add_u64 v[14:15], v[14:15], 1, s[4:5]
	global_load_dword v1, v[14:15], off
	global_load_ushort v21, v[14:15], off offset:4
	global_load_ushort v23, v[4:5], off offset:16
	s_waitcnt vmcnt(3)
	v_cvt_f32_f16_sdwa v15, v8 dst_sel:DWORD dst_unused:UNUSED_PAD src0_sel:WORD_1
	v_cvt_f32_f16_e32 v14, v8
	v_cvt_f32_f16_sdwa v16, v9 dst_sel:DWORD dst_unused:UNUSED_PAD src0_sel:WORD_1
	v_cvt_f32_f16_e32 v17, v10
	;; [unrolled: 2-line block ×3, first 2 shown]
	v_lshl_add_u64 v[4:5], v[4:5], 0, s[10:11]
	s_waitcnt vmcnt(2)
	v_cvt_f32_f16_e32 v8, v1
	v_cvt_f32_f16_sdwa v20, v1 dst_sel:DWORD dst_unused:UNUSED_PAD src0_sel:WORD_1
	s_waitcnt vmcnt(1)
	v_cvt_f32_f16_e32 v22, v21
	v_fma_mix_f32 v9, v9, v1, v12 op_sel_hi:[1,1,0]
	s_nop 0
	v_pk_fma_f32 v[6:7], v[14:15], v[8:9], v[6:7] op_sel_hi:[1,0,1]
	v_fma_mix_f32 v1, v10, v1, v9 op_sel:[1,1,0] op_sel_hi:[1,1,0]
	v_pk_fma_f32 v[6:7], v[16:17], v[20:21], v[6:7] op_sel_hi:[1,0,1]
	s_waitcnt vmcnt(0)
	v_fma_mix_f32 v12, v23, v21, v1 op_sel_hi:[1,1,0]
	v_pk_fma_f32 v[6:7], v[18:19], v[22:23], v[6:7] op_sel_hi:[1,0,1]
	s_andn2_b64 exec, exec, s[2:3]
	s_cbranch_execnz .LBB93_22
; %bb.23:
	s_or_b64 exec, exec, s[2:3]
.LBB93_24:
	s_or_b64 exec, exec, s[6:7]
.LBB93_25:
	v_mov_b32_dpp v0, v6 row_shr:1 row_mask:0xf bank_mask:0xf
	v_mov_b32_dpp v1, v7 row_shr:1 row_mask:0xf bank_mask:0xf
	v_pk_add_f32 v[0:1], v[6:7], v[0:1]
	v_mov_b32_dpp v6, v12 row_shr:1 row_mask:0xf bank_mask:0xf
	v_add_f32_e32 v6, v12, v6
	v_mov_b32_dpp v4, v0 row_shr:2 row_mask:0xf bank_mask:0xf
	v_mov_b32_dpp v5, v1 row_shr:2 row_mask:0xf bank_mask:0xf
	;; [unrolled: 1-line block ×3, first 2 shown]
	v_pk_add_f32 v[0:1], v[0:1], v[4:5]
	v_add_f32_e32 v6, v6, v7
	v_cmp_eq_u32_e32 vcc, 31, v3
	v_mov_b32_dpp v4, v0 row_shr:4 row_mask:0xf bank_mask:0xe
	v_mov_b32_dpp v5, v1 row_shr:4 row_mask:0xf bank_mask:0xe
	;; [unrolled: 1-line block ×3, first 2 shown]
	v_pk_add_f32 v[0:1], v[0:1], v[4:5]
	v_add_f32_e32 v6, v6, v7
	s_nop 0
	v_mov_b32_dpp v4, v0 row_shr:8 row_mask:0xf bank_mask:0xc
	v_mov_b32_dpp v5, v1 row_shr:8 row_mask:0xf bank_mask:0xc
	;; [unrolled: 1-line block ×3, first 2 shown]
	v_pk_add_f32 v[0:1], v[0:1], v[4:5]
	v_add_f32_e32 v6, v6, v7
	s_nop 0
	v_mov_b32_dpp v4, v0 row_bcast:15 row_mask:0xa bank_mask:0xf
	v_mov_b32_dpp v5, v1 row_bcast:15 row_mask:0xa bank_mask:0xf
	;; [unrolled: 1-line block ×3, first 2 shown]
	s_and_b64 exec, exec, vcc
	s_cbranch_execz .LBB93_10
; %bb.26:
	s_load_dwordx2 s[0:1], s[0:1], 0x50
	v_pk_add_f32 v[4:5], v[0:1], v[4:5]
	v_add_f32_e32 v0, v6, v7
	v_cmp_eq_f32_e64 s[2:3], s14, 0
	v_lshl_add_u32 v6, v2, 1, v2
	s_and_b64 vcc, exec, s[2:3]
	v_mul_f32_e32 v2, s12, v0
	v_ashrrev_i32_e32 v7, 31, v6
	s_cbranch_vccz .LBB93_28
; %bb.27:
	s_waitcnt lgkmcnt(0)
	v_lshl_add_u64 v[8:9], v[6:7], 2, s[0:1]
	v_pk_mul_f32 v[0:1], s[12:13], v[4:5] op_sel_hi:[0,1]
	global_store_dwordx3 v[8:9], v[0:2], off
	s_cbranch_execnz .LBB93_10
	s_branch .LBB93_29
.LBB93_28:
.LBB93_29:
	s_waitcnt lgkmcnt(0)
	v_lshl_add_u64 v[10:11], v[6:7], 2, s[0:1]
	global_load_dwordx3 v[6:8], v[10:11], off
	v_pk_mul_f32 v[0:1], s[12:13], v[4:5] op_sel_hi:[0,1]
	s_waitcnt vmcnt(0)
	v_pk_fma_f32 v[0:1], s[14:15], v[6:7], v[0:1] op_sel_hi:[0,1,1]
	v_fmac_f32_e32 v2, s14, v8
	global_store_dwordx3 v[10:11], v[0:2], off
	s_endpgm
	.section	.rodata,"a",@progbits
	.p2align	6, 0x0
	.amdhsa_kernel _ZN9rocsparseL18bsrxmvn_3x3_kernelILj256ELj32EfiiDF16_DF16_fEEvT3_20rocsparse_direction_NS_24const_host_device_scalarIT1_EES1_PKS1_PKT2_SA_S7_PKT4_PKT5_S5_PT6_21rocsparse_index_base_b
		.amdhsa_group_segment_fixed_size 0
		.amdhsa_private_segment_fixed_size 0
		.amdhsa_kernarg_size 96
		.amdhsa_user_sgpr_count 2
		.amdhsa_user_sgpr_dispatch_ptr 0
		.amdhsa_user_sgpr_queue_ptr 0
		.amdhsa_user_sgpr_kernarg_segment_ptr 1
		.amdhsa_user_sgpr_dispatch_id 0
		.amdhsa_user_sgpr_kernarg_preload_length 0
		.amdhsa_user_sgpr_kernarg_preload_offset 0
		.amdhsa_user_sgpr_private_segment_size 0
		.amdhsa_uses_dynamic_stack 0
		.amdhsa_enable_private_segment 0
		.amdhsa_system_sgpr_workgroup_id_x 1
		.amdhsa_system_sgpr_workgroup_id_y 0
		.amdhsa_system_sgpr_workgroup_id_z 0
		.amdhsa_system_sgpr_workgroup_info 0
		.amdhsa_system_vgpr_workitem_id 0
		.amdhsa_next_free_vgpr 26
		.amdhsa_next_free_sgpr 20
		.amdhsa_accum_offset 28
		.amdhsa_reserve_vcc 1
		.amdhsa_float_round_mode_32 0
		.amdhsa_float_round_mode_16_64 0
		.amdhsa_float_denorm_mode_32 3
		.amdhsa_float_denorm_mode_16_64 3
		.amdhsa_dx10_clamp 1
		.amdhsa_ieee_mode 1
		.amdhsa_fp16_overflow 0
		.amdhsa_tg_split 0
		.amdhsa_exception_fp_ieee_invalid_op 0
		.amdhsa_exception_fp_denorm_src 0
		.amdhsa_exception_fp_ieee_div_zero 0
		.amdhsa_exception_fp_ieee_overflow 0
		.amdhsa_exception_fp_ieee_underflow 0
		.amdhsa_exception_fp_ieee_inexact 0
		.amdhsa_exception_int_div_zero 0
	.end_amdhsa_kernel
	.section	.text._ZN9rocsparseL18bsrxmvn_3x3_kernelILj256ELj32EfiiDF16_DF16_fEEvT3_20rocsparse_direction_NS_24const_host_device_scalarIT1_EES1_PKS1_PKT2_SA_S7_PKT4_PKT5_S5_PT6_21rocsparse_index_base_b,"axG",@progbits,_ZN9rocsparseL18bsrxmvn_3x3_kernelILj256ELj32EfiiDF16_DF16_fEEvT3_20rocsparse_direction_NS_24const_host_device_scalarIT1_EES1_PKS1_PKT2_SA_S7_PKT4_PKT5_S5_PT6_21rocsparse_index_base_b,comdat
.Lfunc_end93:
	.size	_ZN9rocsparseL18bsrxmvn_3x3_kernelILj256ELj32EfiiDF16_DF16_fEEvT3_20rocsparse_direction_NS_24const_host_device_scalarIT1_EES1_PKS1_PKT2_SA_S7_PKT4_PKT5_S5_PT6_21rocsparse_index_base_b, .Lfunc_end93-_ZN9rocsparseL18bsrxmvn_3x3_kernelILj256ELj32EfiiDF16_DF16_fEEvT3_20rocsparse_direction_NS_24const_host_device_scalarIT1_EES1_PKS1_PKT2_SA_S7_PKT4_PKT5_S5_PT6_21rocsparse_index_base_b
                                        ; -- End function
	.section	.AMDGPU.csdata,"",@progbits
; Kernel info:
; codeLenInByte = 1308
; NumSgprs: 26
; NumVgprs: 26
; NumAgprs: 0
; TotalNumVgprs: 26
; ScratchSize: 0
; MemoryBound: 0
; FloatMode: 240
; IeeeMode: 1
; LDSByteSize: 0 bytes/workgroup (compile time only)
; SGPRBlocks: 3
; VGPRBlocks: 3
; NumSGPRsForWavesPerEU: 26
; NumVGPRsForWavesPerEU: 26
; AccumOffset: 28
; Occupancy: 8
; WaveLimiterHint : 1
; COMPUTE_PGM_RSRC2:SCRATCH_EN: 0
; COMPUTE_PGM_RSRC2:USER_SGPR: 2
; COMPUTE_PGM_RSRC2:TRAP_HANDLER: 0
; COMPUTE_PGM_RSRC2:TGID_X_EN: 1
; COMPUTE_PGM_RSRC2:TGID_Y_EN: 0
; COMPUTE_PGM_RSRC2:TGID_Z_EN: 0
; COMPUTE_PGM_RSRC2:TIDIG_COMP_CNT: 0
; COMPUTE_PGM_RSRC3_GFX90A:ACCUM_OFFSET: 6
; COMPUTE_PGM_RSRC3_GFX90A:TG_SPLIT: 0
	.section	.text._ZN9rocsparseL18bsrxmvn_3x3_kernelILj256ELj64EfiiDF16_DF16_fEEvT3_20rocsparse_direction_NS_24const_host_device_scalarIT1_EES1_PKS1_PKT2_SA_S7_PKT4_PKT5_S5_PT6_21rocsparse_index_base_b,"axG",@progbits,_ZN9rocsparseL18bsrxmvn_3x3_kernelILj256ELj64EfiiDF16_DF16_fEEvT3_20rocsparse_direction_NS_24const_host_device_scalarIT1_EES1_PKS1_PKT2_SA_S7_PKT4_PKT5_S5_PT6_21rocsparse_index_base_b,comdat
	.globl	_ZN9rocsparseL18bsrxmvn_3x3_kernelILj256ELj64EfiiDF16_DF16_fEEvT3_20rocsparse_direction_NS_24const_host_device_scalarIT1_EES1_PKS1_PKT2_SA_S7_PKT4_PKT5_S5_PT6_21rocsparse_index_base_b ; -- Begin function _ZN9rocsparseL18bsrxmvn_3x3_kernelILj256ELj64EfiiDF16_DF16_fEEvT3_20rocsparse_direction_NS_24const_host_device_scalarIT1_EES1_PKS1_PKT2_SA_S7_PKT4_PKT5_S5_PT6_21rocsparse_index_base_b
	.p2align	8
	.type	_ZN9rocsparseL18bsrxmvn_3x3_kernelILj256ELj64EfiiDF16_DF16_fEEvT3_20rocsparse_direction_NS_24const_host_device_scalarIT1_EES1_PKS1_PKT2_SA_S7_PKT4_PKT5_S5_PT6_21rocsparse_index_base_b,@function
_ZN9rocsparseL18bsrxmvn_3x3_kernelILj256ELj64EfiiDF16_DF16_fEEvT3_20rocsparse_direction_NS_24const_host_device_scalarIT1_EES1_PKS1_PKT2_SA_S7_PKT4_PKT5_S5_PT6_21rocsparse_index_base_b: ; @_ZN9rocsparseL18bsrxmvn_3x3_kernelILj256ELj64EfiiDF16_DF16_fEEvT3_20rocsparse_direction_NS_24const_host_device_scalarIT1_EES1_PKS1_PKT2_SA_S7_PKT4_PKT5_S5_PT6_21rocsparse_index_base_b
; %bb.0:
	s_load_dwordx2 s[16:17], s[0:1], 0x58
	s_load_dwordx2 s[12:13], s[0:1], 0x8
	;; [unrolled: 1-line block ×3, first 2 shown]
	s_waitcnt lgkmcnt(0)
	s_bitcmp1_b32 s17, 0
	s_cselect_b64 s[6:7], -1, 0
	s_xor_b64 s[4:5], s[6:7], -1
	s_and_b64 vcc, exec, s[6:7]
	s_cbranch_vccnz .LBB94_2
; %bb.1:
	s_load_dword s12, s[12:13], 0x0
.LBB94_2:
	s_andn2_b64 vcc, exec, s[4:5]
	s_cbranch_vccnz .LBB94_4
; %bb.3:
	s_load_dword s14, s[14:15], 0x0
.LBB94_4:
	s_waitcnt lgkmcnt(0)
	v_cmp_neq_f32_e64 s[4:5], s12, 0
	v_cmp_neq_f32_e64 s[6:7], s14, 1.0
	s_or_b64 s[4:5], s[4:5], s[6:7]
	s_andn2_b64 vcc, exec, s[4:5]
	s_cbranch_vccnz .LBB94_10
; %bb.5:
	s_load_dwordx2 s[4:5], s[0:1], 0x18
	s_load_dwordx2 s[18:19], s[0:1], 0x0
	v_lshrrev_b32_e32 v1, 6, v0
	v_lshl_or_b32 v2, s2, 2, v1
	s_mov_b64 s[2:3], 0
	s_waitcnt lgkmcnt(0)
	s_cmp_lg_u64 s[4:5], 0
	s_cbranch_scc0 .LBB94_11
; %bb.6:
	s_load_dword s6, s[0:1], 0x10
                                        ; implicit-def: $vgpr1
	s_waitcnt lgkmcnt(0)
	v_cmp_gt_i32_e32 vcc, s6, v2
	s_and_saveexec_b64 s[6:7], vcc
	s_xor_b64 s[6:7], exec, s[6:7]
	s_cbranch_execz .LBB94_8
; %bb.7:
	v_ashrrev_i32_e32 v3, 31, v2
	v_lshl_add_u64 v[4:5], v[2:3], 2, s[4:5]
	global_load_dword v1, v[4:5], off
	s_mov_b64 s[2:3], exec
	s_waitcnt vmcnt(0)
	v_subrev_u32_e32 v1, s16, v1
.LBB94_8:
	s_or_b64 exec, exec, s[6:7]
	s_branch .LBB94_12
.LBB94_9:
	v_cmp_gt_i32_e32 vcc, s18, v2
	s_andn2_b64 s[2:3], s[2:3], exec
	s_and_b64 s[4:5], vcc, exec
	s_or_b64 s[2:3], s[2:3], s[4:5]
	s_and_saveexec_b64 s[4:5], s[2:3]
	s_cbranch_execnz .LBB94_13
.LBB94_10:
	s_endpgm
.LBB94_11:
                                        ; implicit-def: $vgpr1
	s_cbranch_execnz .LBB94_9
.LBB94_12:
	v_mov_b32_e32 v2, v1
	s_and_saveexec_b64 s[4:5], s[2:3]
	s_cbranch_execz .LBB94_10
.LBB94_13:
	s_load_dwordx8 s[4:11], s[0:1], 0x20
	v_ashrrev_i32_e32 v3, 31, v2
	v_lshlrev_b64 v[4:5], 2, v[2:3]
	v_and_b32_e32 v3, 63, v0
	s_waitcnt lgkmcnt(0)
	v_lshl_add_u64 v[6:7], s[4:5], 0, v[4:5]
	s_cmp_eq_u64 s[6:7], 0
	global_load_dword v1, v[6:7], off
	v_lshl_add_u64 v[6:7], v[6:7], 0, 4
	v_lshl_add_u64 v[4:5], s[6:7], 0, v[4:5]
	s_cselect_b64 vcc, -1, 0
	v_cndmask_b32_e32 v5, v5, v7, vcc
	v_cndmask_b32_e32 v4, v4, v6, vcc
	global_load_dword v4, v[4:5], off
	s_load_dwordx2 s[4:5], s[0:1], 0x40
	s_cmp_eq_u32 s19, 1
	s_waitcnt vmcnt(1)
	v_subrev_u32_e32 v0, s16, v1
	v_add_u32_e32 v0, v0, v3
	s_waitcnt vmcnt(0)
	v_subrev_u32_e32 v13, s16, v4
	v_mad_i64_i32 v[4:5], s[2:3], v0, 18, s[10:11]
	v_cmp_lt_i32_e64 s[2:3], v0, v13
	s_cbranch_scc1 .LBB94_19
; %bb.14:
	v_mov_b32_e32 v7, 0
	v_mov_b32_e32 v6, v7
	;; [unrolled: 1-line block ×3, first 2 shown]
	s_and_saveexec_b64 s[6:7], s[2:3]
	s_cbranch_execz .LBB94_18
; %bb.15:
	v_mov_b32_e32 v12, 0
	s_mov_b64 s[10:11], 0
	s_mov_b64 s[18:19], 0x480
	v_mov_b64_e32 v[8:9], v[4:5]
	v_mov_b32_e32 v10, v0
	v_mov_b32_e32 v6, 0
	;; [unrolled: 1-line block ×3, first 2 shown]
.LBB94_16:                              ; =>This Inner Loop Header: Depth=1
	v_ashrrev_i32_e32 v11, 31, v10
	v_lshl_add_u64 v[18:19], v[10:11], 2, s[8:9]
	global_load_dword v1, v[18:19], off
	global_load_dwordx4 v[14:17], v[8:9], off
	v_add_u32_e32 v10, 64, v10
	v_cmp_ge_i32_e32 vcc, v10, v13
	s_or_b64 s[10:11], vcc, s[10:11]
	s_waitcnt vmcnt(1)
	v_subrev_u32_e32 v1, s16, v1
	v_lshl_add_u32 v18, v1, 1, v1
	v_ashrrev_i32_e32 v19, 31, v18
	s_waitcnt lgkmcnt(0)
	v_lshl_add_u64 v[18:19], v[18:19], 1, s[4:5]
	global_load_dword v1, v[18:19], off
	global_load_ushort v11, v[18:19], off offset:4
	global_load_ushort v25, v[8:9], off offset:16
	s_waitcnt vmcnt(3)
	v_cvt_f32_f16_sdwa v18, v14 dst_sel:DWORD dst_unused:UNUSED_PAD src0_sel:WORD_1
	v_cvt_f32_f16_sdwa v21, v15 dst_sel:DWORD dst_unused:UNUSED_PAD src0_sel:WORD_1
	v_cvt_f32_f16_e32 v20, v14
	v_cvt_f32_f16_e32 v19, v16
	v_cvt_f32_f16_sdwa v23, v16 dst_sel:DWORD dst_unused:UNUSED_PAD src0_sel:WORD_1
	v_cvt_f32_f16_e32 v22, v15
	v_lshl_add_u64 v[8:9], v[8:9], 0, s[18:19]
	s_waitcnt vmcnt(2)
	v_cvt_f32_f16_e32 v14, v1
	v_cvt_f32_f16_sdwa v16, v1 dst_sel:DWORD dst_unused:UNUSED_PAD src0_sel:WORD_1
	s_waitcnt vmcnt(1)
	v_cvt_f32_f16_e32 v24, v11
	v_fma_mix_f32 v12, v17, v1, v12 op_sel_hi:[1,1,0]
	v_pk_fma_f32 v[6:7], v[20:21], v[14:15], v[6:7] op_sel_hi:[1,0,1]
	v_fma_mix_f32 v1, v17, v1, v12 op_sel:[1,1,0] op_sel_hi:[1,1,0]
	v_pk_fma_f32 v[6:7], v[18:19], v[16:17], v[6:7] op_sel_hi:[1,0,1]
	s_waitcnt vmcnt(0)
	v_fma_mix_f32 v12, v25, v11, v1 op_sel_hi:[1,1,0]
	v_pk_fma_f32 v[6:7], v[22:23], v[24:25], v[6:7] op_sel_hi:[1,0,1]
	s_andn2_b64 exec, exec, s[10:11]
	s_cbranch_execnz .LBB94_16
; %bb.17:
	s_or_b64 exec, exec, s[10:11]
.LBB94_18:
	s_or_b64 exec, exec, s[6:7]
	s_cbranch_execz .LBB94_20
	s_branch .LBB94_25
.LBB94_19:
                                        ; implicit-def: $vgpr7
                                        ; implicit-def: $vgpr12
.LBB94_20:
	v_mov_b32_e32 v7, 0
	v_mov_b32_e32 v6, v7
	;; [unrolled: 1-line block ×3, first 2 shown]
	s_and_saveexec_b64 s[6:7], s[2:3]
	s_cbranch_execz .LBB94_24
; %bb.21:
	v_mov_b32_e32 v12, 0
	s_mov_b64 s[2:3], 0
	s_mov_b64 s[10:11], 0x480
	v_mov_b32_e32 v6, 0
	v_mov_b32_e32 v7, v12
.LBB94_22:                              ; =>This Inner Loop Header: Depth=1
	v_ashrrev_i32_e32 v1, 31, v0
	v_lshl_add_u64 v[14:15], v[0:1], 2, s[8:9]
	global_load_dword v1, v[14:15], off
	global_load_dwordx4 v[8:11], v[4:5], off
	v_add_u32_e32 v0, 64, v0
	v_cmp_ge_i32_e32 vcc, v0, v13
	s_or_b64 s[2:3], vcc, s[2:3]
	s_waitcnt vmcnt(1)
	v_subrev_u32_e32 v1, s16, v1
	v_lshl_add_u32 v14, v1, 1, v1
	v_ashrrev_i32_e32 v15, 31, v14
	s_waitcnt lgkmcnt(0)
	v_lshl_add_u64 v[14:15], v[14:15], 1, s[4:5]
	global_load_dword v1, v[14:15], off
	global_load_ushort v21, v[14:15], off offset:4
	global_load_ushort v23, v[4:5], off offset:16
	s_waitcnt vmcnt(3)
	v_cvt_f32_f16_sdwa v15, v8 dst_sel:DWORD dst_unused:UNUSED_PAD src0_sel:WORD_1
	v_cvt_f32_f16_e32 v14, v8
	v_cvt_f32_f16_sdwa v16, v9 dst_sel:DWORD dst_unused:UNUSED_PAD src0_sel:WORD_1
	v_cvt_f32_f16_e32 v17, v10
	;; [unrolled: 2-line block ×3, first 2 shown]
	v_lshl_add_u64 v[4:5], v[4:5], 0, s[10:11]
	s_waitcnt vmcnt(2)
	v_cvt_f32_f16_e32 v8, v1
	v_cvt_f32_f16_sdwa v20, v1 dst_sel:DWORD dst_unused:UNUSED_PAD src0_sel:WORD_1
	s_waitcnt vmcnt(1)
	v_cvt_f32_f16_e32 v22, v21
	v_fma_mix_f32 v9, v9, v1, v12 op_sel_hi:[1,1,0]
	s_nop 0
	v_pk_fma_f32 v[6:7], v[14:15], v[8:9], v[6:7] op_sel_hi:[1,0,1]
	v_fma_mix_f32 v1, v10, v1, v9 op_sel:[1,1,0] op_sel_hi:[1,1,0]
	v_pk_fma_f32 v[6:7], v[16:17], v[20:21], v[6:7] op_sel_hi:[1,0,1]
	s_waitcnt vmcnt(0)
	v_fma_mix_f32 v12, v23, v21, v1 op_sel_hi:[1,1,0]
	v_pk_fma_f32 v[6:7], v[18:19], v[22:23], v[6:7] op_sel_hi:[1,0,1]
	s_andn2_b64 exec, exec, s[2:3]
	s_cbranch_execnz .LBB94_22
; %bb.23:
	s_or_b64 exec, exec, s[2:3]
.LBB94_24:
	s_or_b64 exec, exec, s[6:7]
.LBB94_25:
	v_mov_b32_dpp v0, v6 row_shr:1 row_mask:0xf bank_mask:0xf
	v_mov_b32_dpp v1, v7 row_shr:1 row_mask:0xf bank_mask:0xf
	v_pk_add_f32 v[0:1], v[6:7], v[0:1]
	v_mov_b32_dpp v6, v12 row_shr:1 row_mask:0xf bank_mask:0xf
	v_add_f32_e32 v6, v12, v6
	v_mov_b32_dpp v4, v0 row_shr:2 row_mask:0xf bank_mask:0xf
	v_mov_b32_dpp v5, v1 row_shr:2 row_mask:0xf bank_mask:0xf
	;; [unrolled: 1-line block ×3, first 2 shown]
	v_pk_add_f32 v[0:1], v[0:1], v[4:5]
	v_add_f32_e32 v6, v6, v7
	v_cmp_eq_u32_e32 vcc, 63, v3
	v_mov_b32_dpp v4, v0 row_shr:4 row_mask:0xf bank_mask:0xe
	v_mov_b32_dpp v5, v1 row_shr:4 row_mask:0xf bank_mask:0xe
	;; [unrolled: 1-line block ×3, first 2 shown]
	v_pk_add_f32 v[0:1], v[0:1], v[4:5]
	v_add_f32_e32 v6, v6, v7
	s_nop 0
	v_mov_b32_dpp v4, v0 row_shr:8 row_mask:0xf bank_mask:0xc
	v_mov_b32_dpp v5, v1 row_shr:8 row_mask:0xf bank_mask:0xc
	;; [unrolled: 1-line block ×3, first 2 shown]
	v_pk_add_f32 v[0:1], v[0:1], v[4:5]
	v_add_f32_e32 v6, v6, v7
	s_nop 0
	v_mov_b32_dpp v4, v0 row_bcast:15 row_mask:0xa bank_mask:0xf
	v_mov_b32_dpp v5, v1 row_bcast:15 row_mask:0xa bank_mask:0xf
	v_mov_b32_dpp v7, v6 row_bcast:15 row_mask:0xa bank_mask:0xf
	v_pk_add_f32 v[0:1], v[0:1], v[4:5]
	v_add_f32_e32 v6, v6, v7
	s_nop 0
	v_mov_b32_dpp v4, v0 row_bcast:31 row_mask:0xc bank_mask:0xf
	v_mov_b32_dpp v5, v1 row_bcast:31 row_mask:0xc bank_mask:0xf
	;; [unrolled: 1-line block ×3, first 2 shown]
	s_and_b64 exec, exec, vcc
	s_cbranch_execz .LBB94_10
; %bb.26:
	s_load_dwordx2 s[0:1], s[0:1], 0x50
	v_pk_add_f32 v[4:5], v[0:1], v[4:5]
	v_add_f32_e32 v0, v6, v7
	v_cmp_eq_f32_e64 s[2:3], s14, 0
	v_lshl_add_u32 v6, v2, 1, v2
	s_and_b64 vcc, exec, s[2:3]
	v_mul_f32_e32 v2, s12, v0
	v_ashrrev_i32_e32 v7, 31, v6
	s_cbranch_vccz .LBB94_28
; %bb.27:
	s_waitcnt lgkmcnt(0)
	v_lshl_add_u64 v[8:9], v[6:7], 2, s[0:1]
	v_pk_mul_f32 v[0:1], s[12:13], v[4:5] op_sel_hi:[0,1]
	global_store_dwordx3 v[8:9], v[0:2], off
	s_cbranch_execnz .LBB94_10
	s_branch .LBB94_29
.LBB94_28:
.LBB94_29:
	s_waitcnt lgkmcnt(0)
	v_lshl_add_u64 v[10:11], v[6:7], 2, s[0:1]
	global_load_dwordx3 v[6:8], v[10:11], off
	v_pk_mul_f32 v[0:1], s[12:13], v[4:5] op_sel_hi:[0,1]
	s_waitcnt vmcnt(0)
	v_pk_fma_f32 v[0:1], s[14:15], v[6:7], v[0:1] op_sel_hi:[0,1,1]
	v_fmac_f32_e32 v2, s14, v8
	global_store_dwordx3 v[10:11], v[0:2], off
	s_endpgm
	.section	.rodata,"a",@progbits
	.p2align	6, 0x0
	.amdhsa_kernel _ZN9rocsparseL18bsrxmvn_3x3_kernelILj256ELj64EfiiDF16_DF16_fEEvT3_20rocsparse_direction_NS_24const_host_device_scalarIT1_EES1_PKS1_PKT2_SA_S7_PKT4_PKT5_S5_PT6_21rocsparse_index_base_b
		.amdhsa_group_segment_fixed_size 0
		.amdhsa_private_segment_fixed_size 0
		.amdhsa_kernarg_size 96
		.amdhsa_user_sgpr_count 2
		.amdhsa_user_sgpr_dispatch_ptr 0
		.amdhsa_user_sgpr_queue_ptr 0
		.amdhsa_user_sgpr_kernarg_segment_ptr 1
		.amdhsa_user_sgpr_dispatch_id 0
		.amdhsa_user_sgpr_kernarg_preload_length 0
		.amdhsa_user_sgpr_kernarg_preload_offset 0
		.amdhsa_user_sgpr_private_segment_size 0
		.amdhsa_uses_dynamic_stack 0
		.amdhsa_enable_private_segment 0
		.amdhsa_system_sgpr_workgroup_id_x 1
		.amdhsa_system_sgpr_workgroup_id_y 0
		.amdhsa_system_sgpr_workgroup_id_z 0
		.amdhsa_system_sgpr_workgroup_info 0
		.amdhsa_system_vgpr_workitem_id 0
		.amdhsa_next_free_vgpr 26
		.amdhsa_next_free_sgpr 20
		.amdhsa_accum_offset 28
		.amdhsa_reserve_vcc 1
		.amdhsa_float_round_mode_32 0
		.amdhsa_float_round_mode_16_64 0
		.amdhsa_float_denorm_mode_32 3
		.amdhsa_float_denorm_mode_16_64 3
		.amdhsa_dx10_clamp 1
		.amdhsa_ieee_mode 1
		.amdhsa_fp16_overflow 0
		.amdhsa_tg_split 0
		.amdhsa_exception_fp_ieee_invalid_op 0
		.amdhsa_exception_fp_denorm_src 0
		.amdhsa_exception_fp_ieee_div_zero 0
		.amdhsa_exception_fp_ieee_overflow 0
		.amdhsa_exception_fp_ieee_underflow 0
		.amdhsa_exception_fp_ieee_inexact 0
		.amdhsa_exception_int_div_zero 0
	.end_amdhsa_kernel
	.section	.text._ZN9rocsparseL18bsrxmvn_3x3_kernelILj256ELj64EfiiDF16_DF16_fEEvT3_20rocsparse_direction_NS_24const_host_device_scalarIT1_EES1_PKS1_PKT2_SA_S7_PKT4_PKT5_S5_PT6_21rocsparse_index_base_b,"axG",@progbits,_ZN9rocsparseL18bsrxmvn_3x3_kernelILj256ELj64EfiiDF16_DF16_fEEvT3_20rocsparse_direction_NS_24const_host_device_scalarIT1_EES1_PKS1_PKT2_SA_S7_PKT4_PKT5_S5_PT6_21rocsparse_index_base_b,comdat
.Lfunc_end94:
	.size	_ZN9rocsparseL18bsrxmvn_3x3_kernelILj256ELj64EfiiDF16_DF16_fEEvT3_20rocsparse_direction_NS_24const_host_device_scalarIT1_EES1_PKS1_PKT2_SA_S7_PKT4_PKT5_S5_PT6_21rocsparse_index_base_b, .Lfunc_end94-_ZN9rocsparseL18bsrxmvn_3x3_kernelILj256ELj64EfiiDF16_DF16_fEEvT3_20rocsparse_direction_NS_24const_host_device_scalarIT1_EES1_PKS1_PKT2_SA_S7_PKT4_PKT5_S5_PT6_21rocsparse_index_base_b
                                        ; -- End function
	.section	.AMDGPU.csdata,"",@progbits
; Kernel info:
; codeLenInByte = 1348
; NumSgprs: 26
; NumVgprs: 26
; NumAgprs: 0
; TotalNumVgprs: 26
; ScratchSize: 0
; MemoryBound: 0
; FloatMode: 240
; IeeeMode: 1
; LDSByteSize: 0 bytes/workgroup (compile time only)
; SGPRBlocks: 3
; VGPRBlocks: 3
; NumSGPRsForWavesPerEU: 26
; NumVGPRsForWavesPerEU: 26
; AccumOffset: 28
; Occupancy: 8
; WaveLimiterHint : 1
; COMPUTE_PGM_RSRC2:SCRATCH_EN: 0
; COMPUTE_PGM_RSRC2:USER_SGPR: 2
; COMPUTE_PGM_RSRC2:TRAP_HANDLER: 0
; COMPUTE_PGM_RSRC2:TGID_X_EN: 1
; COMPUTE_PGM_RSRC2:TGID_Y_EN: 0
; COMPUTE_PGM_RSRC2:TGID_Z_EN: 0
; COMPUTE_PGM_RSRC2:TIDIG_COMP_CNT: 0
; COMPUTE_PGM_RSRC3_GFX90A:ACCUM_OFFSET: 6
; COMPUTE_PGM_RSRC3_GFX90A:TG_SPLIT: 0
	.section	.text._ZN9rocsparseL18bsrxmvn_3x3_kernelILj256ELj4EfliDF16_DF16_fEEvT3_20rocsparse_direction_NS_24const_host_device_scalarIT1_EES1_PKS1_PKT2_SA_S7_PKT4_PKT5_S5_PT6_21rocsparse_index_base_b,"axG",@progbits,_ZN9rocsparseL18bsrxmvn_3x3_kernelILj256ELj4EfliDF16_DF16_fEEvT3_20rocsparse_direction_NS_24const_host_device_scalarIT1_EES1_PKS1_PKT2_SA_S7_PKT4_PKT5_S5_PT6_21rocsparse_index_base_b,comdat
	.globl	_ZN9rocsparseL18bsrxmvn_3x3_kernelILj256ELj4EfliDF16_DF16_fEEvT3_20rocsparse_direction_NS_24const_host_device_scalarIT1_EES1_PKS1_PKT2_SA_S7_PKT4_PKT5_S5_PT6_21rocsparse_index_base_b ; -- Begin function _ZN9rocsparseL18bsrxmvn_3x3_kernelILj256ELj4EfliDF16_DF16_fEEvT3_20rocsparse_direction_NS_24const_host_device_scalarIT1_EES1_PKS1_PKT2_SA_S7_PKT4_PKT5_S5_PT6_21rocsparse_index_base_b
	.p2align	8
	.type	_ZN9rocsparseL18bsrxmvn_3x3_kernelILj256ELj4EfliDF16_DF16_fEEvT3_20rocsparse_direction_NS_24const_host_device_scalarIT1_EES1_PKS1_PKT2_SA_S7_PKT4_PKT5_S5_PT6_21rocsparse_index_base_b,@function
_ZN9rocsparseL18bsrxmvn_3x3_kernelILj256ELj4EfliDF16_DF16_fEEvT3_20rocsparse_direction_NS_24const_host_device_scalarIT1_EES1_PKS1_PKT2_SA_S7_PKT4_PKT5_S5_PT6_21rocsparse_index_base_b: ; @_ZN9rocsparseL18bsrxmvn_3x3_kernelILj256ELj4EfliDF16_DF16_fEEvT3_20rocsparse_direction_NS_24const_host_device_scalarIT1_EES1_PKS1_PKT2_SA_S7_PKT4_PKT5_S5_PT6_21rocsparse_index_base_b
; %bb.0:
	s_load_dwordx2 s[16:17], s[0:1], 0x58
	s_load_dwordx2 s[12:13], s[0:1], 0x8
	s_load_dwordx2 s[14:15], s[0:1], 0x48
	s_waitcnt lgkmcnt(0)
	s_bitcmp1_b32 s17, 0
	s_cselect_b64 s[6:7], -1, 0
	s_xor_b64 s[4:5], s[6:7], -1
	s_and_b64 vcc, exec, s[6:7]
	s_cbranch_vccnz .LBB95_2
; %bb.1:
	s_load_dword s12, s[12:13], 0x0
.LBB95_2:
	s_andn2_b64 vcc, exec, s[4:5]
	s_cbranch_vccnz .LBB95_4
; %bb.3:
	s_load_dword s14, s[14:15], 0x0
.LBB95_4:
	s_waitcnt lgkmcnt(0)
	v_cmp_neq_f32_e64 s[4:5], s12, 0
	v_cmp_neq_f32_e64 s[6:7], s14, 1.0
	s_or_b64 s[4:5], s[4:5], s[6:7]
	s_andn2_b64 vcc, exec, s[4:5]
	s_cbranch_vccnz .LBB95_10
; %bb.5:
	s_load_dwordx2 s[4:5], s[0:1], 0x18
	s_load_dwordx2 s[18:19], s[0:1], 0x0
	v_lshrrev_b32_e32 v1, 2, v0
	v_lshl_or_b32 v2, s2, 6, v1
	s_mov_b64 s[2:3], 0
	s_waitcnt lgkmcnt(0)
	s_cmp_lg_u64 s[4:5], 0
	s_cbranch_scc0 .LBB95_11
; %bb.6:
	s_load_dword s6, s[0:1], 0x10
                                        ; implicit-def: $vgpr1
	s_waitcnt lgkmcnt(0)
	v_cmp_gt_i32_e32 vcc, s6, v2
	s_and_saveexec_b64 s[6:7], vcc
	s_xor_b64 s[6:7], exec, s[6:7]
	s_cbranch_execz .LBB95_8
; %bb.7:
	v_ashrrev_i32_e32 v3, 31, v2
	v_lshl_add_u64 v[4:5], v[2:3], 2, s[4:5]
	global_load_dword v1, v[4:5], off
	s_mov_b64 s[2:3], exec
	s_waitcnt vmcnt(0)
	v_subrev_u32_e32 v1, s16, v1
.LBB95_8:
	s_or_b64 exec, exec, s[6:7]
	s_branch .LBB95_12
.LBB95_9:
	v_cmp_gt_i32_e32 vcc, s18, v2
	s_andn2_b64 s[2:3], s[2:3], exec
	s_and_b64 s[4:5], vcc, exec
	s_or_b64 s[2:3], s[2:3], s[4:5]
	s_and_saveexec_b64 s[4:5], s[2:3]
	s_cbranch_execnz .LBB95_13
.LBB95_10:
	s_endpgm
.LBB95_11:
                                        ; implicit-def: $vgpr1
	s_cbranch_execnz .LBB95_9
.LBB95_12:
	v_mov_b32_e32 v2, v1
	s_and_saveexec_b64 s[4:5], s[2:3]
	s_cbranch_execz .LBB95_10
.LBB95_13:
	s_load_dwordx8 s[4:11], s[0:1], 0x20
	v_ashrrev_i32_e32 v3, 31, v2
	v_lshlrev_b64 v[4:5], 3, v[2:3]
	v_and_b32_e32 v0, 3, v0
	s_waitcnt lgkmcnt(0)
	v_lshl_add_u64 v[6:7], s[4:5], 0, v[4:5]
	s_cmp_eq_u64 s[6:7], 0
	v_lshl_add_u64 v[4:5], s[6:7], 0, v[4:5]
	global_load_dwordx2 v[8:9], v[6:7], off
	v_lshl_add_u64 v[6:7], v[6:7], 0, 8
	s_cselect_b64 vcc, -1, 0
	v_cndmask_b32_e32 v5, v5, v7, vcc
	v_cndmask_b32_e32 v4, v4, v6, vcc
	global_load_dwordx2 v[10:11], v[4:5], off
	v_mov_b32_e32 v5, 0
	v_mov_b32_e32 v1, v5
	s_load_dwordx2 s[4:5], s[0:1], 0x40
	s_cmp_eq_u32 s19, 1
	s_waitcnt vmcnt(1)
	v_subrev_co_u32_e32 v6, vcc, s16, v8
	s_nop 1
	v_subbrev_co_u32_e32 v7, vcc, 0, v9, vcc
	v_lshl_add_u64 v[6:7], v[6:7], 0, v[0:1]
	s_waitcnt vmcnt(0)
	v_subrev_co_u32_e32 v8, vcc, s16, v10
	s_nop 1
	v_subbrev_co_u32_e32 v9, vcc, 0, v11, vcc
	v_mad_u64_u32 v[10:11], s[2:3], v6, 18, 0
	v_mov_b32_e32 v4, v11
	v_mad_u64_u32 v[12:13], s[2:3], v7, 18, v[4:5]
	v_mov_b32_e32 v11, v12
	v_cmp_lt_i64_e64 s[2:3], v[6:7], v[8:9]
	s_cbranch_scc1 .LBB95_19
; %bb.14:
	v_mov_b32_e32 v4, 0
	v_mov_b32_e32 v1, 0
	s_and_saveexec_b64 s[6:7], s[2:3]
	s_cbranch_execz .LBB95_18
; %bb.15:
	v_mov_b32_e32 v1, 0
	v_lshl_add_u64 v[12:13], s[10:11], 0, v[10:11]
	v_lshl_add_u64 v[14:15], v[6:7], 2, s[8:9]
	s_mov_b64 s[18:19], 0
	s_mov_b64 s[20:21], 0x48
	v_mov_b64_e32 v[16:17], v[6:7]
	v_mov_b32_e32 v4, 0
	v_mov_b32_e32 v5, v1
.LBB95_16:                              ; =>This Inner Loop Header: Depth=1
	global_load_dword v3, v[14:15], off
	global_load_dwordx4 v[18:21], v[12:13], off
	v_lshl_add_u64 v[16:17], v[16:17], 0, 4
	v_cmp_ge_i64_e32 vcc, v[16:17], v[8:9]
	v_lshl_add_u64 v[14:15], v[14:15], 0, 16
	s_or_b64 s[18:19], vcc, s[18:19]
	s_waitcnt vmcnt(1)
	v_subrev_u32_e32 v3, s16, v3
	v_lshl_add_u32 v22, v3, 1, v3
	v_ashrrev_i32_e32 v23, 31, v22
	s_waitcnt lgkmcnt(0)
	v_lshl_add_u64 v[22:23], v[22:23], 1, s[4:5]
	global_load_dword v3, v[22:23], off
	global_load_ushort v29, v[22:23], off offset:4
	global_load_ushort v30, v[12:13], off offset:16
	s_waitcnt vmcnt(3)
	v_cvt_f32_f16_sdwa v23, v19 dst_sel:DWORD dst_unused:UNUSED_PAD src0_sel:WORD_1
	v_cvt_f32_f16_e32 v22, v18
	v_cvt_f32_f16_sdwa v24, v18 dst_sel:DWORD dst_unused:UNUSED_PAD src0_sel:WORD_1
	v_cvt_f32_f16_e32 v25, v20
	;; [unrolled: 2-line block ×3, first 2 shown]
	v_lshl_add_u64 v[12:13], v[12:13], 0, s[20:21]
	s_waitcnt vmcnt(2)
	v_cvt_f32_f16_e32 v18, v3
	v_cvt_f32_f16_sdwa v20, v3 dst_sel:DWORD dst_unused:UNUSED_PAD src0_sel:WORD_1
	s_waitcnt vmcnt(1)
	v_cvt_f32_f16_e32 v28, v29
	v_fma_mix_f32 v1, v21, v3, v1 op_sel_hi:[1,1,0]
	v_pk_fma_f32 v[4:5], v[22:23], v[18:19], v[4:5] op_sel_hi:[1,0,1]
	v_fma_mix_f32 v1, v21, v3, v1 op_sel:[1,1,0] op_sel_hi:[1,1,0]
	v_pk_fma_f32 v[4:5], v[24:25], v[20:21], v[4:5] op_sel_hi:[1,0,1]
	s_waitcnt vmcnt(0)
	v_fma_mix_f32 v1, v30, v29, v1 op_sel_hi:[1,1,0]
	v_pk_fma_f32 v[4:5], v[26:27], v[28:29], v[4:5] op_sel_hi:[1,0,1]
	s_andn2_b64 exec, exec, s[18:19]
	s_cbranch_execnz .LBB95_16
; %bb.17:
	s_or_b64 exec, exec, s[18:19]
.LBB95_18:
	s_or_b64 exec, exec, s[6:7]
	s_cbranch_execz .LBB95_20
	s_branch .LBB95_25
.LBB95_19:
                                        ; implicit-def: $vgpr5
                                        ; implicit-def: $vgpr1
.LBB95_20:
	v_mov_b32_e32 v5, 0
	v_mov_b32_e32 v4, v5
	v_mov_b32_e32 v1, v5
	s_and_saveexec_b64 s[6:7], s[2:3]
	s_cbranch_execz .LBB95_24
; %bb.21:
	v_lshl_add_u64 v[4:5], v[10:11], 0, s[10:11]
	v_mov_b32_e32 v1, 0
	v_lshl_add_u64 v[10:11], v[4:5], 0, 10
	v_lshl_add_u64 v[12:13], v[6:7], 2, s[8:9]
	s_mov_b64 s[2:3], 0
	s_mov_b64 s[8:9], 0x48
	v_mov_b32_e32 v4, 0
	v_mov_b32_e32 v5, v1
.LBB95_22:                              ; =>This Inner Loop Header: Depth=1
	global_load_dword v3, v[12:13], off
	global_load_dwordx4 v[14:17], v[10:11], off offset:-10
	v_lshl_add_u64 v[6:7], v[6:7], 0, 4
	v_cmp_ge_i64_e32 vcc, v[6:7], v[8:9]
	v_lshl_add_u64 v[12:13], v[12:13], 0, 16
	s_or_b64 s[2:3], vcc, s[2:3]
	s_waitcnt vmcnt(1)
	v_subrev_u32_e32 v3, s16, v3
	v_lshl_add_u32 v18, v3, 1, v3
	v_ashrrev_i32_e32 v19, 31, v18
	s_waitcnt lgkmcnt(0)
	v_lshl_add_u64 v[18:19], v[18:19], 1, s[4:5]
	global_load_dword v3, v[18:19], off
	global_load_ushort v25, v[18:19], off offset:4
	global_load_ushort v27, v[10:11], off offset:6
	s_waitcnt vmcnt(3)
	v_cvt_f32_f16_sdwa v19, v14 dst_sel:DWORD dst_unused:UNUSED_PAD src0_sel:WORD_1
	v_cvt_f32_f16_e32 v18, v14
	v_cvt_f32_f16_sdwa v20, v15 dst_sel:DWORD dst_unused:UNUSED_PAD src0_sel:WORD_1
	v_cvt_f32_f16_e32 v21, v16
	;; [unrolled: 2-line block ×3, first 2 shown]
	v_lshl_add_u64 v[10:11], v[10:11], 0, s[8:9]
	s_waitcnt vmcnt(2)
	v_cvt_f32_f16_e32 v14, v3
	v_cvt_f32_f16_sdwa v24, v3 dst_sel:DWORD dst_unused:UNUSED_PAD src0_sel:WORD_1
	s_waitcnt vmcnt(1)
	v_cvt_f32_f16_e32 v26, v25
	v_fma_mix_f32 v1, v15, v3, v1 op_sel_hi:[1,1,0]
	v_pk_fma_f32 v[4:5], v[18:19], v[14:15], v[4:5] op_sel_hi:[1,0,1]
	v_fma_mix_f32 v1, v16, v3, v1 op_sel:[1,1,0] op_sel_hi:[1,1,0]
	v_pk_fma_f32 v[4:5], v[20:21], v[24:25], v[4:5] op_sel_hi:[1,0,1]
	s_waitcnt vmcnt(0)
	v_fma_mix_f32 v1, v27, v25, v1 op_sel_hi:[1,1,0]
	v_pk_fma_f32 v[4:5], v[22:23], v[26:27], v[4:5] op_sel_hi:[1,0,1]
	s_andn2_b64 exec, exec, s[2:3]
	s_cbranch_execnz .LBB95_22
; %bb.23:
	s_or_b64 exec, exec, s[2:3]
.LBB95_24:
	s_or_b64 exec, exec, s[6:7]
.LBB95_25:
	v_mov_b32_dpp v6, v4 row_shr:1 row_mask:0xf bank_mask:0xf
	v_mov_b32_dpp v7, v5 row_shr:1 row_mask:0xf bank_mask:0xf
	;; [unrolled: 1-line block ×3, first 2 shown]
	v_pk_add_f32 v[4:5], v[4:5], v[6:7]
	v_add_f32_e32 v1, v1, v3
	v_cmp_eq_u32_e32 vcc, 3, v0
	v_mov_b32_dpp v6, v4 row_shr:2 row_mask:0xf bank_mask:0xf
	v_mov_b32_dpp v7, v5 row_shr:2 row_mask:0xf bank_mask:0xf
	;; [unrolled: 1-line block ×3, first 2 shown]
	s_and_b64 exec, exec, vcc
	s_cbranch_execz .LBB95_10
; %bb.26:
	s_load_dwordx2 s[0:1], s[0:1], 0x50
	v_pk_add_f32 v[4:5], v[4:5], v[6:7]
	v_add_f32_e32 v0, v1, v3
	v_cmp_eq_f32_e64 s[2:3], s14, 0
	v_lshl_add_u32 v6, v2, 1, v2
	s_and_b64 vcc, exec, s[2:3]
	v_mul_f32_e32 v2, s12, v0
	v_ashrrev_i32_e32 v7, 31, v6
	s_cbranch_vccz .LBB95_28
; %bb.27:
	s_waitcnt lgkmcnt(0)
	v_lshl_add_u64 v[8:9], v[6:7], 2, s[0:1]
	v_pk_mul_f32 v[0:1], s[12:13], v[4:5] op_sel_hi:[0,1]
	global_store_dwordx3 v[8:9], v[0:2], off
	s_cbranch_execnz .LBB95_10
	s_branch .LBB95_29
.LBB95_28:
.LBB95_29:
	s_waitcnt lgkmcnt(0)
	v_lshl_add_u64 v[10:11], v[6:7], 2, s[0:1]
	global_load_dwordx3 v[6:8], v[10:11], off
	v_pk_mul_f32 v[0:1], s[12:13], v[4:5] op_sel_hi:[0,1]
	s_waitcnt vmcnt(0)
	v_pk_fma_f32 v[0:1], s[14:15], v[6:7], v[0:1] op_sel_hi:[0,1,1]
	v_fmac_f32_e32 v2, s14, v8
	global_store_dwordx3 v[10:11], v[0:2], off
	s_endpgm
	.section	.rodata,"a",@progbits
	.p2align	6, 0x0
	.amdhsa_kernel _ZN9rocsparseL18bsrxmvn_3x3_kernelILj256ELj4EfliDF16_DF16_fEEvT3_20rocsparse_direction_NS_24const_host_device_scalarIT1_EES1_PKS1_PKT2_SA_S7_PKT4_PKT5_S5_PT6_21rocsparse_index_base_b
		.amdhsa_group_segment_fixed_size 0
		.amdhsa_private_segment_fixed_size 0
		.amdhsa_kernarg_size 96
		.amdhsa_user_sgpr_count 2
		.amdhsa_user_sgpr_dispatch_ptr 0
		.amdhsa_user_sgpr_queue_ptr 0
		.amdhsa_user_sgpr_kernarg_segment_ptr 1
		.amdhsa_user_sgpr_dispatch_id 0
		.amdhsa_user_sgpr_kernarg_preload_length 0
		.amdhsa_user_sgpr_kernarg_preload_offset 0
		.amdhsa_user_sgpr_private_segment_size 0
		.amdhsa_uses_dynamic_stack 0
		.amdhsa_enable_private_segment 0
		.amdhsa_system_sgpr_workgroup_id_x 1
		.amdhsa_system_sgpr_workgroup_id_y 0
		.amdhsa_system_sgpr_workgroup_id_z 0
		.amdhsa_system_sgpr_workgroup_info 0
		.amdhsa_system_vgpr_workitem_id 0
		.amdhsa_next_free_vgpr 31
		.amdhsa_next_free_sgpr 22
		.amdhsa_accum_offset 32
		.amdhsa_reserve_vcc 1
		.amdhsa_float_round_mode_32 0
		.amdhsa_float_round_mode_16_64 0
		.amdhsa_float_denorm_mode_32 3
		.amdhsa_float_denorm_mode_16_64 3
		.amdhsa_dx10_clamp 1
		.amdhsa_ieee_mode 1
		.amdhsa_fp16_overflow 0
		.amdhsa_tg_split 0
		.amdhsa_exception_fp_ieee_invalid_op 0
		.amdhsa_exception_fp_denorm_src 0
		.amdhsa_exception_fp_ieee_div_zero 0
		.amdhsa_exception_fp_ieee_overflow 0
		.amdhsa_exception_fp_ieee_underflow 0
		.amdhsa_exception_fp_ieee_inexact 0
		.amdhsa_exception_int_div_zero 0
	.end_amdhsa_kernel
	.section	.text._ZN9rocsparseL18bsrxmvn_3x3_kernelILj256ELj4EfliDF16_DF16_fEEvT3_20rocsparse_direction_NS_24const_host_device_scalarIT1_EES1_PKS1_PKT2_SA_S7_PKT4_PKT5_S5_PT6_21rocsparse_index_base_b,"axG",@progbits,_ZN9rocsparseL18bsrxmvn_3x3_kernelILj256ELj4EfliDF16_DF16_fEEvT3_20rocsparse_direction_NS_24const_host_device_scalarIT1_EES1_PKS1_PKT2_SA_S7_PKT4_PKT5_S5_PT6_21rocsparse_index_base_b,comdat
.Lfunc_end95:
	.size	_ZN9rocsparseL18bsrxmvn_3x3_kernelILj256ELj4EfliDF16_DF16_fEEvT3_20rocsparse_direction_NS_24const_host_device_scalarIT1_EES1_PKS1_PKT2_SA_S7_PKT4_PKT5_S5_PT6_21rocsparse_index_base_b, .Lfunc_end95-_ZN9rocsparseL18bsrxmvn_3x3_kernelILj256ELj4EfliDF16_DF16_fEEvT3_20rocsparse_direction_NS_24const_host_device_scalarIT1_EES1_PKS1_PKT2_SA_S7_PKT4_PKT5_S5_PT6_21rocsparse_index_base_b
                                        ; -- End function
	.section	.AMDGPU.csdata,"",@progbits
; Kernel info:
; codeLenInByte = 1264
; NumSgprs: 28
; NumVgprs: 31
; NumAgprs: 0
; TotalNumVgprs: 31
; ScratchSize: 0
; MemoryBound: 0
; FloatMode: 240
; IeeeMode: 1
; LDSByteSize: 0 bytes/workgroup (compile time only)
; SGPRBlocks: 3
; VGPRBlocks: 3
; NumSGPRsForWavesPerEU: 28
; NumVGPRsForWavesPerEU: 31
; AccumOffset: 32
; Occupancy: 8
; WaveLimiterHint : 1
; COMPUTE_PGM_RSRC2:SCRATCH_EN: 0
; COMPUTE_PGM_RSRC2:USER_SGPR: 2
; COMPUTE_PGM_RSRC2:TRAP_HANDLER: 0
; COMPUTE_PGM_RSRC2:TGID_X_EN: 1
; COMPUTE_PGM_RSRC2:TGID_Y_EN: 0
; COMPUTE_PGM_RSRC2:TGID_Z_EN: 0
; COMPUTE_PGM_RSRC2:TIDIG_COMP_CNT: 0
; COMPUTE_PGM_RSRC3_GFX90A:ACCUM_OFFSET: 7
; COMPUTE_PGM_RSRC3_GFX90A:TG_SPLIT: 0
	.section	.text._ZN9rocsparseL18bsrxmvn_3x3_kernelILj256ELj8EfliDF16_DF16_fEEvT3_20rocsparse_direction_NS_24const_host_device_scalarIT1_EES1_PKS1_PKT2_SA_S7_PKT4_PKT5_S5_PT6_21rocsparse_index_base_b,"axG",@progbits,_ZN9rocsparseL18bsrxmvn_3x3_kernelILj256ELj8EfliDF16_DF16_fEEvT3_20rocsparse_direction_NS_24const_host_device_scalarIT1_EES1_PKS1_PKT2_SA_S7_PKT4_PKT5_S5_PT6_21rocsparse_index_base_b,comdat
	.globl	_ZN9rocsparseL18bsrxmvn_3x3_kernelILj256ELj8EfliDF16_DF16_fEEvT3_20rocsparse_direction_NS_24const_host_device_scalarIT1_EES1_PKS1_PKT2_SA_S7_PKT4_PKT5_S5_PT6_21rocsparse_index_base_b ; -- Begin function _ZN9rocsparseL18bsrxmvn_3x3_kernelILj256ELj8EfliDF16_DF16_fEEvT3_20rocsparse_direction_NS_24const_host_device_scalarIT1_EES1_PKS1_PKT2_SA_S7_PKT4_PKT5_S5_PT6_21rocsparse_index_base_b
	.p2align	8
	.type	_ZN9rocsparseL18bsrxmvn_3x3_kernelILj256ELj8EfliDF16_DF16_fEEvT3_20rocsparse_direction_NS_24const_host_device_scalarIT1_EES1_PKS1_PKT2_SA_S7_PKT4_PKT5_S5_PT6_21rocsparse_index_base_b,@function
_ZN9rocsparseL18bsrxmvn_3x3_kernelILj256ELj8EfliDF16_DF16_fEEvT3_20rocsparse_direction_NS_24const_host_device_scalarIT1_EES1_PKS1_PKT2_SA_S7_PKT4_PKT5_S5_PT6_21rocsparse_index_base_b: ; @_ZN9rocsparseL18bsrxmvn_3x3_kernelILj256ELj8EfliDF16_DF16_fEEvT3_20rocsparse_direction_NS_24const_host_device_scalarIT1_EES1_PKS1_PKT2_SA_S7_PKT4_PKT5_S5_PT6_21rocsparse_index_base_b
; %bb.0:
	s_load_dwordx2 s[16:17], s[0:1], 0x58
	s_load_dwordx2 s[12:13], s[0:1], 0x8
	;; [unrolled: 1-line block ×3, first 2 shown]
	s_waitcnt lgkmcnt(0)
	s_bitcmp1_b32 s17, 0
	s_cselect_b64 s[6:7], -1, 0
	s_xor_b64 s[4:5], s[6:7], -1
	s_and_b64 vcc, exec, s[6:7]
	s_cbranch_vccnz .LBB96_2
; %bb.1:
	s_load_dword s12, s[12:13], 0x0
.LBB96_2:
	s_andn2_b64 vcc, exec, s[4:5]
	s_cbranch_vccnz .LBB96_4
; %bb.3:
	s_load_dword s14, s[14:15], 0x0
.LBB96_4:
	s_waitcnt lgkmcnt(0)
	v_cmp_neq_f32_e64 s[4:5], s12, 0
	v_cmp_neq_f32_e64 s[6:7], s14, 1.0
	s_or_b64 s[4:5], s[4:5], s[6:7]
	s_andn2_b64 vcc, exec, s[4:5]
	s_cbranch_vccnz .LBB96_10
; %bb.5:
	s_load_dwordx2 s[4:5], s[0:1], 0x18
	s_load_dwordx2 s[18:19], s[0:1], 0x0
	v_lshrrev_b32_e32 v1, 3, v0
	v_lshl_or_b32 v2, s2, 5, v1
	s_mov_b64 s[2:3], 0
	s_waitcnt lgkmcnt(0)
	s_cmp_lg_u64 s[4:5], 0
	s_cbranch_scc0 .LBB96_11
; %bb.6:
	s_load_dword s6, s[0:1], 0x10
                                        ; implicit-def: $vgpr1
	s_waitcnt lgkmcnt(0)
	v_cmp_gt_i32_e32 vcc, s6, v2
	s_and_saveexec_b64 s[6:7], vcc
	s_xor_b64 s[6:7], exec, s[6:7]
	s_cbranch_execz .LBB96_8
; %bb.7:
	v_ashrrev_i32_e32 v3, 31, v2
	v_lshl_add_u64 v[4:5], v[2:3], 2, s[4:5]
	global_load_dword v1, v[4:5], off
	s_mov_b64 s[2:3], exec
	s_waitcnt vmcnt(0)
	v_subrev_u32_e32 v1, s16, v1
.LBB96_8:
	s_or_b64 exec, exec, s[6:7]
	s_branch .LBB96_12
.LBB96_9:
	v_cmp_gt_i32_e32 vcc, s18, v2
	s_andn2_b64 s[2:3], s[2:3], exec
	s_and_b64 s[4:5], vcc, exec
	s_or_b64 s[2:3], s[2:3], s[4:5]
	s_and_saveexec_b64 s[4:5], s[2:3]
	s_cbranch_execnz .LBB96_13
.LBB96_10:
	s_endpgm
.LBB96_11:
                                        ; implicit-def: $vgpr1
	s_cbranch_execnz .LBB96_9
.LBB96_12:
	v_mov_b32_e32 v2, v1
	s_and_saveexec_b64 s[4:5], s[2:3]
	s_cbranch_execz .LBB96_10
.LBB96_13:
	s_load_dwordx8 s[4:11], s[0:1], 0x20
	v_ashrrev_i32_e32 v3, 31, v2
	v_lshlrev_b64 v[4:5], 3, v[2:3]
	v_and_b32_e32 v0, 7, v0
	s_waitcnt lgkmcnt(0)
	v_lshl_add_u64 v[6:7], s[4:5], 0, v[4:5]
	s_cmp_eq_u64 s[6:7], 0
	v_lshl_add_u64 v[4:5], s[6:7], 0, v[4:5]
	global_load_dwordx2 v[8:9], v[6:7], off
	v_lshl_add_u64 v[6:7], v[6:7], 0, 8
	s_cselect_b64 vcc, -1, 0
	v_cndmask_b32_e32 v5, v5, v7, vcc
	v_cndmask_b32_e32 v4, v4, v6, vcc
	global_load_dwordx2 v[10:11], v[4:5], off
	v_mov_b32_e32 v5, 0
	v_mov_b32_e32 v1, v5
	s_load_dwordx2 s[4:5], s[0:1], 0x40
	s_cmp_eq_u32 s19, 1
	s_waitcnt vmcnt(1)
	v_subrev_co_u32_e32 v6, vcc, s16, v8
	s_nop 1
	v_subbrev_co_u32_e32 v7, vcc, 0, v9, vcc
	v_lshl_add_u64 v[6:7], v[6:7], 0, v[0:1]
	s_waitcnt vmcnt(0)
	v_subrev_co_u32_e32 v8, vcc, s16, v10
	s_nop 1
	v_subbrev_co_u32_e32 v9, vcc, 0, v11, vcc
	v_mad_u64_u32 v[10:11], s[2:3], v6, 18, 0
	v_mov_b32_e32 v4, v11
	v_mad_u64_u32 v[12:13], s[2:3], v7, 18, v[4:5]
	v_mov_b32_e32 v11, v12
	v_cmp_lt_i64_e64 s[2:3], v[6:7], v[8:9]
	s_cbranch_scc1 .LBB96_19
; %bb.14:
	v_mov_b32_e32 v4, 0
	v_mov_b32_e32 v1, 0
	s_and_saveexec_b64 s[6:7], s[2:3]
	s_cbranch_execz .LBB96_18
; %bb.15:
	v_mov_b32_e32 v1, 0
	v_lshl_add_u64 v[12:13], s[10:11], 0, v[10:11]
	v_lshl_add_u64 v[14:15], v[6:7], 2, s[8:9]
	s_mov_b64 s[18:19], 0
	s_mov_b64 s[20:21], 0x90
	v_mov_b64_e32 v[16:17], v[6:7]
	v_mov_b32_e32 v4, 0
	v_mov_b32_e32 v5, v1
.LBB96_16:                              ; =>This Inner Loop Header: Depth=1
	global_load_dword v3, v[14:15], off
	global_load_dwordx4 v[18:21], v[12:13], off
	v_lshl_add_u64 v[16:17], v[16:17], 0, 8
	v_cmp_ge_i64_e32 vcc, v[16:17], v[8:9]
	v_lshl_add_u64 v[14:15], v[14:15], 0, 32
	s_or_b64 s[18:19], vcc, s[18:19]
	s_waitcnt vmcnt(1)
	v_subrev_u32_e32 v3, s16, v3
	v_lshl_add_u32 v22, v3, 1, v3
	v_ashrrev_i32_e32 v23, 31, v22
	s_waitcnt lgkmcnt(0)
	v_lshl_add_u64 v[22:23], v[22:23], 1, s[4:5]
	global_load_dword v3, v[22:23], off
	global_load_ushort v29, v[22:23], off offset:4
	global_load_ushort v30, v[12:13], off offset:16
	s_waitcnt vmcnt(3)
	v_cvt_f32_f16_sdwa v23, v19 dst_sel:DWORD dst_unused:UNUSED_PAD src0_sel:WORD_1
	v_cvt_f32_f16_e32 v22, v18
	v_cvt_f32_f16_sdwa v24, v18 dst_sel:DWORD dst_unused:UNUSED_PAD src0_sel:WORD_1
	v_cvt_f32_f16_e32 v25, v20
	;; [unrolled: 2-line block ×3, first 2 shown]
	v_lshl_add_u64 v[12:13], v[12:13], 0, s[20:21]
	s_waitcnt vmcnt(2)
	v_cvt_f32_f16_e32 v18, v3
	v_cvt_f32_f16_sdwa v20, v3 dst_sel:DWORD dst_unused:UNUSED_PAD src0_sel:WORD_1
	s_waitcnt vmcnt(1)
	v_cvt_f32_f16_e32 v28, v29
	v_fma_mix_f32 v1, v21, v3, v1 op_sel_hi:[1,1,0]
	v_pk_fma_f32 v[4:5], v[22:23], v[18:19], v[4:5] op_sel_hi:[1,0,1]
	v_fma_mix_f32 v1, v21, v3, v1 op_sel:[1,1,0] op_sel_hi:[1,1,0]
	v_pk_fma_f32 v[4:5], v[24:25], v[20:21], v[4:5] op_sel_hi:[1,0,1]
	s_waitcnt vmcnt(0)
	v_fma_mix_f32 v1, v30, v29, v1 op_sel_hi:[1,1,0]
	v_pk_fma_f32 v[4:5], v[26:27], v[28:29], v[4:5] op_sel_hi:[1,0,1]
	s_andn2_b64 exec, exec, s[18:19]
	s_cbranch_execnz .LBB96_16
; %bb.17:
	s_or_b64 exec, exec, s[18:19]
.LBB96_18:
	s_or_b64 exec, exec, s[6:7]
	s_cbranch_execz .LBB96_20
	s_branch .LBB96_25
.LBB96_19:
                                        ; implicit-def: $vgpr5
                                        ; implicit-def: $vgpr1
.LBB96_20:
	v_mov_b32_e32 v5, 0
	v_mov_b32_e32 v4, v5
	;; [unrolled: 1-line block ×3, first 2 shown]
	s_and_saveexec_b64 s[6:7], s[2:3]
	s_cbranch_execz .LBB96_24
; %bb.21:
	v_lshl_add_u64 v[4:5], v[10:11], 0, s[10:11]
	v_mov_b32_e32 v1, 0
	v_lshl_add_u64 v[10:11], v[4:5], 0, 10
	v_lshl_add_u64 v[12:13], v[6:7], 2, s[8:9]
	s_mov_b64 s[2:3], 0
	s_mov_b64 s[8:9], 0x90
	v_mov_b32_e32 v4, 0
	v_mov_b32_e32 v5, v1
.LBB96_22:                              ; =>This Inner Loop Header: Depth=1
	global_load_dword v3, v[12:13], off
	global_load_dwordx4 v[14:17], v[10:11], off offset:-10
	v_lshl_add_u64 v[6:7], v[6:7], 0, 8
	v_cmp_ge_i64_e32 vcc, v[6:7], v[8:9]
	v_lshl_add_u64 v[12:13], v[12:13], 0, 32
	s_or_b64 s[2:3], vcc, s[2:3]
	s_waitcnt vmcnt(1)
	v_subrev_u32_e32 v3, s16, v3
	v_lshl_add_u32 v18, v3, 1, v3
	v_ashrrev_i32_e32 v19, 31, v18
	s_waitcnt lgkmcnt(0)
	v_lshl_add_u64 v[18:19], v[18:19], 1, s[4:5]
	global_load_dword v3, v[18:19], off
	global_load_ushort v25, v[18:19], off offset:4
	global_load_ushort v27, v[10:11], off offset:6
	s_waitcnt vmcnt(3)
	v_cvt_f32_f16_sdwa v19, v14 dst_sel:DWORD dst_unused:UNUSED_PAD src0_sel:WORD_1
	v_cvt_f32_f16_e32 v18, v14
	v_cvt_f32_f16_sdwa v20, v15 dst_sel:DWORD dst_unused:UNUSED_PAD src0_sel:WORD_1
	v_cvt_f32_f16_e32 v21, v16
	v_cvt_f32_f16_sdwa v23, v17 dst_sel:DWORD dst_unused:UNUSED_PAD src0_sel:WORD_1
	v_cvt_f32_f16_e32 v22, v17
	v_lshl_add_u64 v[10:11], v[10:11], 0, s[8:9]
	s_waitcnt vmcnt(2)
	v_cvt_f32_f16_e32 v14, v3
	v_cvt_f32_f16_sdwa v24, v3 dst_sel:DWORD dst_unused:UNUSED_PAD src0_sel:WORD_1
	s_waitcnt vmcnt(1)
	v_cvt_f32_f16_e32 v26, v25
	v_fma_mix_f32 v1, v15, v3, v1 op_sel_hi:[1,1,0]
	v_pk_fma_f32 v[4:5], v[18:19], v[14:15], v[4:5] op_sel_hi:[1,0,1]
	v_fma_mix_f32 v1, v16, v3, v1 op_sel:[1,1,0] op_sel_hi:[1,1,0]
	v_pk_fma_f32 v[4:5], v[20:21], v[24:25], v[4:5] op_sel_hi:[1,0,1]
	s_waitcnt vmcnt(0)
	v_fma_mix_f32 v1, v27, v25, v1 op_sel_hi:[1,1,0]
	v_pk_fma_f32 v[4:5], v[22:23], v[26:27], v[4:5] op_sel_hi:[1,0,1]
	s_andn2_b64 exec, exec, s[2:3]
	s_cbranch_execnz .LBB96_22
; %bb.23:
	s_or_b64 exec, exec, s[2:3]
.LBB96_24:
	s_or_b64 exec, exec, s[6:7]
.LBB96_25:
	v_mov_b32_dpp v6, v4 row_shr:1 row_mask:0xf bank_mask:0xf
	v_mov_b32_dpp v7, v5 row_shr:1 row_mask:0xf bank_mask:0xf
	;; [unrolled: 1-line block ×3, first 2 shown]
	v_pk_add_f32 v[4:5], v[4:5], v[6:7]
	v_add_f32_e32 v1, v1, v3
	v_cmp_eq_u32_e32 vcc, 7, v0
	v_mov_b32_dpp v6, v4 row_shr:2 row_mask:0xf bank_mask:0xf
	v_mov_b32_dpp v7, v5 row_shr:2 row_mask:0xf bank_mask:0xf
	;; [unrolled: 1-line block ×3, first 2 shown]
	v_pk_add_f32 v[4:5], v[4:5], v[6:7]
	v_add_f32_e32 v1, v1, v3
	s_nop 0
	v_mov_b32_dpp v6, v4 row_shr:4 row_mask:0xf bank_mask:0xe
	v_mov_b32_dpp v7, v5 row_shr:4 row_mask:0xf bank_mask:0xe
	;; [unrolled: 1-line block ×3, first 2 shown]
	s_and_b64 exec, exec, vcc
	s_cbranch_execz .LBB96_10
; %bb.26:
	s_load_dwordx2 s[0:1], s[0:1], 0x50
	v_pk_add_f32 v[4:5], v[4:5], v[6:7]
	v_add_f32_e32 v0, v1, v3
	v_cmp_eq_f32_e64 s[2:3], s14, 0
	v_lshl_add_u32 v6, v2, 1, v2
	s_and_b64 vcc, exec, s[2:3]
	v_mul_f32_e32 v2, s12, v0
	v_ashrrev_i32_e32 v7, 31, v6
	s_cbranch_vccz .LBB96_28
; %bb.27:
	s_waitcnt lgkmcnt(0)
	v_lshl_add_u64 v[8:9], v[6:7], 2, s[0:1]
	v_pk_mul_f32 v[0:1], s[12:13], v[4:5] op_sel_hi:[0,1]
	global_store_dwordx3 v[8:9], v[0:2], off
	s_cbranch_execnz .LBB96_10
	s_branch .LBB96_29
.LBB96_28:
.LBB96_29:
	s_waitcnt lgkmcnt(0)
	v_lshl_add_u64 v[10:11], v[6:7], 2, s[0:1]
	global_load_dwordx3 v[6:8], v[10:11], off
	v_pk_mul_f32 v[0:1], s[12:13], v[4:5] op_sel_hi:[0,1]
	s_waitcnt vmcnt(0)
	v_pk_fma_f32 v[0:1], s[14:15], v[6:7], v[0:1] op_sel_hi:[0,1,1]
	v_fmac_f32_e32 v2, s14, v8
	global_store_dwordx3 v[10:11], v[0:2], off
	s_endpgm
	.section	.rodata,"a",@progbits
	.p2align	6, 0x0
	.amdhsa_kernel _ZN9rocsparseL18bsrxmvn_3x3_kernelILj256ELj8EfliDF16_DF16_fEEvT3_20rocsparse_direction_NS_24const_host_device_scalarIT1_EES1_PKS1_PKT2_SA_S7_PKT4_PKT5_S5_PT6_21rocsparse_index_base_b
		.amdhsa_group_segment_fixed_size 0
		.amdhsa_private_segment_fixed_size 0
		.amdhsa_kernarg_size 96
		.amdhsa_user_sgpr_count 2
		.amdhsa_user_sgpr_dispatch_ptr 0
		.amdhsa_user_sgpr_queue_ptr 0
		.amdhsa_user_sgpr_kernarg_segment_ptr 1
		.amdhsa_user_sgpr_dispatch_id 0
		.amdhsa_user_sgpr_kernarg_preload_length 0
		.amdhsa_user_sgpr_kernarg_preload_offset 0
		.amdhsa_user_sgpr_private_segment_size 0
		.amdhsa_uses_dynamic_stack 0
		.amdhsa_enable_private_segment 0
		.amdhsa_system_sgpr_workgroup_id_x 1
		.amdhsa_system_sgpr_workgroup_id_y 0
		.amdhsa_system_sgpr_workgroup_id_z 0
		.amdhsa_system_sgpr_workgroup_info 0
		.amdhsa_system_vgpr_workitem_id 0
		.amdhsa_next_free_vgpr 31
		.amdhsa_next_free_sgpr 22
		.amdhsa_accum_offset 32
		.amdhsa_reserve_vcc 1
		.amdhsa_float_round_mode_32 0
		.amdhsa_float_round_mode_16_64 0
		.amdhsa_float_denorm_mode_32 3
		.amdhsa_float_denorm_mode_16_64 3
		.amdhsa_dx10_clamp 1
		.amdhsa_ieee_mode 1
		.amdhsa_fp16_overflow 0
		.amdhsa_tg_split 0
		.amdhsa_exception_fp_ieee_invalid_op 0
		.amdhsa_exception_fp_denorm_src 0
		.amdhsa_exception_fp_ieee_div_zero 0
		.amdhsa_exception_fp_ieee_overflow 0
		.amdhsa_exception_fp_ieee_underflow 0
		.amdhsa_exception_fp_ieee_inexact 0
		.amdhsa_exception_int_div_zero 0
	.end_amdhsa_kernel
	.section	.text._ZN9rocsparseL18bsrxmvn_3x3_kernelILj256ELj8EfliDF16_DF16_fEEvT3_20rocsparse_direction_NS_24const_host_device_scalarIT1_EES1_PKS1_PKT2_SA_S7_PKT4_PKT5_S5_PT6_21rocsparse_index_base_b,"axG",@progbits,_ZN9rocsparseL18bsrxmvn_3x3_kernelILj256ELj8EfliDF16_DF16_fEEvT3_20rocsparse_direction_NS_24const_host_device_scalarIT1_EES1_PKS1_PKT2_SA_S7_PKT4_PKT5_S5_PT6_21rocsparse_index_base_b,comdat
.Lfunc_end96:
	.size	_ZN9rocsparseL18bsrxmvn_3x3_kernelILj256ELj8EfliDF16_DF16_fEEvT3_20rocsparse_direction_NS_24const_host_device_scalarIT1_EES1_PKS1_PKT2_SA_S7_PKT4_PKT5_S5_PT6_21rocsparse_index_base_b, .Lfunc_end96-_ZN9rocsparseL18bsrxmvn_3x3_kernelILj256ELj8EfliDF16_DF16_fEEvT3_20rocsparse_direction_NS_24const_host_device_scalarIT1_EES1_PKS1_PKT2_SA_S7_PKT4_PKT5_S5_PT6_21rocsparse_index_base_b
                                        ; -- End function
	.section	.AMDGPU.csdata,"",@progbits
; Kernel info:
; codeLenInByte = 1304
; NumSgprs: 28
; NumVgprs: 31
; NumAgprs: 0
; TotalNumVgprs: 31
; ScratchSize: 0
; MemoryBound: 0
; FloatMode: 240
; IeeeMode: 1
; LDSByteSize: 0 bytes/workgroup (compile time only)
; SGPRBlocks: 3
; VGPRBlocks: 3
; NumSGPRsForWavesPerEU: 28
; NumVGPRsForWavesPerEU: 31
; AccumOffset: 32
; Occupancy: 8
; WaveLimiterHint : 1
; COMPUTE_PGM_RSRC2:SCRATCH_EN: 0
; COMPUTE_PGM_RSRC2:USER_SGPR: 2
; COMPUTE_PGM_RSRC2:TRAP_HANDLER: 0
; COMPUTE_PGM_RSRC2:TGID_X_EN: 1
; COMPUTE_PGM_RSRC2:TGID_Y_EN: 0
; COMPUTE_PGM_RSRC2:TGID_Z_EN: 0
; COMPUTE_PGM_RSRC2:TIDIG_COMP_CNT: 0
; COMPUTE_PGM_RSRC3_GFX90A:ACCUM_OFFSET: 7
; COMPUTE_PGM_RSRC3_GFX90A:TG_SPLIT: 0
	.section	.text._ZN9rocsparseL18bsrxmvn_3x3_kernelILj256ELj16EfliDF16_DF16_fEEvT3_20rocsparse_direction_NS_24const_host_device_scalarIT1_EES1_PKS1_PKT2_SA_S7_PKT4_PKT5_S5_PT6_21rocsparse_index_base_b,"axG",@progbits,_ZN9rocsparseL18bsrxmvn_3x3_kernelILj256ELj16EfliDF16_DF16_fEEvT3_20rocsparse_direction_NS_24const_host_device_scalarIT1_EES1_PKS1_PKT2_SA_S7_PKT4_PKT5_S5_PT6_21rocsparse_index_base_b,comdat
	.globl	_ZN9rocsparseL18bsrxmvn_3x3_kernelILj256ELj16EfliDF16_DF16_fEEvT3_20rocsparse_direction_NS_24const_host_device_scalarIT1_EES1_PKS1_PKT2_SA_S7_PKT4_PKT5_S5_PT6_21rocsparse_index_base_b ; -- Begin function _ZN9rocsparseL18bsrxmvn_3x3_kernelILj256ELj16EfliDF16_DF16_fEEvT3_20rocsparse_direction_NS_24const_host_device_scalarIT1_EES1_PKS1_PKT2_SA_S7_PKT4_PKT5_S5_PT6_21rocsparse_index_base_b
	.p2align	8
	.type	_ZN9rocsparseL18bsrxmvn_3x3_kernelILj256ELj16EfliDF16_DF16_fEEvT3_20rocsparse_direction_NS_24const_host_device_scalarIT1_EES1_PKS1_PKT2_SA_S7_PKT4_PKT5_S5_PT6_21rocsparse_index_base_b,@function
_ZN9rocsparseL18bsrxmvn_3x3_kernelILj256ELj16EfliDF16_DF16_fEEvT3_20rocsparse_direction_NS_24const_host_device_scalarIT1_EES1_PKS1_PKT2_SA_S7_PKT4_PKT5_S5_PT6_21rocsparse_index_base_b: ; @_ZN9rocsparseL18bsrxmvn_3x3_kernelILj256ELj16EfliDF16_DF16_fEEvT3_20rocsparse_direction_NS_24const_host_device_scalarIT1_EES1_PKS1_PKT2_SA_S7_PKT4_PKT5_S5_PT6_21rocsparse_index_base_b
; %bb.0:
	s_load_dwordx2 s[16:17], s[0:1], 0x58
	s_load_dwordx2 s[12:13], s[0:1], 0x8
	;; [unrolled: 1-line block ×3, first 2 shown]
	s_waitcnt lgkmcnt(0)
	s_bitcmp1_b32 s17, 0
	s_cselect_b64 s[6:7], -1, 0
	s_xor_b64 s[4:5], s[6:7], -1
	s_and_b64 vcc, exec, s[6:7]
	s_cbranch_vccnz .LBB97_2
; %bb.1:
	s_load_dword s12, s[12:13], 0x0
.LBB97_2:
	s_andn2_b64 vcc, exec, s[4:5]
	s_cbranch_vccnz .LBB97_4
; %bb.3:
	s_load_dword s14, s[14:15], 0x0
.LBB97_4:
	s_waitcnt lgkmcnt(0)
	v_cmp_neq_f32_e64 s[4:5], s12, 0
	v_cmp_neq_f32_e64 s[6:7], s14, 1.0
	s_or_b64 s[4:5], s[4:5], s[6:7]
	s_andn2_b64 vcc, exec, s[4:5]
	s_cbranch_vccnz .LBB97_10
; %bb.5:
	s_load_dwordx2 s[4:5], s[0:1], 0x18
	s_load_dwordx2 s[18:19], s[0:1], 0x0
	v_lshrrev_b32_e32 v1, 4, v0
	v_lshl_or_b32 v2, s2, 4, v1
	s_mov_b64 s[2:3], 0
	s_waitcnt lgkmcnt(0)
	s_cmp_lg_u64 s[4:5], 0
	s_cbranch_scc0 .LBB97_11
; %bb.6:
	s_load_dword s6, s[0:1], 0x10
                                        ; implicit-def: $vgpr1
	s_waitcnt lgkmcnt(0)
	v_cmp_gt_i32_e32 vcc, s6, v2
	s_and_saveexec_b64 s[6:7], vcc
	s_xor_b64 s[6:7], exec, s[6:7]
	s_cbranch_execz .LBB97_8
; %bb.7:
	v_ashrrev_i32_e32 v3, 31, v2
	v_lshl_add_u64 v[4:5], v[2:3], 2, s[4:5]
	global_load_dword v1, v[4:5], off
	s_mov_b64 s[2:3], exec
	s_waitcnt vmcnt(0)
	v_subrev_u32_e32 v1, s16, v1
.LBB97_8:
	s_or_b64 exec, exec, s[6:7]
	s_branch .LBB97_12
.LBB97_9:
	v_cmp_gt_i32_e32 vcc, s18, v2
	s_andn2_b64 s[2:3], s[2:3], exec
	s_and_b64 s[4:5], vcc, exec
	s_or_b64 s[2:3], s[2:3], s[4:5]
	s_and_saveexec_b64 s[4:5], s[2:3]
	s_cbranch_execnz .LBB97_13
.LBB97_10:
	s_endpgm
.LBB97_11:
                                        ; implicit-def: $vgpr1
	s_cbranch_execnz .LBB97_9
.LBB97_12:
	v_mov_b32_e32 v2, v1
	s_and_saveexec_b64 s[4:5], s[2:3]
	s_cbranch_execz .LBB97_10
.LBB97_13:
	s_load_dwordx8 s[4:11], s[0:1], 0x20
	v_ashrrev_i32_e32 v3, 31, v2
	v_lshlrev_b64 v[4:5], 3, v[2:3]
	v_and_b32_e32 v0, 15, v0
	s_waitcnt lgkmcnt(0)
	v_lshl_add_u64 v[6:7], s[4:5], 0, v[4:5]
	s_cmp_eq_u64 s[6:7], 0
	v_lshl_add_u64 v[4:5], s[6:7], 0, v[4:5]
	global_load_dwordx2 v[8:9], v[6:7], off
	v_lshl_add_u64 v[6:7], v[6:7], 0, 8
	s_cselect_b64 vcc, -1, 0
	v_cndmask_b32_e32 v5, v5, v7, vcc
	v_cndmask_b32_e32 v4, v4, v6, vcc
	global_load_dwordx2 v[10:11], v[4:5], off
	v_mov_b32_e32 v5, 0
	v_mov_b32_e32 v1, v5
	s_load_dwordx2 s[4:5], s[0:1], 0x40
	s_cmp_eq_u32 s19, 1
	s_waitcnt vmcnt(1)
	v_subrev_co_u32_e32 v6, vcc, s16, v8
	s_nop 1
	v_subbrev_co_u32_e32 v7, vcc, 0, v9, vcc
	v_lshl_add_u64 v[6:7], v[6:7], 0, v[0:1]
	s_waitcnt vmcnt(0)
	v_subrev_co_u32_e32 v8, vcc, s16, v10
	s_nop 1
	v_subbrev_co_u32_e32 v9, vcc, 0, v11, vcc
	v_mad_u64_u32 v[10:11], s[2:3], v6, 18, s[10:11]
	v_mov_b32_e32 v4, v11
	v_mad_u64_u32 v[12:13], s[2:3], v7, 18, v[4:5]
	v_mov_b32_e32 v11, v12
	v_cmp_lt_i64_e64 s[2:3], v[6:7], v[8:9]
	s_cbranch_scc1 .LBB97_19
; %bb.14:
	v_mov_b32_e32 v4, 0
	v_mov_b32_e32 v1, 0
	s_and_saveexec_b64 s[6:7], s[2:3]
	s_cbranch_execz .LBB97_18
; %bb.15:
	v_mov_b32_e32 v1, 0
	v_lshl_add_u64 v[12:13], v[6:7], 2, s[8:9]
	s_mov_b64 s[10:11], 0
	s_mov_b64 s[18:19], 0x120
	v_mov_b64_e32 v[14:15], v[10:11]
	v_mov_b64_e32 v[16:17], v[6:7]
	v_mov_b32_e32 v4, 0
	v_mov_b32_e32 v5, v1
.LBB97_16:                              ; =>This Inner Loop Header: Depth=1
	global_load_dword v3, v[12:13], off
	global_load_dwordx4 v[18:21], v[14:15], off
	v_lshl_add_u64 v[16:17], v[16:17], 0, 16
	v_cmp_ge_i64_e32 vcc, v[16:17], v[8:9]
	v_lshl_add_u64 v[12:13], v[12:13], 0, 64
	s_or_b64 s[10:11], vcc, s[10:11]
	s_waitcnt vmcnt(1)
	v_subrev_u32_e32 v3, s16, v3
	v_lshl_add_u32 v22, v3, 1, v3
	v_ashrrev_i32_e32 v23, 31, v22
	s_waitcnt lgkmcnt(0)
	v_lshl_add_u64 v[22:23], v[22:23], 1, s[4:5]
	global_load_dword v3, v[22:23], off
	global_load_ushort v29, v[22:23], off offset:4
	global_load_ushort v30, v[14:15], off offset:16
	s_waitcnt vmcnt(3)
	v_cvt_f32_f16_sdwa v23, v19 dst_sel:DWORD dst_unused:UNUSED_PAD src0_sel:WORD_1
	v_cvt_f32_f16_e32 v22, v18
	v_cvt_f32_f16_sdwa v24, v18 dst_sel:DWORD dst_unused:UNUSED_PAD src0_sel:WORD_1
	v_cvt_f32_f16_e32 v25, v20
	;; [unrolled: 2-line block ×3, first 2 shown]
	v_lshl_add_u64 v[14:15], v[14:15], 0, s[18:19]
	s_waitcnt vmcnt(2)
	v_cvt_f32_f16_e32 v18, v3
	v_cvt_f32_f16_sdwa v20, v3 dst_sel:DWORD dst_unused:UNUSED_PAD src0_sel:WORD_1
	s_waitcnt vmcnt(1)
	v_cvt_f32_f16_e32 v28, v29
	v_fma_mix_f32 v1, v21, v3, v1 op_sel_hi:[1,1,0]
	v_pk_fma_f32 v[4:5], v[22:23], v[18:19], v[4:5] op_sel_hi:[1,0,1]
	v_fma_mix_f32 v1, v21, v3, v1 op_sel:[1,1,0] op_sel_hi:[1,1,0]
	v_pk_fma_f32 v[4:5], v[24:25], v[20:21], v[4:5] op_sel_hi:[1,0,1]
	s_waitcnt vmcnt(0)
	v_fma_mix_f32 v1, v30, v29, v1 op_sel_hi:[1,1,0]
	v_pk_fma_f32 v[4:5], v[26:27], v[28:29], v[4:5] op_sel_hi:[1,0,1]
	s_andn2_b64 exec, exec, s[10:11]
	s_cbranch_execnz .LBB97_16
; %bb.17:
	s_or_b64 exec, exec, s[10:11]
.LBB97_18:
	s_or_b64 exec, exec, s[6:7]
	s_cbranch_execz .LBB97_20
	s_branch .LBB97_25
.LBB97_19:
                                        ; implicit-def: $vgpr5
                                        ; implicit-def: $vgpr1
.LBB97_20:
	v_mov_b32_e32 v5, 0
	v_mov_b32_e32 v4, v5
	v_mov_b32_e32 v1, v5
	s_and_saveexec_b64 s[6:7], s[2:3]
	s_cbranch_execz .LBB97_24
; %bb.21:
	v_mov_b32_e32 v1, 0
	v_lshl_add_u64 v[12:13], v[6:7], 2, s[8:9]
	s_mov_b64 s[2:3], 0
	s_mov_b64 s[8:9], 0x120
	v_mov_b32_e32 v4, 0
	v_mov_b32_e32 v5, v1
.LBB97_22:                              ; =>This Inner Loop Header: Depth=1
	global_load_dword v3, v[12:13], off
	global_load_dwordx4 v[14:17], v[10:11], off
	v_lshl_add_u64 v[6:7], v[6:7], 0, 16
	v_cmp_ge_i64_e32 vcc, v[6:7], v[8:9]
	v_lshl_add_u64 v[12:13], v[12:13], 0, 64
	s_or_b64 s[2:3], vcc, s[2:3]
	s_waitcnt vmcnt(1)
	v_subrev_u32_e32 v3, s16, v3
	v_lshl_add_u32 v18, v3, 1, v3
	v_ashrrev_i32_e32 v19, 31, v18
	s_waitcnt lgkmcnt(0)
	v_lshl_add_u64 v[18:19], v[18:19], 1, s[4:5]
	global_load_dword v3, v[18:19], off
	global_load_ushort v25, v[18:19], off offset:4
	global_load_ushort v27, v[10:11], off offset:16
	s_waitcnt vmcnt(3)
	v_cvt_f32_f16_sdwa v19, v14 dst_sel:DWORD dst_unused:UNUSED_PAD src0_sel:WORD_1
	v_cvt_f32_f16_e32 v18, v14
	v_cvt_f32_f16_sdwa v20, v15 dst_sel:DWORD dst_unused:UNUSED_PAD src0_sel:WORD_1
	v_cvt_f32_f16_e32 v21, v16
	;; [unrolled: 2-line block ×3, first 2 shown]
	v_lshl_add_u64 v[10:11], v[10:11], 0, s[8:9]
	s_waitcnt vmcnt(2)
	v_cvt_f32_f16_e32 v14, v3
	v_cvt_f32_f16_sdwa v24, v3 dst_sel:DWORD dst_unused:UNUSED_PAD src0_sel:WORD_1
	s_waitcnt vmcnt(1)
	v_cvt_f32_f16_e32 v26, v25
	v_fma_mix_f32 v1, v15, v3, v1 op_sel_hi:[1,1,0]
	v_pk_fma_f32 v[4:5], v[18:19], v[14:15], v[4:5] op_sel_hi:[1,0,1]
	v_fma_mix_f32 v1, v16, v3, v1 op_sel:[1,1,0] op_sel_hi:[1,1,0]
	v_pk_fma_f32 v[4:5], v[20:21], v[24:25], v[4:5] op_sel_hi:[1,0,1]
	s_waitcnt vmcnt(0)
	v_fma_mix_f32 v1, v27, v25, v1 op_sel_hi:[1,1,0]
	v_pk_fma_f32 v[4:5], v[22:23], v[26:27], v[4:5] op_sel_hi:[1,0,1]
	s_andn2_b64 exec, exec, s[2:3]
	s_cbranch_execnz .LBB97_22
; %bb.23:
	s_or_b64 exec, exec, s[2:3]
.LBB97_24:
	s_or_b64 exec, exec, s[6:7]
.LBB97_25:
	v_mov_b32_dpp v6, v4 row_shr:1 row_mask:0xf bank_mask:0xf
	v_mov_b32_dpp v7, v5 row_shr:1 row_mask:0xf bank_mask:0xf
	;; [unrolled: 1-line block ×3, first 2 shown]
	v_pk_add_f32 v[4:5], v[4:5], v[6:7]
	v_add_f32_e32 v1, v1, v3
	v_cmp_eq_u32_e32 vcc, 15, v0
	v_mov_b32_dpp v6, v4 row_shr:2 row_mask:0xf bank_mask:0xf
	v_mov_b32_dpp v7, v5 row_shr:2 row_mask:0xf bank_mask:0xf
	;; [unrolled: 1-line block ×3, first 2 shown]
	v_pk_add_f32 v[4:5], v[4:5], v[6:7]
	v_add_f32_e32 v1, v1, v3
	s_nop 0
	v_mov_b32_dpp v6, v4 row_shr:4 row_mask:0xf bank_mask:0xe
	v_mov_b32_dpp v7, v5 row_shr:4 row_mask:0xf bank_mask:0xe
	;; [unrolled: 1-line block ×3, first 2 shown]
	v_pk_add_f32 v[4:5], v[4:5], v[6:7]
	v_add_f32_e32 v1, v1, v3
	s_nop 0
	v_mov_b32_dpp v6, v4 row_shr:8 row_mask:0xf bank_mask:0xc
	v_mov_b32_dpp v7, v5 row_shr:8 row_mask:0xf bank_mask:0xc
	;; [unrolled: 1-line block ×3, first 2 shown]
	s_and_b64 exec, exec, vcc
	s_cbranch_execz .LBB97_10
; %bb.26:
	s_load_dwordx2 s[0:1], s[0:1], 0x50
	v_pk_add_f32 v[4:5], v[4:5], v[6:7]
	v_add_f32_e32 v0, v1, v3
	v_cmp_eq_f32_e64 s[2:3], s14, 0
	v_lshl_add_u32 v6, v2, 1, v2
	s_and_b64 vcc, exec, s[2:3]
	v_mul_f32_e32 v2, s12, v0
	v_ashrrev_i32_e32 v7, 31, v6
	s_cbranch_vccz .LBB97_28
; %bb.27:
	s_waitcnt lgkmcnt(0)
	v_lshl_add_u64 v[8:9], v[6:7], 2, s[0:1]
	v_pk_mul_f32 v[0:1], s[12:13], v[4:5] op_sel_hi:[0,1]
	global_store_dwordx3 v[8:9], v[0:2], off
	s_cbranch_execnz .LBB97_10
	s_branch .LBB97_29
.LBB97_28:
.LBB97_29:
	s_waitcnt lgkmcnt(0)
	v_lshl_add_u64 v[10:11], v[6:7], 2, s[0:1]
	global_load_dwordx3 v[6:8], v[10:11], off
	v_pk_mul_f32 v[0:1], s[12:13], v[4:5] op_sel_hi:[0,1]
	s_waitcnt vmcnt(0)
	v_pk_fma_f32 v[0:1], s[14:15], v[6:7], v[0:1] op_sel_hi:[0,1,1]
	v_fmac_f32_e32 v2, s14, v8
	global_store_dwordx3 v[10:11], v[0:2], off
	s_endpgm
	.section	.rodata,"a",@progbits
	.p2align	6, 0x0
	.amdhsa_kernel _ZN9rocsparseL18bsrxmvn_3x3_kernelILj256ELj16EfliDF16_DF16_fEEvT3_20rocsparse_direction_NS_24const_host_device_scalarIT1_EES1_PKS1_PKT2_SA_S7_PKT4_PKT5_S5_PT6_21rocsparse_index_base_b
		.amdhsa_group_segment_fixed_size 0
		.amdhsa_private_segment_fixed_size 0
		.amdhsa_kernarg_size 96
		.amdhsa_user_sgpr_count 2
		.amdhsa_user_sgpr_dispatch_ptr 0
		.amdhsa_user_sgpr_queue_ptr 0
		.amdhsa_user_sgpr_kernarg_segment_ptr 1
		.amdhsa_user_sgpr_dispatch_id 0
		.amdhsa_user_sgpr_kernarg_preload_length 0
		.amdhsa_user_sgpr_kernarg_preload_offset 0
		.amdhsa_user_sgpr_private_segment_size 0
		.amdhsa_uses_dynamic_stack 0
		.amdhsa_enable_private_segment 0
		.amdhsa_system_sgpr_workgroup_id_x 1
		.amdhsa_system_sgpr_workgroup_id_y 0
		.amdhsa_system_sgpr_workgroup_id_z 0
		.amdhsa_system_sgpr_workgroup_info 0
		.amdhsa_system_vgpr_workitem_id 0
		.amdhsa_next_free_vgpr 31
		.amdhsa_next_free_sgpr 20
		.amdhsa_accum_offset 32
		.amdhsa_reserve_vcc 1
		.amdhsa_float_round_mode_32 0
		.amdhsa_float_round_mode_16_64 0
		.amdhsa_float_denorm_mode_32 3
		.amdhsa_float_denorm_mode_16_64 3
		.amdhsa_dx10_clamp 1
		.amdhsa_ieee_mode 1
		.amdhsa_fp16_overflow 0
		.amdhsa_tg_split 0
		.amdhsa_exception_fp_ieee_invalid_op 0
		.amdhsa_exception_fp_denorm_src 0
		.amdhsa_exception_fp_ieee_div_zero 0
		.amdhsa_exception_fp_ieee_overflow 0
		.amdhsa_exception_fp_ieee_underflow 0
		.amdhsa_exception_fp_ieee_inexact 0
		.amdhsa_exception_int_div_zero 0
	.end_amdhsa_kernel
	.section	.text._ZN9rocsparseL18bsrxmvn_3x3_kernelILj256ELj16EfliDF16_DF16_fEEvT3_20rocsparse_direction_NS_24const_host_device_scalarIT1_EES1_PKS1_PKT2_SA_S7_PKT4_PKT5_S5_PT6_21rocsparse_index_base_b,"axG",@progbits,_ZN9rocsparseL18bsrxmvn_3x3_kernelILj256ELj16EfliDF16_DF16_fEEvT3_20rocsparse_direction_NS_24const_host_device_scalarIT1_EES1_PKS1_PKT2_SA_S7_PKT4_PKT5_S5_PT6_21rocsparse_index_base_b,comdat
.Lfunc_end97:
	.size	_ZN9rocsparseL18bsrxmvn_3x3_kernelILj256ELj16EfliDF16_DF16_fEEvT3_20rocsparse_direction_NS_24const_host_device_scalarIT1_EES1_PKS1_PKT2_SA_S7_PKT4_PKT5_S5_PT6_21rocsparse_index_base_b, .Lfunc_end97-_ZN9rocsparseL18bsrxmvn_3x3_kernelILj256ELj16EfliDF16_DF16_fEEvT3_20rocsparse_direction_NS_24const_host_device_scalarIT1_EES1_PKS1_PKT2_SA_S7_PKT4_PKT5_S5_PT6_21rocsparse_index_base_b
                                        ; -- End function
	.section	.AMDGPU.csdata,"",@progbits
; Kernel info:
; codeLenInByte = 1324
; NumSgprs: 26
; NumVgprs: 31
; NumAgprs: 0
; TotalNumVgprs: 31
; ScratchSize: 0
; MemoryBound: 0
; FloatMode: 240
; IeeeMode: 1
; LDSByteSize: 0 bytes/workgroup (compile time only)
; SGPRBlocks: 3
; VGPRBlocks: 3
; NumSGPRsForWavesPerEU: 26
; NumVGPRsForWavesPerEU: 31
; AccumOffset: 32
; Occupancy: 8
; WaveLimiterHint : 1
; COMPUTE_PGM_RSRC2:SCRATCH_EN: 0
; COMPUTE_PGM_RSRC2:USER_SGPR: 2
; COMPUTE_PGM_RSRC2:TRAP_HANDLER: 0
; COMPUTE_PGM_RSRC2:TGID_X_EN: 1
; COMPUTE_PGM_RSRC2:TGID_Y_EN: 0
; COMPUTE_PGM_RSRC2:TGID_Z_EN: 0
; COMPUTE_PGM_RSRC2:TIDIG_COMP_CNT: 0
; COMPUTE_PGM_RSRC3_GFX90A:ACCUM_OFFSET: 7
; COMPUTE_PGM_RSRC3_GFX90A:TG_SPLIT: 0
	.section	.text._ZN9rocsparseL18bsrxmvn_3x3_kernelILj256ELj32EfliDF16_DF16_fEEvT3_20rocsparse_direction_NS_24const_host_device_scalarIT1_EES1_PKS1_PKT2_SA_S7_PKT4_PKT5_S5_PT6_21rocsparse_index_base_b,"axG",@progbits,_ZN9rocsparseL18bsrxmvn_3x3_kernelILj256ELj32EfliDF16_DF16_fEEvT3_20rocsparse_direction_NS_24const_host_device_scalarIT1_EES1_PKS1_PKT2_SA_S7_PKT4_PKT5_S5_PT6_21rocsparse_index_base_b,comdat
	.globl	_ZN9rocsparseL18bsrxmvn_3x3_kernelILj256ELj32EfliDF16_DF16_fEEvT3_20rocsparse_direction_NS_24const_host_device_scalarIT1_EES1_PKS1_PKT2_SA_S7_PKT4_PKT5_S5_PT6_21rocsparse_index_base_b ; -- Begin function _ZN9rocsparseL18bsrxmvn_3x3_kernelILj256ELj32EfliDF16_DF16_fEEvT3_20rocsparse_direction_NS_24const_host_device_scalarIT1_EES1_PKS1_PKT2_SA_S7_PKT4_PKT5_S5_PT6_21rocsparse_index_base_b
	.p2align	8
	.type	_ZN9rocsparseL18bsrxmvn_3x3_kernelILj256ELj32EfliDF16_DF16_fEEvT3_20rocsparse_direction_NS_24const_host_device_scalarIT1_EES1_PKS1_PKT2_SA_S7_PKT4_PKT5_S5_PT6_21rocsparse_index_base_b,@function
_ZN9rocsparseL18bsrxmvn_3x3_kernelILj256ELj32EfliDF16_DF16_fEEvT3_20rocsparse_direction_NS_24const_host_device_scalarIT1_EES1_PKS1_PKT2_SA_S7_PKT4_PKT5_S5_PT6_21rocsparse_index_base_b: ; @_ZN9rocsparseL18bsrxmvn_3x3_kernelILj256ELj32EfliDF16_DF16_fEEvT3_20rocsparse_direction_NS_24const_host_device_scalarIT1_EES1_PKS1_PKT2_SA_S7_PKT4_PKT5_S5_PT6_21rocsparse_index_base_b
; %bb.0:
	s_load_dwordx2 s[16:17], s[0:1], 0x58
	s_load_dwordx2 s[12:13], s[0:1], 0x8
	;; [unrolled: 1-line block ×3, first 2 shown]
	s_waitcnt lgkmcnt(0)
	s_bitcmp1_b32 s17, 0
	s_cselect_b64 s[6:7], -1, 0
	s_xor_b64 s[4:5], s[6:7], -1
	s_and_b64 vcc, exec, s[6:7]
	s_cbranch_vccnz .LBB98_2
; %bb.1:
	s_load_dword s12, s[12:13], 0x0
.LBB98_2:
	s_andn2_b64 vcc, exec, s[4:5]
	s_cbranch_vccnz .LBB98_4
; %bb.3:
	s_load_dword s14, s[14:15], 0x0
.LBB98_4:
	s_waitcnt lgkmcnt(0)
	v_cmp_neq_f32_e64 s[4:5], s12, 0
	v_cmp_neq_f32_e64 s[6:7], s14, 1.0
	s_or_b64 s[4:5], s[4:5], s[6:7]
	s_andn2_b64 vcc, exec, s[4:5]
	s_cbranch_vccnz .LBB98_10
; %bb.5:
	s_load_dwordx2 s[4:5], s[0:1], 0x18
	s_load_dwordx2 s[18:19], s[0:1], 0x0
	v_lshrrev_b32_e32 v1, 5, v0
	v_lshl_or_b32 v2, s2, 3, v1
	s_mov_b64 s[2:3], 0
	s_waitcnt lgkmcnt(0)
	s_cmp_lg_u64 s[4:5], 0
	s_cbranch_scc0 .LBB98_11
; %bb.6:
	s_load_dword s6, s[0:1], 0x10
                                        ; implicit-def: $vgpr1
	s_waitcnt lgkmcnt(0)
	v_cmp_gt_i32_e32 vcc, s6, v2
	s_and_saveexec_b64 s[6:7], vcc
	s_xor_b64 s[6:7], exec, s[6:7]
	s_cbranch_execz .LBB98_8
; %bb.7:
	v_ashrrev_i32_e32 v3, 31, v2
	v_lshl_add_u64 v[4:5], v[2:3], 2, s[4:5]
	global_load_dword v1, v[4:5], off
	s_mov_b64 s[2:3], exec
	s_waitcnt vmcnt(0)
	v_subrev_u32_e32 v1, s16, v1
.LBB98_8:
	s_or_b64 exec, exec, s[6:7]
	s_branch .LBB98_12
.LBB98_9:
	v_cmp_gt_i32_e32 vcc, s18, v2
	s_andn2_b64 s[2:3], s[2:3], exec
	s_and_b64 s[4:5], vcc, exec
	s_or_b64 s[2:3], s[2:3], s[4:5]
	s_and_saveexec_b64 s[4:5], s[2:3]
	s_cbranch_execnz .LBB98_13
.LBB98_10:
	s_endpgm
.LBB98_11:
                                        ; implicit-def: $vgpr1
	s_cbranch_execnz .LBB98_9
.LBB98_12:
	v_mov_b32_e32 v2, v1
	s_and_saveexec_b64 s[4:5], s[2:3]
	s_cbranch_execz .LBB98_10
.LBB98_13:
	s_load_dwordx8 s[4:11], s[0:1], 0x20
	v_ashrrev_i32_e32 v3, 31, v2
	v_lshlrev_b64 v[4:5], 3, v[2:3]
	v_and_b32_e32 v0, 31, v0
	s_waitcnt lgkmcnt(0)
	v_lshl_add_u64 v[6:7], s[4:5], 0, v[4:5]
	s_cmp_eq_u64 s[6:7], 0
	v_lshl_add_u64 v[4:5], s[6:7], 0, v[4:5]
	global_load_dwordx2 v[8:9], v[6:7], off
	v_lshl_add_u64 v[6:7], v[6:7], 0, 8
	s_cselect_b64 vcc, -1, 0
	v_cndmask_b32_e32 v5, v5, v7, vcc
	v_cndmask_b32_e32 v4, v4, v6, vcc
	global_load_dwordx2 v[10:11], v[4:5], off
	v_mov_b32_e32 v5, 0
	v_mov_b32_e32 v1, v5
	s_load_dwordx2 s[4:5], s[0:1], 0x40
	s_cmp_eq_u32 s19, 1
	s_waitcnt vmcnt(1)
	v_subrev_co_u32_e32 v6, vcc, s16, v8
	s_nop 1
	v_subbrev_co_u32_e32 v7, vcc, 0, v9, vcc
	v_lshl_add_u64 v[6:7], v[6:7], 0, v[0:1]
	s_waitcnt vmcnt(0)
	v_subrev_co_u32_e32 v8, vcc, s16, v10
	s_nop 1
	v_subbrev_co_u32_e32 v9, vcc, 0, v11, vcc
	v_mad_u64_u32 v[10:11], s[2:3], v6, 18, s[10:11]
	v_mov_b32_e32 v4, v11
	v_mad_u64_u32 v[12:13], s[2:3], v7, 18, v[4:5]
	v_mov_b32_e32 v11, v12
	v_cmp_lt_i64_e64 s[2:3], v[6:7], v[8:9]
	s_cbranch_scc1 .LBB98_19
; %bb.14:
	v_mov_b32_e32 v4, 0
	v_mov_b32_e32 v1, 0
	s_and_saveexec_b64 s[6:7], s[2:3]
	s_cbranch_execz .LBB98_18
; %bb.15:
	v_mov_b32_e32 v1, 0
	v_lshl_add_u64 v[12:13], v[6:7], 2, s[8:9]
	s_mov_b64 s[10:11], 0
	s_mov_b64 s[18:19], 0x240
	;; [unrolled: 1-line block ×3, first 2 shown]
	v_mov_b64_e32 v[14:15], v[10:11]
	v_mov_b64_e32 v[16:17], v[6:7]
	v_mov_b32_e32 v5, 0
	v_mov_b32_e32 v4, v1
.LBB98_16:                              ; =>This Inner Loop Header: Depth=1
	global_load_dword v3, v[12:13], off
	global_load_dwordx4 v[18:21], v[14:15], off
	v_lshl_add_u64 v[16:17], v[16:17], 0, 32
	v_cmp_ge_i64_e32 vcc, v[16:17], v[8:9]
	v_lshl_add_u64 v[12:13], v[12:13], 0, s[20:21]
	s_or_b64 s[10:11], vcc, s[10:11]
	s_waitcnt vmcnt(1)
	v_subrev_u32_e32 v3, s16, v3
	v_lshl_add_u32 v22, v3, 1, v3
	v_ashrrev_i32_e32 v23, 31, v22
	s_waitcnt lgkmcnt(0)
	v_lshl_add_u64 v[22:23], v[22:23], 1, s[4:5]
	global_load_dword v3, v[22:23], off
	global_load_ushort v29, v[22:23], off offset:4
	global_load_ushort v30, v[14:15], off offset:16
	s_waitcnt vmcnt(3)
	v_cvt_f32_f16_e32 v22, v18
	v_cvt_f32_f16_sdwa v23, v19 dst_sel:DWORD dst_unused:UNUSED_PAD src0_sel:WORD_1
	v_cvt_f32_f16_sdwa v24, v18 dst_sel:DWORD dst_unused:UNUSED_PAD src0_sel:WORD_1
	v_cvt_f32_f16_e32 v25, v20
	v_cvt_f32_f16_sdwa v27, v20 dst_sel:DWORD dst_unused:UNUSED_PAD src0_sel:WORD_1
	v_cvt_f32_f16_e32 v26, v19
	v_lshl_add_u64 v[14:15], v[14:15], 0, s[18:19]
	s_waitcnt vmcnt(2)
	v_cvt_f32_f16_e32 v18, v3
	v_cvt_f32_f16_sdwa v20, v3 dst_sel:DWORD dst_unused:UNUSED_PAD src0_sel:WORD_1
	s_waitcnt vmcnt(1)
	v_cvt_f32_f16_e32 v28, v29
	v_fma_mix_f32 v1, v21, v3, v1 op_sel_hi:[1,1,0]
	v_pk_fma_f32 v[4:5], v[22:23], v[18:19], v[4:5] op_sel_hi:[1,0,1]
	v_fma_mix_f32 v1, v21, v3, v1 op_sel:[1,1,0] op_sel_hi:[1,1,0]
	v_pk_fma_f32 v[4:5], v[24:25], v[20:21], v[4:5] op_sel_hi:[1,0,1]
	s_waitcnt vmcnt(0)
	v_fma_mix_f32 v1, v30, v29, v1 op_sel_hi:[1,1,0]
	v_pk_fma_f32 v[4:5], v[26:27], v[28:29], v[4:5] op_sel_hi:[1,0,1]
	s_andn2_b64 exec, exec, s[10:11]
	s_cbranch_execnz .LBB98_16
; %bb.17:
	s_or_b64 exec, exec, s[10:11]
.LBB98_18:
	s_or_b64 exec, exec, s[6:7]
	s_cbranch_execz .LBB98_20
	s_branch .LBB98_25
.LBB98_19:
                                        ; implicit-def: $vgpr5
                                        ; implicit-def: $vgpr1
.LBB98_20:
	v_mov_b32_e32 v5, 0
	v_mov_b32_e32 v4, v5
	;; [unrolled: 1-line block ×3, first 2 shown]
	s_and_saveexec_b64 s[6:7], s[2:3]
	s_cbranch_execz .LBB98_24
; %bb.21:
	v_mov_b32_e32 v1, 0
	v_lshl_add_u64 v[12:13], v[6:7], 2, s[8:9]
	s_mov_b64 s[2:3], 0
	s_mov_b64 s[8:9], 0x240
	;; [unrolled: 1-line block ×3, first 2 shown]
	v_mov_b32_e32 v5, 0
	v_mov_b32_e32 v4, v1
.LBB98_22:                              ; =>This Inner Loop Header: Depth=1
	global_load_dword v3, v[12:13], off
	global_load_dwordx4 v[14:17], v[10:11], off
	v_lshl_add_u64 v[6:7], v[6:7], 0, 32
	v_cmp_ge_i64_e32 vcc, v[6:7], v[8:9]
	v_lshl_add_u64 v[12:13], v[12:13], 0, s[10:11]
	s_or_b64 s[2:3], vcc, s[2:3]
	s_waitcnt vmcnt(1)
	v_subrev_u32_e32 v3, s16, v3
	v_lshl_add_u32 v18, v3, 1, v3
	v_ashrrev_i32_e32 v19, 31, v18
	s_waitcnt lgkmcnt(0)
	v_lshl_add_u64 v[18:19], v[18:19], 1, s[4:5]
	global_load_dword v3, v[18:19], off
	global_load_ushort v25, v[18:19], off offset:4
	global_load_ushort v27, v[10:11], off offset:16
	s_waitcnt vmcnt(3)
	v_cvt_f32_f16_sdwa v19, v14 dst_sel:DWORD dst_unused:UNUSED_PAD src0_sel:WORD_1
	v_cvt_f32_f16_e32 v18, v14
	v_cvt_f32_f16_sdwa v20, v15 dst_sel:DWORD dst_unused:UNUSED_PAD src0_sel:WORD_1
	v_cvt_f32_f16_e32 v21, v16
	v_cvt_f32_f16_sdwa v23, v17 dst_sel:DWORD dst_unused:UNUSED_PAD src0_sel:WORD_1
	v_cvt_f32_f16_e32 v22, v17
	v_lshl_add_u64 v[10:11], v[10:11], 0, s[8:9]
	s_waitcnt vmcnt(2)
	v_cvt_f32_f16_e32 v14, v3
	v_cvt_f32_f16_sdwa v24, v3 dst_sel:DWORD dst_unused:UNUSED_PAD src0_sel:WORD_1
	s_waitcnt vmcnt(1)
	v_cvt_f32_f16_e32 v26, v25
	v_fma_mix_f32 v1, v15, v3, v1 op_sel_hi:[1,1,0]
	v_pk_fma_f32 v[4:5], v[18:19], v[14:15], v[4:5] op_sel_hi:[1,0,1]
	v_fma_mix_f32 v1, v16, v3, v1 op_sel:[1,1,0] op_sel_hi:[1,1,0]
	v_pk_fma_f32 v[4:5], v[20:21], v[24:25], v[4:5] op_sel_hi:[1,0,1]
	s_waitcnt vmcnt(0)
	v_fma_mix_f32 v1, v27, v25, v1 op_sel_hi:[1,1,0]
	v_pk_fma_f32 v[4:5], v[22:23], v[26:27], v[4:5] op_sel_hi:[1,0,1]
	s_andn2_b64 exec, exec, s[2:3]
	s_cbranch_execnz .LBB98_22
; %bb.23:
	s_or_b64 exec, exec, s[2:3]
.LBB98_24:
	s_or_b64 exec, exec, s[6:7]
.LBB98_25:
	v_mov_b32_dpp v6, v4 row_shr:1 row_mask:0xf bank_mask:0xf
	v_mov_b32_dpp v7, v5 row_shr:1 row_mask:0xf bank_mask:0xf
	;; [unrolled: 1-line block ×3, first 2 shown]
	v_pk_add_f32 v[4:5], v[4:5], v[6:7]
	v_add_f32_e32 v1, v1, v3
	v_cmp_eq_u32_e32 vcc, 31, v0
	v_mov_b32_dpp v6, v4 row_shr:2 row_mask:0xf bank_mask:0xf
	v_mov_b32_dpp v7, v5 row_shr:2 row_mask:0xf bank_mask:0xf
	v_mov_b32_dpp v3, v1 row_shr:2 row_mask:0xf bank_mask:0xf
	v_pk_add_f32 v[4:5], v[4:5], v[6:7]
	v_add_f32_e32 v1, v1, v3
	s_nop 0
	v_mov_b32_dpp v6, v4 row_shr:4 row_mask:0xf bank_mask:0xe
	v_mov_b32_dpp v7, v5 row_shr:4 row_mask:0xf bank_mask:0xe
	v_mov_b32_dpp v3, v1 row_shr:4 row_mask:0xf bank_mask:0xe
	v_pk_add_f32 v[4:5], v[4:5], v[6:7]
	v_add_f32_e32 v1, v1, v3
	s_nop 0
	;; [unrolled: 6-line block ×3, first 2 shown]
	v_mov_b32_dpp v6, v4 row_bcast:15 row_mask:0xa bank_mask:0xf
	v_mov_b32_dpp v7, v5 row_bcast:15 row_mask:0xa bank_mask:0xf
	;; [unrolled: 1-line block ×3, first 2 shown]
	s_and_b64 exec, exec, vcc
	s_cbranch_execz .LBB98_10
; %bb.26:
	s_load_dwordx2 s[0:1], s[0:1], 0x50
	v_pk_add_f32 v[4:5], v[4:5], v[6:7]
	v_add_f32_e32 v0, v1, v3
	v_cmp_eq_f32_e64 s[2:3], s14, 0
	v_lshl_add_u32 v6, v2, 1, v2
	s_and_b64 vcc, exec, s[2:3]
	v_mul_f32_e32 v2, s12, v0
	v_ashrrev_i32_e32 v7, 31, v6
	s_cbranch_vccz .LBB98_28
; %bb.27:
	s_waitcnt lgkmcnt(0)
	v_lshl_add_u64 v[8:9], v[6:7], 2, s[0:1]
	v_pk_mul_f32 v[0:1], s[12:13], v[4:5] op_sel_hi:[0,1]
	global_store_dwordx3 v[8:9], v[0:2], off
	s_cbranch_execnz .LBB98_10
	s_branch .LBB98_29
.LBB98_28:
.LBB98_29:
	s_waitcnt lgkmcnt(0)
	v_lshl_add_u64 v[10:11], v[6:7], 2, s[0:1]
	global_load_dwordx3 v[6:8], v[10:11], off
	v_pk_mul_f32 v[0:1], s[12:13], v[4:5] op_sel_hi:[0,1]
	s_waitcnt vmcnt(0)
	v_pk_fma_f32 v[0:1], s[14:15], v[6:7], v[0:1] op_sel_hi:[0,1,1]
	v_fmac_f32_e32 v2, s14, v8
	global_store_dwordx3 v[10:11], v[0:2], off
	s_endpgm
	.section	.rodata,"a",@progbits
	.p2align	6, 0x0
	.amdhsa_kernel _ZN9rocsparseL18bsrxmvn_3x3_kernelILj256ELj32EfliDF16_DF16_fEEvT3_20rocsparse_direction_NS_24const_host_device_scalarIT1_EES1_PKS1_PKT2_SA_S7_PKT4_PKT5_S5_PT6_21rocsparse_index_base_b
		.amdhsa_group_segment_fixed_size 0
		.amdhsa_private_segment_fixed_size 0
		.amdhsa_kernarg_size 96
		.amdhsa_user_sgpr_count 2
		.amdhsa_user_sgpr_dispatch_ptr 0
		.amdhsa_user_sgpr_queue_ptr 0
		.amdhsa_user_sgpr_kernarg_segment_ptr 1
		.amdhsa_user_sgpr_dispatch_id 0
		.amdhsa_user_sgpr_kernarg_preload_length 0
		.amdhsa_user_sgpr_kernarg_preload_offset 0
		.amdhsa_user_sgpr_private_segment_size 0
		.amdhsa_uses_dynamic_stack 0
		.amdhsa_enable_private_segment 0
		.amdhsa_system_sgpr_workgroup_id_x 1
		.amdhsa_system_sgpr_workgroup_id_y 0
		.amdhsa_system_sgpr_workgroup_id_z 0
		.amdhsa_system_sgpr_workgroup_info 0
		.amdhsa_system_vgpr_workitem_id 0
		.amdhsa_next_free_vgpr 31
		.amdhsa_next_free_sgpr 22
		.amdhsa_accum_offset 32
		.amdhsa_reserve_vcc 1
		.amdhsa_float_round_mode_32 0
		.amdhsa_float_round_mode_16_64 0
		.amdhsa_float_denorm_mode_32 3
		.amdhsa_float_denorm_mode_16_64 3
		.amdhsa_dx10_clamp 1
		.amdhsa_ieee_mode 1
		.amdhsa_fp16_overflow 0
		.amdhsa_tg_split 0
		.amdhsa_exception_fp_ieee_invalid_op 0
		.amdhsa_exception_fp_denorm_src 0
		.amdhsa_exception_fp_ieee_div_zero 0
		.amdhsa_exception_fp_ieee_overflow 0
		.amdhsa_exception_fp_ieee_underflow 0
		.amdhsa_exception_fp_ieee_inexact 0
		.amdhsa_exception_int_div_zero 0
	.end_amdhsa_kernel
	.section	.text._ZN9rocsparseL18bsrxmvn_3x3_kernelILj256ELj32EfliDF16_DF16_fEEvT3_20rocsparse_direction_NS_24const_host_device_scalarIT1_EES1_PKS1_PKT2_SA_S7_PKT4_PKT5_S5_PT6_21rocsparse_index_base_b,"axG",@progbits,_ZN9rocsparseL18bsrxmvn_3x3_kernelILj256ELj32EfliDF16_DF16_fEEvT3_20rocsparse_direction_NS_24const_host_device_scalarIT1_EES1_PKS1_PKT2_SA_S7_PKT4_PKT5_S5_PT6_21rocsparse_index_base_b,comdat
.Lfunc_end98:
	.size	_ZN9rocsparseL18bsrxmvn_3x3_kernelILj256ELj32EfliDF16_DF16_fEEvT3_20rocsparse_direction_NS_24const_host_device_scalarIT1_EES1_PKS1_PKT2_SA_S7_PKT4_PKT5_S5_PT6_21rocsparse_index_base_b, .Lfunc_end98-_ZN9rocsparseL18bsrxmvn_3x3_kernelILj256ELj32EfliDF16_DF16_fEEvT3_20rocsparse_direction_NS_24const_host_device_scalarIT1_EES1_PKS1_PKT2_SA_S7_PKT4_PKT5_S5_PT6_21rocsparse_index_base_b
                                        ; -- End function
	.section	.AMDGPU.csdata,"",@progbits
; Kernel info:
; codeLenInByte = 1380
; NumSgprs: 28
; NumVgprs: 31
; NumAgprs: 0
; TotalNumVgprs: 31
; ScratchSize: 0
; MemoryBound: 0
; FloatMode: 240
; IeeeMode: 1
; LDSByteSize: 0 bytes/workgroup (compile time only)
; SGPRBlocks: 3
; VGPRBlocks: 3
; NumSGPRsForWavesPerEU: 28
; NumVGPRsForWavesPerEU: 31
; AccumOffset: 32
; Occupancy: 8
; WaveLimiterHint : 1
; COMPUTE_PGM_RSRC2:SCRATCH_EN: 0
; COMPUTE_PGM_RSRC2:USER_SGPR: 2
; COMPUTE_PGM_RSRC2:TRAP_HANDLER: 0
; COMPUTE_PGM_RSRC2:TGID_X_EN: 1
; COMPUTE_PGM_RSRC2:TGID_Y_EN: 0
; COMPUTE_PGM_RSRC2:TGID_Z_EN: 0
; COMPUTE_PGM_RSRC2:TIDIG_COMP_CNT: 0
; COMPUTE_PGM_RSRC3_GFX90A:ACCUM_OFFSET: 7
; COMPUTE_PGM_RSRC3_GFX90A:TG_SPLIT: 0
	.section	.text._ZN9rocsparseL18bsrxmvn_3x3_kernelILj256ELj64EfliDF16_DF16_fEEvT3_20rocsparse_direction_NS_24const_host_device_scalarIT1_EES1_PKS1_PKT2_SA_S7_PKT4_PKT5_S5_PT6_21rocsparse_index_base_b,"axG",@progbits,_ZN9rocsparseL18bsrxmvn_3x3_kernelILj256ELj64EfliDF16_DF16_fEEvT3_20rocsparse_direction_NS_24const_host_device_scalarIT1_EES1_PKS1_PKT2_SA_S7_PKT4_PKT5_S5_PT6_21rocsparse_index_base_b,comdat
	.globl	_ZN9rocsparseL18bsrxmvn_3x3_kernelILj256ELj64EfliDF16_DF16_fEEvT3_20rocsparse_direction_NS_24const_host_device_scalarIT1_EES1_PKS1_PKT2_SA_S7_PKT4_PKT5_S5_PT6_21rocsparse_index_base_b ; -- Begin function _ZN9rocsparseL18bsrxmvn_3x3_kernelILj256ELj64EfliDF16_DF16_fEEvT3_20rocsparse_direction_NS_24const_host_device_scalarIT1_EES1_PKS1_PKT2_SA_S7_PKT4_PKT5_S5_PT6_21rocsparse_index_base_b
	.p2align	8
	.type	_ZN9rocsparseL18bsrxmvn_3x3_kernelILj256ELj64EfliDF16_DF16_fEEvT3_20rocsparse_direction_NS_24const_host_device_scalarIT1_EES1_PKS1_PKT2_SA_S7_PKT4_PKT5_S5_PT6_21rocsparse_index_base_b,@function
_ZN9rocsparseL18bsrxmvn_3x3_kernelILj256ELj64EfliDF16_DF16_fEEvT3_20rocsparse_direction_NS_24const_host_device_scalarIT1_EES1_PKS1_PKT2_SA_S7_PKT4_PKT5_S5_PT6_21rocsparse_index_base_b: ; @_ZN9rocsparseL18bsrxmvn_3x3_kernelILj256ELj64EfliDF16_DF16_fEEvT3_20rocsparse_direction_NS_24const_host_device_scalarIT1_EES1_PKS1_PKT2_SA_S7_PKT4_PKT5_S5_PT6_21rocsparse_index_base_b
; %bb.0:
	s_load_dwordx2 s[16:17], s[0:1], 0x58
	s_load_dwordx2 s[12:13], s[0:1], 0x8
	;; [unrolled: 1-line block ×3, first 2 shown]
	s_waitcnt lgkmcnt(0)
	s_bitcmp1_b32 s17, 0
	s_cselect_b64 s[6:7], -1, 0
	s_xor_b64 s[4:5], s[6:7], -1
	s_and_b64 vcc, exec, s[6:7]
	s_cbranch_vccnz .LBB99_2
; %bb.1:
	s_load_dword s12, s[12:13], 0x0
.LBB99_2:
	s_andn2_b64 vcc, exec, s[4:5]
	s_cbranch_vccnz .LBB99_4
; %bb.3:
	s_load_dword s14, s[14:15], 0x0
.LBB99_4:
	s_waitcnt lgkmcnt(0)
	v_cmp_neq_f32_e64 s[4:5], s12, 0
	v_cmp_neq_f32_e64 s[6:7], s14, 1.0
	s_or_b64 s[4:5], s[4:5], s[6:7]
	s_andn2_b64 vcc, exec, s[4:5]
	s_cbranch_vccnz .LBB99_10
; %bb.5:
	s_load_dwordx2 s[4:5], s[0:1], 0x18
	s_load_dwordx2 s[18:19], s[0:1], 0x0
	v_lshrrev_b32_e32 v1, 6, v0
	v_lshl_or_b32 v2, s2, 2, v1
	s_mov_b64 s[2:3], 0
	s_waitcnt lgkmcnt(0)
	s_cmp_lg_u64 s[4:5], 0
	s_cbranch_scc0 .LBB99_11
; %bb.6:
	s_load_dword s6, s[0:1], 0x10
                                        ; implicit-def: $vgpr1
	s_waitcnt lgkmcnt(0)
	v_cmp_gt_i32_e32 vcc, s6, v2
	s_and_saveexec_b64 s[6:7], vcc
	s_xor_b64 s[6:7], exec, s[6:7]
	s_cbranch_execz .LBB99_8
; %bb.7:
	v_ashrrev_i32_e32 v3, 31, v2
	v_lshl_add_u64 v[4:5], v[2:3], 2, s[4:5]
	global_load_dword v1, v[4:5], off
	s_mov_b64 s[2:3], exec
	s_waitcnt vmcnt(0)
	v_subrev_u32_e32 v1, s16, v1
.LBB99_8:
	s_or_b64 exec, exec, s[6:7]
	s_branch .LBB99_12
.LBB99_9:
	v_cmp_gt_i32_e32 vcc, s18, v2
	s_andn2_b64 s[2:3], s[2:3], exec
	s_and_b64 s[4:5], vcc, exec
	s_or_b64 s[2:3], s[2:3], s[4:5]
	s_and_saveexec_b64 s[4:5], s[2:3]
	s_cbranch_execnz .LBB99_13
.LBB99_10:
	s_endpgm
.LBB99_11:
                                        ; implicit-def: $vgpr1
	s_cbranch_execnz .LBB99_9
.LBB99_12:
	v_mov_b32_e32 v2, v1
	s_and_saveexec_b64 s[4:5], s[2:3]
	s_cbranch_execz .LBB99_10
.LBB99_13:
	s_load_dwordx8 s[4:11], s[0:1], 0x20
	v_ashrrev_i32_e32 v3, 31, v2
	v_lshlrev_b64 v[4:5], 3, v[2:3]
	v_and_b32_e32 v0, 63, v0
	s_waitcnt lgkmcnt(0)
	v_lshl_add_u64 v[6:7], s[4:5], 0, v[4:5]
	s_cmp_eq_u64 s[6:7], 0
	v_lshl_add_u64 v[4:5], s[6:7], 0, v[4:5]
	global_load_dwordx2 v[8:9], v[6:7], off
	v_lshl_add_u64 v[6:7], v[6:7], 0, 8
	s_cselect_b64 vcc, -1, 0
	v_cndmask_b32_e32 v5, v5, v7, vcc
	v_cndmask_b32_e32 v4, v4, v6, vcc
	global_load_dwordx2 v[10:11], v[4:5], off
	v_mov_b32_e32 v5, 0
	v_mov_b32_e32 v1, v5
	s_load_dwordx2 s[4:5], s[0:1], 0x40
	s_cmp_eq_u32 s19, 1
	s_waitcnt vmcnt(1)
	v_subrev_co_u32_e32 v6, vcc, s16, v8
	s_nop 1
	v_subbrev_co_u32_e32 v7, vcc, 0, v9, vcc
	v_lshl_add_u64 v[6:7], v[6:7], 0, v[0:1]
	s_waitcnt vmcnt(0)
	v_subrev_co_u32_e32 v8, vcc, s16, v10
	s_nop 1
	v_subbrev_co_u32_e32 v9, vcc, 0, v11, vcc
	v_mad_u64_u32 v[10:11], s[2:3], v6, 18, s[10:11]
	v_mov_b32_e32 v4, v11
	v_mad_u64_u32 v[12:13], s[2:3], v7, 18, v[4:5]
	v_mov_b32_e32 v11, v12
	v_cmp_lt_i64_e64 s[2:3], v[6:7], v[8:9]
	s_cbranch_scc1 .LBB99_19
; %bb.14:
	v_mov_b32_e32 v4, 0
	v_mov_b32_e32 v1, 0
	s_and_saveexec_b64 s[6:7], s[2:3]
	s_cbranch_execz .LBB99_18
; %bb.15:
	v_mov_b32_e32 v1, 0
	v_lshl_add_u64 v[12:13], v[6:7], 2, s[8:9]
	s_mov_b64 s[10:11], 0
	s_mov_b64 s[18:19], 0x480
	;; [unrolled: 1-line block ×3, first 2 shown]
	v_mov_b64_e32 v[14:15], v[10:11]
	v_mov_b64_e32 v[16:17], v[6:7]
	v_mov_b32_e32 v4, 0
	v_mov_b32_e32 v5, v1
.LBB99_16:                              ; =>This Inner Loop Header: Depth=1
	global_load_dword v3, v[12:13], off
	global_load_dwordx4 v[18:21], v[14:15], off
	v_lshl_add_u64 v[16:17], v[16:17], 0, 64
	v_cmp_ge_i64_e32 vcc, v[16:17], v[8:9]
	v_lshl_add_u64 v[12:13], v[12:13], 0, s[20:21]
	s_or_b64 s[10:11], vcc, s[10:11]
	s_waitcnt vmcnt(1)
	v_subrev_u32_e32 v3, s16, v3
	v_lshl_add_u32 v22, v3, 1, v3
	v_ashrrev_i32_e32 v23, 31, v22
	s_waitcnt lgkmcnt(0)
	v_lshl_add_u64 v[22:23], v[22:23], 1, s[4:5]
	global_load_dword v3, v[22:23], off
	global_load_ushort v29, v[22:23], off offset:4
	global_load_ushort v30, v[14:15], off offset:16
	s_waitcnt vmcnt(3)
	v_cvt_f32_f16_sdwa v22, v18 dst_sel:DWORD dst_unused:UNUSED_PAD src0_sel:WORD_1
	v_cvt_f32_f16_sdwa v25, v19 dst_sel:DWORD dst_unused:UNUSED_PAD src0_sel:WORD_1
	v_cvt_f32_f16_e32 v24, v18
	v_cvt_f32_f16_e32 v23, v20
	v_cvt_f32_f16_sdwa v27, v20 dst_sel:DWORD dst_unused:UNUSED_PAD src0_sel:WORD_1
	v_cvt_f32_f16_e32 v26, v19
	v_lshl_add_u64 v[14:15], v[14:15], 0, s[18:19]
	s_waitcnt vmcnt(2)
	v_cvt_f32_f16_e32 v18, v3
	v_cvt_f32_f16_sdwa v20, v3 dst_sel:DWORD dst_unused:UNUSED_PAD src0_sel:WORD_1
	s_waitcnt vmcnt(1)
	v_cvt_f32_f16_e32 v28, v29
	v_fma_mix_f32 v1, v21, v3, v1 op_sel_hi:[1,1,0]
	v_pk_fma_f32 v[4:5], v[24:25], v[18:19], v[4:5] op_sel_hi:[1,0,1]
	v_fma_mix_f32 v1, v21, v3, v1 op_sel:[1,1,0] op_sel_hi:[1,1,0]
	v_pk_fma_f32 v[4:5], v[22:23], v[20:21], v[4:5] op_sel_hi:[1,0,1]
	s_waitcnt vmcnt(0)
	v_fma_mix_f32 v1, v30, v29, v1 op_sel_hi:[1,1,0]
	v_pk_fma_f32 v[4:5], v[26:27], v[28:29], v[4:5] op_sel_hi:[1,0,1]
	s_andn2_b64 exec, exec, s[10:11]
	s_cbranch_execnz .LBB99_16
; %bb.17:
	s_or_b64 exec, exec, s[10:11]
.LBB99_18:
	s_or_b64 exec, exec, s[6:7]
	s_cbranch_execz .LBB99_20
	s_branch .LBB99_25
.LBB99_19:
                                        ; implicit-def: $vgpr5
                                        ; implicit-def: $vgpr1
.LBB99_20:
	v_mov_b32_e32 v5, 0
	v_mov_b32_e32 v4, v5
	;; [unrolled: 1-line block ×3, first 2 shown]
	s_and_saveexec_b64 s[6:7], s[2:3]
	s_cbranch_execz .LBB99_24
; %bb.21:
	v_mov_b32_e32 v1, 0
	v_lshl_add_u64 v[12:13], v[6:7], 2, s[8:9]
	s_mov_b64 s[2:3], 0
	s_mov_b64 s[8:9], 0x480
	;; [unrolled: 1-line block ×3, first 2 shown]
	v_mov_b32_e32 v4, 0
	v_mov_b32_e32 v5, v1
.LBB99_22:                              ; =>This Inner Loop Header: Depth=1
	global_load_dword v3, v[12:13], off
	global_load_dwordx4 v[14:17], v[10:11], off
	v_lshl_add_u64 v[6:7], v[6:7], 0, 64
	v_cmp_ge_i64_e32 vcc, v[6:7], v[8:9]
	v_lshl_add_u64 v[12:13], v[12:13], 0, s[10:11]
	s_or_b64 s[2:3], vcc, s[2:3]
	s_waitcnt vmcnt(1)
	v_subrev_u32_e32 v3, s16, v3
	v_lshl_add_u32 v18, v3, 1, v3
	v_ashrrev_i32_e32 v19, 31, v18
	s_waitcnt lgkmcnt(0)
	v_lshl_add_u64 v[18:19], v[18:19], 1, s[4:5]
	global_load_dword v3, v[18:19], off
	global_load_ushort v25, v[18:19], off offset:4
	global_load_ushort v27, v[10:11], off offset:16
	s_waitcnt vmcnt(3)
	v_cvt_f32_f16_sdwa v19, v14 dst_sel:DWORD dst_unused:UNUSED_PAD src0_sel:WORD_1
	v_cvt_f32_f16_e32 v18, v14
	v_cvt_f32_f16_sdwa v20, v15 dst_sel:DWORD dst_unused:UNUSED_PAD src0_sel:WORD_1
	v_cvt_f32_f16_e32 v21, v16
	;; [unrolled: 2-line block ×3, first 2 shown]
	v_lshl_add_u64 v[10:11], v[10:11], 0, s[8:9]
	s_waitcnt vmcnt(2)
	v_cvt_f32_f16_e32 v14, v3
	v_cvt_f32_f16_sdwa v24, v3 dst_sel:DWORD dst_unused:UNUSED_PAD src0_sel:WORD_1
	s_waitcnt vmcnt(1)
	v_cvt_f32_f16_e32 v26, v25
	v_fma_mix_f32 v1, v15, v3, v1 op_sel_hi:[1,1,0]
	v_pk_fma_f32 v[4:5], v[18:19], v[14:15], v[4:5] op_sel_hi:[1,0,1]
	v_fma_mix_f32 v1, v16, v3, v1 op_sel:[1,1,0] op_sel_hi:[1,1,0]
	v_pk_fma_f32 v[4:5], v[20:21], v[24:25], v[4:5] op_sel_hi:[1,0,1]
	s_waitcnt vmcnt(0)
	v_fma_mix_f32 v1, v27, v25, v1 op_sel_hi:[1,1,0]
	v_pk_fma_f32 v[4:5], v[22:23], v[26:27], v[4:5] op_sel_hi:[1,0,1]
	s_andn2_b64 exec, exec, s[2:3]
	s_cbranch_execnz .LBB99_22
; %bb.23:
	s_or_b64 exec, exec, s[2:3]
.LBB99_24:
	s_or_b64 exec, exec, s[6:7]
.LBB99_25:
	v_mov_b32_dpp v6, v4 row_shr:1 row_mask:0xf bank_mask:0xf
	v_mov_b32_dpp v7, v5 row_shr:1 row_mask:0xf bank_mask:0xf
	;; [unrolled: 1-line block ×3, first 2 shown]
	v_pk_add_f32 v[4:5], v[4:5], v[6:7]
	v_add_f32_e32 v1, v1, v3
	v_cmp_eq_u32_e32 vcc, 63, v0
	v_mov_b32_dpp v6, v4 row_shr:2 row_mask:0xf bank_mask:0xf
	v_mov_b32_dpp v7, v5 row_shr:2 row_mask:0xf bank_mask:0xf
	v_mov_b32_dpp v3, v1 row_shr:2 row_mask:0xf bank_mask:0xf
	v_pk_add_f32 v[4:5], v[4:5], v[6:7]
	v_add_f32_e32 v1, v1, v3
	s_nop 0
	v_mov_b32_dpp v6, v4 row_shr:4 row_mask:0xf bank_mask:0xe
	v_mov_b32_dpp v7, v5 row_shr:4 row_mask:0xf bank_mask:0xe
	v_mov_b32_dpp v3, v1 row_shr:4 row_mask:0xf bank_mask:0xe
	v_pk_add_f32 v[4:5], v[4:5], v[6:7]
	v_add_f32_e32 v1, v1, v3
	s_nop 0
	;; [unrolled: 6-line block ×3, first 2 shown]
	v_mov_b32_dpp v6, v4 row_bcast:15 row_mask:0xa bank_mask:0xf
	v_mov_b32_dpp v7, v5 row_bcast:15 row_mask:0xa bank_mask:0xf
	;; [unrolled: 1-line block ×3, first 2 shown]
	v_pk_add_f32 v[4:5], v[4:5], v[6:7]
	v_add_f32_e32 v1, v1, v3
	s_nop 0
	v_mov_b32_dpp v6, v4 row_bcast:31 row_mask:0xc bank_mask:0xf
	v_mov_b32_dpp v7, v5 row_bcast:31 row_mask:0xc bank_mask:0xf
	;; [unrolled: 1-line block ×3, first 2 shown]
	s_and_b64 exec, exec, vcc
	s_cbranch_execz .LBB99_10
; %bb.26:
	s_load_dwordx2 s[0:1], s[0:1], 0x50
	v_pk_add_f32 v[4:5], v[4:5], v[6:7]
	v_add_f32_e32 v0, v1, v3
	v_cmp_eq_f32_e64 s[2:3], s14, 0
	v_lshl_add_u32 v6, v2, 1, v2
	s_and_b64 vcc, exec, s[2:3]
	v_mul_f32_e32 v2, s12, v0
	v_ashrrev_i32_e32 v7, 31, v6
	s_cbranch_vccz .LBB99_28
; %bb.27:
	s_waitcnt lgkmcnt(0)
	v_lshl_add_u64 v[8:9], v[6:7], 2, s[0:1]
	v_pk_mul_f32 v[0:1], s[12:13], v[4:5] op_sel_hi:[0,1]
	global_store_dwordx3 v[8:9], v[0:2], off
	s_cbranch_execnz .LBB99_10
	s_branch .LBB99_29
.LBB99_28:
.LBB99_29:
	s_waitcnt lgkmcnt(0)
	v_lshl_add_u64 v[10:11], v[6:7], 2, s[0:1]
	global_load_dwordx3 v[6:8], v[10:11], off
	v_pk_mul_f32 v[0:1], s[12:13], v[4:5] op_sel_hi:[0,1]
	s_waitcnt vmcnt(0)
	v_pk_fma_f32 v[0:1], s[14:15], v[6:7], v[0:1] op_sel_hi:[0,1,1]
	v_fmac_f32_e32 v2, s14, v8
	global_store_dwordx3 v[10:11], v[0:2], off
	s_endpgm
	.section	.rodata,"a",@progbits
	.p2align	6, 0x0
	.amdhsa_kernel _ZN9rocsparseL18bsrxmvn_3x3_kernelILj256ELj64EfliDF16_DF16_fEEvT3_20rocsparse_direction_NS_24const_host_device_scalarIT1_EES1_PKS1_PKT2_SA_S7_PKT4_PKT5_S5_PT6_21rocsparse_index_base_b
		.amdhsa_group_segment_fixed_size 0
		.amdhsa_private_segment_fixed_size 0
		.amdhsa_kernarg_size 96
		.amdhsa_user_sgpr_count 2
		.amdhsa_user_sgpr_dispatch_ptr 0
		.amdhsa_user_sgpr_queue_ptr 0
		.amdhsa_user_sgpr_kernarg_segment_ptr 1
		.amdhsa_user_sgpr_dispatch_id 0
		.amdhsa_user_sgpr_kernarg_preload_length 0
		.amdhsa_user_sgpr_kernarg_preload_offset 0
		.amdhsa_user_sgpr_private_segment_size 0
		.amdhsa_uses_dynamic_stack 0
		.amdhsa_enable_private_segment 0
		.amdhsa_system_sgpr_workgroup_id_x 1
		.amdhsa_system_sgpr_workgroup_id_y 0
		.amdhsa_system_sgpr_workgroup_id_z 0
		.amdhsa_system_sgpr_workgroup_info 0
		.amdhsa_system_vgpr_workitem_id 0
		.amdhsa_next_free_vgpr 31
		.amdhsa_next_free_sgpr 22
		.amdhsa_accum_offset 32
		.amdhsa_reserve_vcc 1
		.amdhsa_float_round_mode_32 0
		.amdhsa_float_round_mode_16_64 0
		.amdhsa_float_denorm_mode_32 3
		.amdhsa_float_denorm_mode_16_64 3
		.amdhsa_dx10_clamp 1
		.amdhsa_ieee_mode 1
		.amdhsa_fp16_overflow 0
		.amdhsa_tg_split 0
		.amdhsa_exception_fp_ieee_invalid_op 0
		.amdhsa_exception_fp_denorm_src 0
		.amdhsa_exception_fp_ieee_div_zero 0
		.amdhsa_exception_fp_ieee_overflow 0
		.amdhsa_exception_fp_ieee_underflow 0
		.amdhsa_exception_fp_ieee_inexact 0
		.amdhsa_exception_int_div_zero 0
	.end_amdhsa_kernel
	.section	.text._ZN9rocsparseL18bsrxmvn_3x3_kernelILj256ELj64EfliDF16_DF16_fEEvT3_20rocsparse_direction_NS_24const_host_device_scalarIT1_EES1_PKS1_PKT2_SA_S7_PKT4_PKT5_S5_PT6_21rocsparse_index_base_b,"axG",@progbits,_ZN9rocsparseL18bsrxmvn_3x3_kernelILj256ELj64EfliDF16_DF16_fEEvT3_20rocsparse_direction_NS_24const_host_device_scalarIT1_EES1_PKS1_PKT2_SA_S7_PKT4_PKT5_S5_PT6_21rocsparse_index_base_b,comdat
.Lfunc_end99:
	.size	_ZN9rocsparseL18bsrxmvn_3x3_kernelILj256ELj64EfliDF16_DF16_fEEvT3_20rocsparse_direction_NS_24const_host_device_scalarIT1_EES1_PKS1_PKT2_SA_S7_PKT4_PKT5_S5_PT6_21rocsparse_index_base_b, .Lfunc_end99-_ZN9rocsparseL18bsrxmvn_3x3_kernelILj256ELj64EfliDF16_DF16_fEEvT3_20rocsparse_direction_NS_24const_host_device_scalarIT1_EES1_PKS1_PKT2_SA_S7_PKT4_PKT5_S5_PT6_21rocsparse_index_base_b
                                        ; -- End function
	.section	.AMDGPU.csdata,"",@progbits
; Kernel info:
; codeLenInByte = 1420
; NumSgprs: 28
; NumVgprs: 31
; NumAgprs: 0
; TotalNumVgprs: 31
; ScratchSize: 0
; MemoryBound: 0
; FloatMode: 240
; IeeeMode: 1
; LDSByteSize: 0 bytes/workgroup (compile time only)
; SGPRBlocks: 3
; VGPRBlocks: 3
; NumSGPRsForWavesPerEU: 28
; NumVGPRsForWavesPerEU: 31
; AccumOffset: 32
; Occupancy: 8
; WaveLimiterHint : 1
; COMPUTE_PGM_RSRC2:SCRATCH_EN: 0
; COMPUTE_PGM_RSRC2:USER_SGPR: 2
; COMPUTE_PGM_RSRC2:TRAP_HANDLER: 0
; COMPUTE_PGM_RSRC2:TGID_X_EN: 1
; COMPUTE_PGM_RSRC2:TGID_Y_EN: 0
; COMPUTE_PGM_RSRC2:TGID_Z_EN: 0
; COMPUTE_PGM_RSRC2:TIDIG_COMP_CNT: 0
; COMPUTE_PGM_RSRC3_GFX90A:ACCUM_OFFSET: 7
; COMPUTE_PGM_RSRC3_GFX90A:TG_SPLIT: 0
	.section	.text._ZN9rocsparseL18bsrxmvn_3x3_kernelILj256ELj4EfllDF16_DF16_fEEvT3_20rocsparse_direction_NS_24const_host_device_scalarIT1_EES1_PKS1_PKT2_SA_S7_PKT4_PKT5_S5_PT6_21rocsparse_index_base_b,"axG",@progbits,_ZN9rocsparseL18bsrxmvn_3x3_kernelILj256ELj4EfllDF16_DF16_fEEvT3_20rocsparse_direction_NS_24const_host_device_scalarIT1_EES1_PKS1_PKT2_SA_S7_PKT4_PKT5_S5_PT6_21rocsparse_index_base_b,comdat
	.globl	_ZN9rocsparseL18bsrxmvn_3x3_kernelILj256ELj4EfllDF16_DF16_fEEvT3_20rocsparse_direction_NS_24const_host_device_scalarIT1_EES1_PKS1_PKT2_SA_S7_PKT4_PKT5_S5_PT6_21rocsparse_index_base_b ; -- Begin function _ZN9rocsparseL18bsrxmvn_3x3_kernelILj256ELj4EfllDF16_DF16_fEEvT3_20rocsparse_direction_NS_24const_host_device_scalarIT1_EES1_PKS1_PKT2_SA_S7_PKT4_PKT5_S5_PT6_21rocsparse_index_base_b
	.p2align	8
	.type	_ZN9rocsparseL18bsrxmvn_3x3_kernelILj256ELj4EfllDF16_DF16_fEEvT3_20rocsparse_direction_NS_24const_host_device_scalarIT1_EES1_PKS1_PKT2_SA_S7_PKT4_PKT5_S5_PT6_21rocsparse_index_base_b,@function
_ZN9rocsparseL18bsrxmvn_3x3_kernelILj256ELj4EfllDF16_DF16_fEEvT3_20rocsparse_direction_NS_24const_host_device_scalarIT1_EES1_PKS1_PKT2_SA_S7_PKT4_PKT5_S5_PT6_21rocsparse_index_base_b: ; @_ZN9rocsparseL18bsrxmvn_3x3_kernelILj256ELj4EfllDF16_DF16_fEEvT3_20rocsparse_direction_NS_24const_host_device_scalarIT1_EES1_PKS1_PKT2_SA_S7_PKT4_PKT5_S5_PT6_21rocsparse_index_base_b
; %bb.0:
	s_load_dwordx2 s[18:19], s[0:1], 0x60
	s_load_dwordx4 s[12:15], s[0:1], 0x10
	s_load_dwordx2 s[16:17], s[0:1], 0x50
	s_waitcnt lgkmcnt(0)
	s_bitcmp1_b32 s19, 0
	s_cselect_b64 s[6:7], -1, 0
	s_xor_b64 s[4:5], s[6:7], -1
	s_and_b64 vcc, exec, s[6:7]
	s_cbranch_vccnz .LBB100_2
; %bb.1:
	s_load_dword s12, s[12:13], 0x0
.LBB100_2:
	s_andn2_b64 vcc, exec, s[4:5]
	s_cbranch_vccnz .LBB100_4
; %bb.3:
	s_load_dword s16, s[16:17], 0x0
.LBB100_4:
	s_waitcnt lgkmcnt(0)
	v_cmp_neq_f32_e64 s[4:5], s12, 0
	v_cmp_neq_f32_e64 s[6:7], s16, 1.0
	s_or_b64 s[4:5], s[4:5], s[6:7]
	s_andn2_b64 vcc, exec, s[4:5]
	s_cbranch_vccnz .LBB100_10
; %bb.5:
	s_load_dwordx2 s[4:5], s[0:1], 0x20
	v_lshrrev_b32_e32 v1, 2, v0
	v_lshl_or_b32 v2, s2, 6, v1
	v_mov_b32_e32 v3, 0
	s_mov_b64 s[2:3], 0
	s_waitcnt lgkmcnt(0)
	s_cmp_lg_u64 s[4:5], 0
	s_cbranch_scc0 .LBB100_11
; %bb.6:
	v_cmp_gt_i64_e32 vcc, s[14:15], v[2:3]
                                        ; implicit-def: $vgpr4_vgpr5
	s_and_saveexec_b64 s[6:7], vcc
	s_xor_b64 s[6:7], exec, s[6:7]
                                        ; implicit-def: $sgpr14_sgpr15
	s_cbranch_execz .LBB100_8
; %bb.7:
	v_lshl_add_u64 v[4:5], v[2:3], 3, s[4:5]
	global_load_dwordx2 v[4:5], v[4:5], off
	s_mov_b64 s[2:3], exec
	s_mov_b32 s15, 0
	s_waitcnt vmcnt(0)
	v_subrev_co_u32_e32 v4, vcc, s18, v4
	s_nop 1
	v_subbrev_co_u32_e32 v5, vcc, 0, v5, vcc
.LBB100_8:
	s_or_b64 exec, exec, s[6:7]
.LBB100_9:
	s_and_saveexec_b64 s[4:5], s[2:3]
	s_cbranch_execnz .LBB100_15
.LBB100_10:
	s_endpgm
.LBB100_11:
                                        ; implicit-def: $vgpr4_vgpr5
                                        ; implicit-def: $sgpr14_sgpr15
	s_cbranch_execz .LBB100_9
; %bb.12:
	s_load_dwordx2 s[4:5], s[0:1], 0x0
                                        ; implicit-def: $vgpr4_vgpr5
	s_waitcnt lgkmcnt(0)
	v_cmp_gt_i64_e32 vcc, s[4:5], v[2:3]
	s_and_saveexec_b64 s[4:5], vcc
                                        ; implicit-def: $sgpr14_sgpr15
; %bb.13:
	s_mov_b32 s15, 0
	s_or_b64 s[2:3], s[2:3], exec
	v_mov_b64_e32 v[4:5], v[2:3]
; %bb.14:
	s_or_b64 exec, exec, s[4:5]
	s_and_saveexec_b64 s[4:5], s[2:3]
	s_cbranch_execz .LBB100_10
.LBB100_15:
	s_load_dwordx8 s[4:11], s[0:1], 0x28
	v_lshlrev_b64 v[2:3], 3, v[4:5]
	v_mov_b32_e32 v10, s15
	v_and_b32_e32 v0, 3, v0
	v_mov_b32_e32 v1, 0
	s_waitcnt lgkmcnt(0)
	v_lshl_add_u64 v[6:7], s[4:5], 0, v[2:3]
	s_cmp_eq_u64 s[6:7], 0
	v_lshl_add_u64 v[2:3], s[6:7], 0, v[2:3]
	global_load_dwordx2 v[8:9], v[6:7], off
	v_lshl_add_u64 v[6:7], v[6:7], 0, 8
	s_cselect_b64 vcc, -1, 0
	v_cndmask_b32_e32 v3, v3, v7, vcc
	v_cndmask_b32_e32 v2, v2, v6, vcc
	global_load_dwordx2 v[6:7], v[2:3], off
	s_load_dword s2, s[0:1], 0x8
	s_load_dwordx2 s[4:5], s[0:1], 0x48
	s_waitcnt lgkmcnt(0)
	s_cmp_eq_u32 s2, 1
	s_waitcnt vmcnt(1)
	v_subrev_co_u32_e32 v2, vcc, s18, v8
	s_nop 1
	v_subb_co_u32_e32 v3, vcc, v9, v10, vcc
	v_lshl_add_u64 v[2:3], v[2:3], 0, v[0:1]
	s_waitcnt vmcnt(0)
	v_subrev_co_u32_e32 v6, vcc, s18, v6
	s_nop 1
	v_subb_co_u32_e32 v7, vcc, v7, v10, vcc
	v_mad_u64_u32 v[10:11], s[2:3], v2, 18, 0
	v_mov_b32_e32 v8, v11
	v_mad_u64_u32 v[8:9], s[2:3], v3, 18, v[8:9]
	v_mov_b32_e32 v11, v8
	v_cmp_lt_i64_e64 s[2:3], v[2:3], v[6:7]
	s_cbranch_scc1 .LBB100_21
; %bb.16:
	v_mov_b32_e32 v8, v1
	v_mov_b32_e32 v18, v1
	s_and_saveexec_b64 s[6:7], s[2:3]
	s_cbranch_execz .LBB100_20
; %bb.17:
	v_mov_b32_e32 v18, 0
	v_lshl_add_u64 v[12:13], s[10:11], 0, v[10:11]
	v_lshl_add_u64 v[14:15], v[2:3], 3, s[8:9]
	s_mov_b64 s[20:21], 0
	v_mov_b32_e32 v1, s15
	s_mov_b64 s[22:23], 0x48
	v_mov_b64_e32 v[16:17], v[2:3]
	v_mov_b32_e32 v8, 0
	v_mov_b32_e32 v9, v18
.LBB100_18:                             ; =>This Inner Loop Header: Depth=1
	global_load_dwordx2 v[24:25], v[14:15], off
	global_load_dwordx4 v[20:23], v[12:13], off
	v_lshl_add_u64 v[16:17], v[16:17], 0, 4
	v_lshl_add_u64 v[14:15], v[14:15], 0, 32
	s_waitcnt vmcnt(1)
	v_subrev_co_u32_e32 v19, vcc, s18, v24
	s_nop 1
	v_subb_co_u32_e32 v27, vcc, v25, v1, vcc
	v_mad_u64_u32 v[24:25], s[24:25], v19, 6, s[4:5]
	v_mov_b32_e32 v26, v25
	v_mad_u64_u32 v[26:27], s[24:25], v27, 6, v[26:27]
	v_mov_b32_e32 v25, v26
	global_load_dword v19, v[24:25], off
	global_load_ushort v31, v[24:25], off offset:4
	global_load_ushort v32, v[12:13], off offset:16
	s_waitcnt vmcnt(3)
	v_cvt_f32_f16_sdwa v25, v21 dst_sel:DWORD dst_unused:UNUSED_PAD src0_sel:WORD_1
	v_cvt_f32_f16_e32 v24, v20
	v_cvt_f32_f16_sdwa v26, v20 dst_sel:DWORD dst_unused:UNUSED_PAD src0_sel:WORD_1
	v_cvt_f32_f16_e32 v27, v22
	;; [unrolled: 2-line block ×3, first 2 shown]
	v_cmp_ge_i64_e32 vcc, v[16:17], v[6:7]
	v_lshl_add_u64 v[12:13], v[12:13], 0, s[22:23]
	s_or_b64 s[20:21], vcc, s[20:21]
	s_waitcnt vmcnt(2)
	v_cvt_f32_f16_e32 v20, v19
	v_cvt_f32_f16_sdwa v22, v19 dst_sel:DWORD dst_unused:UNUSED_PAD src0_sel:WORD_1
	s_waitcnt vmcnt(1)
	v_cvt_f32_f16_e32 v30, v31
	v_fma_mix_f32 v18, v23, v19, v18 op_sel_hi:[1,1,0]
	v_pk_fma_f32 v[8:9], v[24:25], v[20:21], v[8:9] op_sel_hi:[1,0,1]
	v_fma_mix_f32 v18, v23, v19, v18 op_sel:[1,1,0] op_sel_hi:[1,1,0]
	v_pk_fma_f32 v[8:9], v[26:27], v[22:23], v[8:9] op_sel_hi:[1,0,1]
	s_waitcnt vmcnt(0)
	v_fma_mix_f32 v18, v32, v31, v18 op_sel_hi:[1,1,0]
	v_pk_fma_f32 v[8:9], v[28:29], v[30:31], v[8:9] op_sel_hi:[1,0,1]
	s_andn2_b64 exec, exec, s[20:21]
	s_cbranch_execnz .LBB100_18
; %bb.19:
	s_or_b64 exec, exec, s[20:21]
	v_mov_b32_e32 v1, v9
.LBB100_20:
	s_or_b64 exec, exec, s[6:7]
	v_mov_b32_e32 v9, v1
	s_cbranch_execz .LBB100_22
	s_branch .LBB100_27
.LBB100_21:
                                        ; implicit-def: $vgpr9
                                        ; implicit-def: $vgpr18
.LBB100_22:
	v_mov_b32_e32 v9, 0
	v_mov_b32_e32 v8, v9
	;; [unrolled: 1-line block ×3, first 2 shown]
	s_and_saveexec_b64 s[6:7], s[2:3]
	s_cbranch_execz .LBB100_26
; %bb.23:
	v_lshl_add_u64 v[8:9], v[10:11], 0, s[10:11]
	v_mov_b32_e32 v18, 0
	v_lshl_add_u64 v[10:11], v[8:9], 0, 10
	v_lshl_add_u64 v[12:13], v[2:3], 3, s[8:9]
	s_mov_b64 s[2:3], 0
	v_mov_b32_e32 v1, s15
	s_mov_b64 s[8:9], 0x48
	v_mov_b32_e32 v8, 0
	v_mov_b32_e32 v9, v18
.LBB100_24:                             ; =>This Inner Loop Header: Depth=1
	global_load_dwordx2 v[20:21], v[12:13], off
	global_load_dwordx4 v[14:17], v[10:11], off offset:-10
	v_lshl_add_u64 v[2:3], v[2:3], 0, 4
	v_lshl_add_u64 v[12:13], v[12:13], 0, 32
	s_waitcnt vmcnt(1)
	v_subrev_co_u32_e32 v19, vcc, s18, v20
	s_nop 1
	v_subb_co_u32_e32 v23, vcc, v21, v1, vcc
	v_mad_u64_u32 v[20:21], s[10:11], v19, 6, s[4:5]
	v_mov_b32_e32 v22, v21
	v_mad_u64_u32 v[22:23], s[10:11], v23, 6, v[22:23]
	v_mov_b32_e32 v21, v22
	global_load_dword v19, v[20:21], off
	global_load_ushort v27, v[20:21], off offset:4
	global_load_ushort v29, v[10:11], off offset:6
	s_waitcnt vmcnt(3)
	v_cvt_f32_f16_sdwa v21, v14 dst_sel:DWORD dst_unused:UNUSED_PAD src0_sel:WORD_1
	v_cvt_f32_f16_e32 v20, v14
	v_cvt_f32_f16_sdwa v22, v15 dst_sel:DWORD dst_unused:UNUSED_PAD src0_sel:WORD_1
	v_cvt_f32_f16_e32 v23, v16
	;; [unrolled: 2-line block ×3, first 2 shown]
	v_cmp_ge_i64_e32 vcc, v[2:3], v[6:7]
	v_lshl_add_u64 v[10:11], v[10:11], 0, s[8:9]
	s_or_b64 s[2:3], vcc, s[2:3]
	s_waitcnt vmcnt(2)
	v_cvt_f32_f16_e32 v14, v19
	v_cvt_f32_f16_sdwa v26, v19 dst_sel:DWORD dst_unused:UNUSED_PAD src0_sel:WORD_1
	v_fma_mix_f32 v15, v15, v19, v18 op_sel_hi:[1,1,0]
	s_waitcnt vmcnt(1)
	v_cvt_f32_f16_e32 v28, v27
	v_fma_mix_f32 v15, v16, v19, v15 op_sel:[1,1,0] op_sel_hi:[1,1,0]
	s_nop 0
	v_pk_fma_f32 v[8:9], v[20:21], v[14:15], v[8:9] op_sel_hi:[1,0,1]
	s_waitcnt vmcnt(0)
	v_fma_mix_f32 v18, v29, v27, v15 op_sel_hi:[1,1,0]
	v_pk_fma_f32 v[8:9], v[22:23], v[26:27], v[8:9] op_sel_hi:[1,0,1]
	s_nop 0
	v_pk_fma_f32 v[8:9], v[24:25], v[28:29], v[8:9] op_sel_hi:[1,0,1]
	s_andn2_b64 exec, exec, s[2:3]
	s_cbranch_execnz .LBB100_24
; %bb.25:
	s_or_b64 exec, exec, s[2:3]
.LBB100_26:
	s_or_b64 exec, exec, s[6:7]
.LBB100_27:
	v_mov_b32_dpp v2, v8 row_shr:1 row_mask:0xf bank_mask:0xf
	v_mov_b32_dpp v3, v9 row_shr:1 row_mask:0xf bank_mask:0xf
	;; [unrolled: 1-line block ×3, first 2 shown]
	v_pk_add_f32 v[2:3], v[8:9], v[2:3]
	v_add_f32_e32 v1, v18, v1
	v_cmp_eq_u32_e32 vcc, 3, v0
	v_mov_b32_dpp v6, v2 row_shr:2 row_mask:0xf bank_mask:0xf
	v_mov_b32_dpp v7, v3 row_shr:2 row_mask:0xf bank_mask:0xf
	;; [unrolled: 1-line block ×3, first 2 shown]
	s_and_b64 exec, exec, vcc
	s_cbranch_execz .LBB100_10
; %bb.28:
	s_load_dwordx2 s[0:1], s[0:1], 0x58
	v_add_f32_e32 v0, v1, v8
	v_cmp_eq_f32_e64 s[2:3], s16, 0
	v_pk_add_f32 v[6:7], v[2:3], v[6:7]
	s_and_b64 vcc, exec, s[2:3]
	v_mul_f32_e32 v2, s12, v0
	s_cbranch_vccz .LBB100_30
; %bb.29:
	s_waitcnt lgkmcnt(0)
	v_mad_u64_u32 v[8:9], s[2:3], v4, 12, s[0:1]
	v_mov_b32_e32 v0, v9
	v_mad_u64_u32 v[0:1], s[2:3], v5, 12, v[0:1]
	v_mov_b32_e32 v9, v0
	v_pk_mul_f32 v[0:1], s[12:13], v[6:7] op_sel_hi:[0,1]
	global_store_dwordx3 v[8:9], v[0:2], off
	s_cbranch_execnz .LBB100_10
	s_branch .LBB100_31
.LBB100_30:
.LBB100_31:
	s_waitcnt lgkmcnt(0)
	v_mad_u64_u32 v[12:13], s[0:1], v4, 12, s[0:1]
	v_mov_b32_e32 v0, v13
	v_mad_u64_u32 v[0:1], s[0:1], v5, 12, v[0:1]
	v_mov_b32_e32 v13, v0
	global_load_dwordx3 v[8:10], v[12:13], off
	v_pk_mul_f32 v[0:1], s[12:13], v[6:7] op_sel_hi:[0,1]
	s_waitcnt vmcnt(0)
	v_pk_fma_f32 v[0:1], s[16:17], v[8:9], v[0:1] op_sel_hi:[0,1,1]
	v_fmac_f32_e32 v2, s16, v10
	global_store_dwordx3 v[12:13], v[0:2], off
	s_endpgm
	.section	.rodata,"a",@progbits
	.p2align	6, 0x0
	.amdhsa_kernel _ZN9rocsparseL18bsrxmvn_3x3_kernelILj256ELj4EfllDF16_DF16_fEEvT3_20rocsparse_direction_NS_24const_host_device_scalarIT1_EES1_PKS1_PKT2_SA_S7_PKT4_PKT5_S5_PT6_21rocsparse_index_base_b
		.amdhsa_group_segment_fixed_size 0
		.amdhsa_private_segment_fixed_size 0
		.amdhsa_kernarg_size 104
		.amdhsa_user_sgpr_count 2
		.amdhsa_user_sgpr_dispatch_ptr 0
		.amdhsa_user_sgpr_queue_ptr 0
		.amdhsa_user_sgpr_kernarg_segment_ptr 1
		.amdhsa_user_sgpr_dispatch_id 0
		.amdhsa_user_sgpr_kernarg_preload_length 0
		.amdhsa_user_sgpr_kernarg_preload_offset 0
		.amdhsa_user_sgpr_private_segment_size 0
		.amdhsa_uses_dynamic_stack 0
		.amdhsa_enable_private_segment 0
		.amdhsa_system_sgpr_workgroup_id_x 1
		.amdhsa_system_sgpr_workgroup_id_y 0
		.amdhsa_system_sgpr_workgroup_id_z 0
		.amdhsa_system_sgpr_workgroup_info 0
		.amdhsa_system_vgpr_workitem_id 0
		.amdhsa_next_free_vgpr 33
		.amdhsa_next_free_sgpr 26
		.amdhsa_accum_offset 36
		.amdhsa_reserve_vcc 1
		.amdhsa_float_round_mode_32 0
		.amdhsa_float_round_mode_16_64 0
		.amdhsa_float_denorm_mode_32 3
		.amdhsa_float_denorm_mode_16_64 3
		.amdhsa_dx10_clamp 1
		.amdhsa_ieee_mode 1
		.amdhsa_fp16_overflow 0
		.amdhsa_tg_split 0
		.amdhsa_exception_fp_ieee_invalid_op 0
		.amdhsa_exception_fp_denorm_src 0
		.amdhsa_exception_fp_ieee_div_zero 0
		.amdhsa_exception_fp_ieee_overflow 0
		.amdhsa_exception_fp_ieee_underflow 0
		.amdhsa_exception_fp_ieee_inexact 0
		.amdhsa_exception_int_div_zero 0
	.end_amdhsa_kernel
	.section	.text._ZN9rocsparseL18bsrxmvn_3x3_kernelILj256ELj4EfllDF16_DF16_fEEvT3_20rocsparse_direction_NS_24const_host_device_scalarIT1_EES1_PKS1_PKT2_SA_S7_PKT4_PKT5_S5_PT6_21rocsparse_index_base_b,"axG",@progbits,_ZN9rocsparseL18bsrxmvn_3x3_kernelILj256ELj4EfllDF16_DF16_fEEvT3_20rocsparse_direction_NS_24const_host_device_scalarIT1_EES1_PKS1_PKT2_SA_S7_PKT4_PKT5_S5_PT6_21rocsparse_index_base_b,comdat
.Lfunc_end100:
	.size	_ZN9rocsparseL18bsrxmvn_3x3_kernelILj256ELj4EfllDF16_DF16_fEEvT3_20rocsparse_direction_NS_24const_host_device_scalarIT1_EES1_PKS1_PKT2_SA_S7_PKT4_PKT5_S5_PT6_21rocsparse_index_base_b, .Lfunc_end100-_ZN9rocsparseL18bsrxmvn_3x3_kernelILj256ELj4EfllDF16_DF16_fEEvT3_20rocsparse_direction_NS_24const_host_device_scalarIT1_EES1_PKS1_PKT2_SA_S7_PKT4_PKT5_S5_PT6_21rocsparse_index_base_b
                                        ; -- End function
	.section	.AMDGPU.csdata,"",@progbits
; Kernel info:
; codeLenInByte = 1336
; NumSgprs: 32
; NumVgprs: 33
; NumAgprs: 0
; TotalNumVgprs: 33
; ScratchSize: 0
; MemoryBound: 0
; FloatMode: 240
; IeeeMode: 1
; LDSByteSize: 0 bytes/workgroup (compile time only)
; SGPRBlocks: 3
; VGPRBlocks: 4
; NumSGPRsForWavesPerEU: 32
; NumVGPRsForWavesPerEU: 33
; AccumOffset: 36
; Occupancy: 8
; WaveLimiterHint : 1
; COMPUTE_PGM_RSRC2:SCRATCH_EN: 0
; COMPUTE_PGM_RSRC2:USER_SGPR: 2
; COMPUTE_PGM_RSRC2:TRAP_HANDLER: 0
; COMPUTE_PGM_RSRC2:TGID_X_EN: 1
; COMPUTE_PGM_RSRC2:TGID_Y_EN: 0
; COMPUTE_PGM_RSRC2:TGID_Z_EN: 0
; COMPUTE_PGM_RSRC2:TIDIG_COMP_CNT: 0
; COMPUTE_PGM_RSRC3_GFX90A:ACCUM_OFFSET: 8
; COMPUTE_PGM_RSRC3_GFX90A:TG_SPLIT: 0
	.section	.text._ZN9rocsparseL18bsrxmvn_3x3_kernelILj256ELj8EfllDF16_DF16_fEEvT3_20rocsparse_direction_NS_24const_host_device_scalarIT1_EES1_PKS1_PKT2_SA_S7_PKT4_PKT5_S5_PT6_21rocsparse_index_base_b,"axG",@progbits,_ZN9rocsparseL18bsrxmvn_3x3_kernelILj256ELj8EfllDF16_DF16_fEEvT3_20rocsparse_direction_NS_24const_host_device_scalarIT1_EES1_PKS1_PKT2_SA_S7_PKT4_PKT5_S5_PT6_21rocsparse_index_base_b,comdat
	.globl	_ZN9rocsparseL18bsrxmvn_3x3_kernelILj256ELj8EfllDF16_DF16_fEEvT3_20rocsparse_direction_NS_24const_host_device_scalarIT1_EES1_PKS1_PKT2_SA_S7_PKT4_PKT5_S5_PT6_21rocsparse_index_base_b ; -- Begin function _ZN9rocsparseL18bsrxmvn_3x3_kernelILj256ELj8EfllDF16_DF16_fEEvT3_20rocsparse_direction_NS_24const_host_device_scalarIT1_EES1_PKS1_PKT2_SA_S7_PKT4_PKT5_S5_PT6_21rocsparse_index_base_b
	.p2align	8
	.type	_ZN9rocsparseL18bsrxmvn_3x3_kernelILj256ELj8EfllDF16_DF16_fEEvT3_20rocsparse_direction_NS_24const_host_device_scalarIT1_EES1_PKS1_PKT2_SA_S7_PKT4_PKT5_S5_PT6_21rocsparse_index_base_b,@function
_ZN9rocsparseL18bsrxmvn_3x3_kernelILj256ELj8EfllDF16_DF16_fEEvT3_20rocsparse_direction_NS_24const_host_device_scalarIT1_EES1_PKS1_PKT2_SA_S7_PKT4_PKT5_S5_PT6_21rocsparse_index_base_b: ; @_ZN9rocsparseL18bsrxmvn_3x3_kernelILj256ELj8EfllDF16_DF16_fEEvT3_20rocsparse_direction_NS_24const_host_device_scalarIT1_EES1_PKS1_PKT2_SA_S7_PKT4_PKT5_S5_PT6_21rocsparse_index_base_b
; %bb.0:
	s_load_dwordx2 s[18:19], s[0:1], 0x60
	s_load_dwordx4 s[12:15], s[0:1], 0x10
	s_load_dwordx2 s[16:17], s[0:1], 0x50
	s_waitcnt lgkmcnt(0)
	s_bitcmp1_b32 s19, 0
	s_cselect_b64 s[6:7], -1, 0
	s_xor_b64 s[4:5], s[6:7], -1
	s_and_b64 vcc, exec, s[6:7]
	s_cbranch_vccnz .LBB101_2
; %bb.1:
	s_load_dword s12, s[12:13], 0x0
.LBB101_2:
	s_andn2_b64 vcc, exec, s[4:5]
	s_cbranch_vccnz .LBB101_4
; %bb.3:
	s_load_dword s16, s[16:17], 0x0
.LBB101_4:
	s_waitcnt lgkmcnt(0)
	v_cmp_neq_f32_e64 s[4:5], s12, 0
	v_cmp_neq_f32_e64 s[6:7], s16, 1.0
	s_or_b64 s[4:5], s[4:5], s[6:7]
	s_andn2_b64 vcc, exec, s[4:5]
	s_cbranch_vccnz .LBB101_10
; %bb.5:
	s_load_dwordx2 s[4:5], s[0:1], 0x20
	v_lshrrev_b32_e32 v1, 3, v0
	v_lshl_or_b32 v2, s2, 5, v1
	v_mov_b32_e32 v3, 0
	s_mov_b64 s[2:3], 0
	s_waitcnt lgkmcnt(0)
	s_cmp_lg_u64 s[4:5], 0
	s_cbranch_scc0 .LBB101_11
; %bb.6:
	v_cmp_gt_i64_e32 vcc, s[14:15], v[2:3]
                                        ; implicit-def: $vgpr4_vgpr5
	s_and_saveexec_b64 s[6:7], vcc
	s_xor_b64 s[6:7], exec, s[6:7]
                                        ; implicit-def: $sgpr14_sgpr15
	s_cbranch_execz .LBB101_8
; %bb.7:
	v_lshl_add_u64 v[4:5], v[2:3], 3, s[4:5]
	global_load_dwordx2 v[4:5], v[4:5], off
	s_mov_b64 s[2:3], exec
	s_mov_b32 s15, 0
	s_waitcnt vmcnt(0)
	v_subrev_co_u32_e32 v4, vcc, s18, v4
	s_nop 1
	v_subbrev_co_u32_e32 v5, vcc, 0, v5, vcc
.LBB101_8:
	s_or_b64 exec, exec, s[6:7]
.LBB101_9:
	s_and_saveexec_b64 s[4:5], s[2:3]
	s_cbranch_execnz .LBB101_15
.LBB101_10:
	s_endpgm
.LBB101_11:
                                        ; implicit-def: $vgpr4_vgpr5
                                        ; implicit-def: $sgpr14_sgpr15
	s_cbranch_execz .LBB101_9
; %bb.12:
	s_load_dwordx2 s[4:5], s[0:1], 0x0
                                        ; implicit-def: $vgpr4_vgpr5
	s_waitcnt lgkmcnt(0)
	v_cmp_gt_i64_e32 vcc, s[4:5], v[2:3]
	s_and_saveexec_b64 s[4:5], vcc
                                        ; implicit-def: $sgpr14_sgpr15
; %bb.13:
	s_mov_b32 s15, 0
	s_or_b64 s[2:3], s[2:3], exec
	v_mov_b64_e32 v[4:5], v[2:3]
; %bb.14:
	s_or_b64 exec, exec, s[4:5]
	s_and_saveexec_b64 s[4:5], s[2:3]
	s_cbranch_execz .LBB101_10
.LBB101_15:
	s_load_dwordx8 s[4:11], s[0:1], 0x28
	v_lshlrev_b64 v[2:3], 3, v[4:5]
	v_mov_b32_e32 v10, s15
	v_and_b32_e32 v0, 7, v0
	v_mov_b32_e32 v1, 0
	s_waitcnt lgkmcnt(0)
	v_lshl_add_u64 v[6:7], s[4:5], 0, v[2:3]
	s_cmp_eq_u64 s[6:7], 0
	v_lshl_add_u64 v[2:3], s[6:7], 0, v[2:3]
	global_load_dwordx2 v[8:9], v[6:7], off
	v_lshl_add_u64 v[6:7], v[6:7], 0, 8
	s_cselect_b64 vcc, -1, 0
	v_cndmask_b32_e32 v3, v3, v7, vcc
	v_cndmask_b32_e32 v2, v2, v6, vcc
	global_load_dwordx2 v[6:7], v[2:3], off
	s_load_dword s2, s[0:1], 0x8
	s_load_dwordx2 s[4:5], s[0:1], 0x48
	s_waitcnt lgkmcnt(0)
	s_cmp_eq_u32 s2, 1
	s_waitcnt vmcnt(1)
	v_subrev_co_u32_e32 v2, vcc, s18, v8
	s_nop 1
	v_subb_co_u32_e32 v3, vcc, v9, v10, vcc
	v_lshl_add_u64 v[2:3], v[2:3], 0, v[0:1]
	s_waitcnt vmcnt(0)
	v_subrev_co_u32_e32 v6, vcc, s18, v6
	s_nop 1
	v_subb_co_u32_e32 v7, vcc, v7, v10, vcc
	v_mad_u64_u32 v[10:11], s[2:3], v2, 18, 0
	v_mov_b32_e32 v8, v11
	v_mad_u64_u32 v[8:9], s[2:3], v3, 18, v[8:9]
	v_mov_b32_e32 v11, v8
	v_cmp_lt_i64_e64 s[2:3], v[2:3], v[6:7]
	s_cbranch_scc1 .LBB101_21
; %bb.16:
	v_mov_b32_e32 v8, v1
	v_mov_b32_e32 v18, v1
	s_and_saveexec_b64 s[6:7], s[2:3]
	s_cbranch_execz .LBB101_20
; %bb.17:
	v_mov_b32_e32 v18, 0
	v_lshl_add_u64 v[12:13], s[10:11], 0, v[10:11]
	v_lshl_add_u64 v[14:15], v[2:3], 3, s[8:9]
	s_mov_b64 s[20:21], 0
	v_mov_b32_e32 v1, s15
	s_mov_b64 s[22:23], 0x90
	v_mov_b64_e32 v[16:17], v[2:3]
	v_mov_b32_e32 v8, 0
	v_mov_b32_e32 v9, v18
.LBB101_18:                             ; =>This Inner Loop Header: Depth=1
	global_load_dwordx2 v[24:25], v[14:15], off
	global_load_dwordx4 v[20:23], v[12:13], off
	v_lshl_add_u64 v[16:17], v[16:17], 0, 8
	v_lshl_add_u64 v[14:15], v[14:15], 0, 64
	s_waitcnt vmcnt(1)
	v_subrev_co_u32_e32 v19, vcc, s18, v24
	s_nop 1
	v_subb_co_u32_e32 v27, vcc, v25, v1, vcc
	v_mad_u64_u32 v[24:25], s[24:25], v19, 6, s[4:5]
	v_mov_b32_e32 v26, v25
	v_mad_u64_u32 v[26:27], s[24:25], v27, 6, v[26:27]
	v_mov_b32_e32 v25, v26
	global_load_dword v19, v[24:25], off
	global_load_ushort v31, v[24:25], off offset:4
	global_load_ushort v32, v[12:13], off offset:16
	s_waitcnt vmcnt(3)
	v_cvt_f32_f16_sdwa v25, v21 dst_sel:DWORD dst_unused:UNUSED_PAD src0_sel:WORD_1
	v_cvt_f32_f16_e32 v24, v20
	v_cvt_f32_f16_sdwa v26, v20 dst_sel:DWORD dst_unused:UNUSED_PAD src0_sel:WORD_1
	v_cvt_f32_f16_e32 v27, v22
	v_cvt_f32_f16_sdwa v29, v22 dst_sel:DWORD dst_unused:UNUSED_PAD src0_sel:WORD_1
	v_cvt_f32_f16_e32 v28, v21
	v_cmp_ge_i64_e32 vcc, v[16:17], v[6:7]
	v_lshl_add_u64 v[12:13], v[12:13], 0, s[22:23]
	s_or_b64 s[20:21], vcc, s[20:21]
	s_waitcnt vmcnt(2)
	v_cvt_f32_f16_e32 v20, v19
	v_cvt_f32_f16_sdwa v22, v19 dst_sel:DWORD dst_unused:UNUSED_PAD src0_sel:WORD_1
	s_waitcnt vmcnt(1)
	v_cvt_f32_f16_e32 v30, v31
	v_fma_mix_f32 v18, v23, v19, v18 op_sel_hi:[1,1,0]
	v_pk_fma_f32 v[8:9], v[24:25], v[20:21], v[8:9] op_sel_hi:[1,0,1]
	v_fma_mix_f32 v18, v23, v19, v18 op_sel:[1,1,0] op_sel_hi:[1,1,0]
	v_pk_fma_f32 v[8:9], v[26:27], v[22:23], v[8:9] op_sel_hi:[1,0,1]
	s_waitcnt vmcnt(0)
	v_fma_mix_f32 v18, v32, v31, v18 op_sel_hi:[1,1,0]
	v_pk_fma_f32 v[8:9], v[28:29], v[30:31], v[8:9] op_sel_hi:[1,0,1]
	s_andn2_b64 exec, exec, s[20:21]
	s_cbranch_execnz .LBB101_18
; %bb.19:
	s_or_b64 exec, exec, s[20:21]
	v_mov_b32_e32 v1, v9
.LBB101_20:
	s_or_b64 exec, exec, s[6:7]
	v_mov_b32_e32 v9, v1
	s_cbranch_execz .LBB101_22
	s_branch .LBB101_27
.LBB101_21:
                                        ; implicit-def: $vgpr9
                                        ; implicit-def: $vgpr18
.LBB101_22:
	v_mov_b32_e32 v9, 0
	v_mov_b32_e32 v8, v9
	;; [unrolled: 1-line block ×3, first 2 shown]
	s_and_saveexec_b64 s[6:7], s[2:3]
	s_cbranch_execz .LBB101_26
; %bb.23:
	v_lshl_add_u64 v[8:9], v[10:11], 0, s[10:11]
	v_mov_b32_e32 v18, 0
	v_lshl_add_u64 v[10:11], v[8:9], 0, 10
	v_lshl_add_u64 v[12:13], v[2:3], 3, s[8:9]
	s_mov_b64 s[2:3], 0
	v_mov_b32_e32 v1, s15
	s_mov_b64 s[8:9], 0x90
	v_mov_b32_e32 v8, 0
	v_mov_b32_e32 v9, v18
.LBB101_24:                             ; =>This Inner Loop Header: Depth=1
	global_load_dwordx2 v[20:21], v[12:13], off
	global_load_dwordx4 v[14:17], v[10:11], off offset:-10
	v_lshl_add_u64 v[2:3], v[2:3], 0, 8
	v_lshl_add_u64 v[12:13], v[12:13], 0, 64
	s_waitcnt vmcnt(1)
	v_subrev_co_u32_e32 v19, vcc, s18, v20
	s_nop 1
	v_subb_co_u32_e32 v23, vcc, v21, v1, vcc
	v_mad_u64_u32 v[20:21], s[10:11], v19, 6, s[4:5]
	v_mov_b32_e32 v22, v21
	v_mad_u64_u32 v[22:23], s[10:11], v23, 6, v[22:23]
	v_mov_b32_e32 v21, v22
	global_load_dword v19, v[20:21], off
	global_load_ushort v27, v[20:21], off offset:4
	global_load_ushort v29, v[10:11], off offset:6
	s_waitcnt vmcnt(3)
	v_cvt_f32_f16_sdwa v21, v14 dst_sel:DWORD dst_unused:UNUSED_PAD src0_sel:WORD_1
	v_cvt_f32_f16_e32 v20, v14
	v_cvt_f32_f16_sdwa v22, v15 dst_sel:DWORD dst_unused:UNUSED_PAD src0_sel:WORD_1
	v_cvt_f32_f16_e32 v23, v16
	;; [unrolled: 2-line block ×3, first 2 shown]
	v_cmp_ge_i64_e32 vcc, v[2:3], v[6:7]
	v_lshl_add_u64 v[10:11], v[10:11], 0, s[8:9]
	s_or_b64 s[2:3], vcc, s[2:3]
	s_waitcnt vmcnt(2)
	v_cvt_f32_f16_e32 v14, v19
	v_cvt_f32_f16_sdwa v26, v19 dst_sel:DWORD dst_unused:UNUSED_PAD src0_sel:WORD_1
	v_fma_mix_f32 v15, v15, v19, v18 op_sel_hi:[1,1,0]
	s_waitcnt vmcnt(1)
	v_cvt_f32_f16_e32 v28, v27
	v_fma_mix_f32 v15, v16, v19, v15 op_sel:[1,1,0] op_sel_hi:[1,1,0]
	s_nop 0
	v_pk_fma_f32 v[8:9], v[20:21], v[14:15], v[8:9] op_sel_hi:[1,0,1]
	s_waitcnt vmcnt(0)
	v_fma_mix_f32 v18, v29, v27, v15 op_sel_hi:[1,1,0]
	v_pk_fma_f32 v[8:9], v[22:23], v[26:27], v[8:9] op_sel_hi:[1,0,1]
	s_nop 0
	v_pk_fma_f32 v[8:9], v[24:25], v[28:29], v[8:9] op_sel_hi:[1,0,1]
	s_andn2_b64 exec, exec, s[2:3]
	s_cbranch_execnz .LBB101_24
; %bb.25:
	s_or_b64 exec, exec, s[2:3]
.LBB101_26:
	s_or_b64 exec, exec, s[6:7]
.LBB101_27:
	v_mov_b32_dpp v2, v8 row_shr:1 row_mask:0xf bank_mask:0xf
	v_mov_b32_dpp v3, v9 row_shr:1 row_mask:0xf bank_mask:0xf
	;; [unrolled: 1-line block ×3, first 2 shown]
	v_pk_add_f32 v[2:3], v[8:9], v[2:3]
	v_add_f32_e32 v1, v18, v1
	v_cmp_eq_u32_e32 vcc, 7, v0
	v_mov_b32_dpp v6, v2 row_shr:2 row_mask:0xf bank_mask:0xf
	v_mov_b32_dpp v7, v3 row_shr:2 row_mask:0xf bank_mask:0xf
	;; [unrolled: 1-line block ×3, first 2 shown]
	v_pk_add_f32 v[2:3], v[2:3], v[6:7]
	v_add_f32_e32 v1, v1, v8
	s_nop 0
	v_mov_b32_dpp v6, v2 row_shr:4 row_mask:0xf bank_mask:0xe
	v_mov_b32_dpp v7, v3 row_shr:4 row_mask:0xf bank_mask:0xe
	;; [unrolled: 1-line block ×3, first 2 shown]
	s_and_b64 exec, exec, vcc
	s_cbranch_execz .LBB101_10
; %bb.28:
	s_load_dwordx2 s[0:1], s[0:1], 0x58
	v_add_f32_e32 v0, v1, v8
	v_cmp_eq_f32_e64 s[2:3], s16, 0
	v_pk_add_f32 v[6:7], v[2:3], v[6:7]
	s_and_b64 vcc, exec, s[2:3]
	v_mul_f32_e32 v2, s12, v0
	s_cbranch_vccz .LBB101_30
; %bb.29:
	s_waitcnt lgkmcnt(0)
	v_mad_u64_u32 v[8:9], s[2:3], v4, 12, s[0:1]
	v_mov_b32_e32 v0, v9
	v_mad_u64_u32 v[0:1], s[2:3], v5, 12, v[0:1]
	v_mov_b32_e32 v9, v0
	v_pk_mul_f32 v[0:1], s[12:13], v[6:7] op_sel_hi:[0,1]
	global_store_dwordx3 v[8:9], v[0:2], off
	s_cbranch_execnz .LBB101_10
	s_branch .LBB101_31
.LBB101_30:
.LBB101_31:
	s_waitcnt lgkmcnt(0)
	v_mad_u64_u32 v[12:13], s[0:1], v4, 12, s[0:1]
	v_mov_b32_e32 v0, v13
	v_mad_u64_u32 v[0:1], s[0:1], v5, 12, v[0:1]
	v_mov_b32_e32 v13, v0
	global_load_dwordx3 v[8:10], v[12:13], off
	v_pk_mul_f32 v[0:1], s[12:13], v[6:7] op_sel_hi:[0,1]
	s_waitcnt vmcnt(0)
	v_pk_fma_f32 v[0:1], s[16:17], v[8:9], v[0:1] op_sel_hi:[0,1,1]
	v_fmac_f32_e32 v2, s16, v10
	global_store_dwordx3 v[12:13], v[0:2], off
	s_endpgm
	.section	.rodata,"a",@progbits
	.p2align	6, 0x0
	.amdhsa_kernel _ZN9rocsparseL18bsrxmvn_3x3_kernelILj256ELj8EfllDF16_DF16_fEEvT3_20rocsparse_direction_NS_24const_host_device_scalarIT1_EES1_PKS1_PKT2_SA_S7_PKT4_PKT5_S5_PT6_21rocsparse_index_base_b
		.amdhsa_group_segment_fixed_size 0
		.amdhsa_private_segment_fixed_size 0
		.amdhsa_kernarg_size 104
		.amdhsa_user_sgpr_count 2
		.amdhsa_user_sgpr_dispatch_ptr 0
		.amdhsa_user_sgpr_queue_ptr 0
		.amdhsa_user_sgpr_kernarg_segment_ptr 1
		.amdhsa_user_sgpr_dispatch_id 0
		.amdhsa_user_sgpr_kernarg_preload_length 0
		.amdhsa_user_sgpr_kernarg_preload_offset 0
		.amdhsa_user_sgpr_private_segment_size 0
		.amdhsa_uses_dynamic_stack 0
		.amdhsa_enable_private_segment 0
		.amdhsa_system_sgpr_workgroup_id_x 1
		.amdhsa_system_sgpr_workgroup_id_y 0
		.amdhsa_system_sgpr_workgroup_id_z 0
		.amdhsa_system_sgpr_workgroup_info 0
		.amdhsa_system_vgpr_workitem_id 0
		.amdhsa_next_free_vgpr 33
		.amdhsa_next_free_sgpr 26
		.amdhsa_accum_offset 36
		.amdhsa_reserve_vcc 1
		.amdhsa_float_round_mode_32 0
		.amdhsa_float_round_mode_16_64 0
		.amdhsa_float_denorm_mode_32 3
		.amdhsa_float_denorm_mode_16_64 3
		.amdhsa_dx10_clamp 1
		.amdhsa_ieee_mode 1
		.amdhsa_fp16_overflow 0
		.amdhsa_tg_split 0
		.amdhsa_exception_fp_ieee_invalid_op 0
		.amdhsa_exception_fp_denorm_src 0
		.amdhsa_exception_fp_ieee_div_zero 0
		.amdhsa_exception_fp_ieee_overflow 0
		.amdhsa_exception_fp_ieee_underflow 0
		.amdhsa_exception_fp_ieee_inexact 0
		.amdhsa_exception_int_div_zero 0
	.end_amdhsa_kernel
	.section	.text._ZN9rocsparseL18bsrxmvn_3x3_kernelILj256ELj8EfllDF16_DF16_fEEvT3_20rocsparse_direction_NS_24const_host_device_scalarIT1_EES1_PKS1_PKT2_SA_S7_PKT4_PKT5_S5_PT6_21rocsparse_index_base_b,"axG",@progbits,_ZN9rocsparseL18bsrxmvn_3x3_kernelILj256ELj8EfllDF16_DF16_fEEvT3_20rocsparse_direction_NS_24const_host_device_scalarIT1_EES1_PKS1_PKT2_SA_S7_PKT4_PKT5_S5_PT6_21rocsparse_index_base_b,comdat
.Lfunc_end101:
	.size	_ZN9rocsparseL18bsrxmvn_3x3_kernelILj256ELj8EfllDF16_DF16_fEEvT3_20rocsparse_direction_NS_24const_host_device_scalarIT1_EES1_PKS1_PKT2_SA_S7_PKT4_PKT5_S5_PT6_21rocsparse_index_base_b, .Lfunc_end101-_ZN9rocsparseL18bsrxmvn_3x3_kernelILj256ELj8EfllDF16_DF16_fEEvT3_20rocsparse_direction_NS_24const_host_device_scalarIT1_EES1_PKS1_PKT2_SA_S7_PKT4_PKT5_S5_PT6_21rocsparse_index_base_b
                                        ; -- End function
	.section	.AMDGPU.csdata,"",@progbits
; Kernel info:
; codeLenInByte = 1376
; NumSgprs: 32
; NumVgprs: 33
; NumAgprs: 0
; TotalNumVgprs: 33
; ScratchSize: 0
; MemoryBound: 0
; FloatMode: 240
; IeeeMode: 1
; LDSByteSize: 0 bytes/workgroup (compile time only)
; SGPRBlocks: 3
; VGPRBlocks: 4
; NumSGPRsForWavesPerEU: 32
; NumVGPRsForWavesPerEU: 33
; AccumOffset: 36
; Occupancy: 8
; WaveLimiterHint : 1
; COMPUTE_PGM_RSRC2:SCRATCH_EN: 0
; COMPUTE_PGM_RSRC2:USER_SGPR: 2
; COMPUTE_PGM_RSRC2:TRAP_HANDLER: 0
; COMPUTE_PGM_RSRC2:TGID_X_EN: 1
; COMPUTE_PGM_RSRC2:TGID_Y_EN: 0
; COMPUTE_PGM_RSRC2:TGID_Z_EN: 0
; COMPUTE_PGM_RSRC2:TIDIG_COMP_CNT: 0
; COMPUTE_PGM_RSRC3_GFX90A:ACCUM_OFFSET: 8
; COMPUTE_PGM_RSRC3_GFX90A:TG_SPLIT: 0
	.section	.text._ZN9rocsparseL18bsrxmvn_3x3_kernelILj256ELj16EfllDF16_DF16_fEEvT3_20rocsparse_direction_NS_24const_host_device_scalarIT1_EES1_PKS1_PKT2_SA_S7_PKT4_PKT5_S5_PT6_21rocsparse_index_base_b,"axG",@progbits,_ZN9rocsparseL18bsrxmvn_3x3_kernelILj256ELj16EfllDF16_DF16_fEEvT3_20rocsparse_direction_NS_24const_host_device_scalarIT1_EES1_PKS1_PKT2_SA_S7_PKT4_PKT5_S5_PT6_21rocsparse_index_base_b,comdat
	.globl	_ZN9rocsparseL18bsrxmvn_3x3_kernelILj256ELj16EfllDF16_DF16_fEEvT3_20rocsparse_direction_NS_24const_host_device_scalarIT1_EES1_PKS1_PKT2_SA_S7_PKT4_PKT5_S5_PT6_21rocsparse_index_base_b ; -- Begin function _ZN9rocsparseL18bsrxmvn_3x3_kernelILj256ELj16EfllDF16_DF16_fEEvT3_20rocsparse_direction_NS_24const_host_device_scalarIT1_EES1_PKS1_PKT2_SA_S7_PKT4_PKT5_S5_PT6_21rocsparse_index_base_b
	.p2align	8
	.type	_ZN9rocsparseL18bsrxmvn_3x3_kernelILj256ELj16EfllDF16_DF16_fEEvT3_20rocsparse_direction_NS_24const_host_device_scalarIT1_EES1_PKS1_PKT2_SA_S7_PKT4_PKT5_S5_PT6_21rocsparse_index_base_b,@function
_ZN9rocsparseL18bsrxmvn_3x3_kernelILj256ELj16EfllDF16_DF16_fEEvT3_20rocsparse_direction_NS_24const_host_device_scalarIT1_EES1_PKS1_PKT2_SA_S7_PKT4_PKT5_S5_PT6_21rocsparse_index_base_b: ; @_ZN9rocsparseL18bsrxmvn_3x3_kernelILj256ELj16EfllDF16_DF16_fEEvT3_20rocsparse_direction_NS_24const_host_device_scalarIT1_EES1_PKS1_PKT2_SA_S7_PKT4_PKT5_S5_PT6_21rocsparse_index_base_b
; %bb.0:
	s_load_dwordx2 s[18:19], s[0:1], 0x60
	s_load_dwordx4 s[12:15], s[0:1], 0x10
	s_load_dwordx2 s[16:17], s[0:1], 0x50
	s_waitcnt lgkmcnt(0)
	s_bitcmp1_b32 s19, 0
	s_cselect_b64 s[6:7], -1, 0
	s_xor_b64 s[4:5], s[6:7], -1
	s_and_b64 vcc, exec, s[6:7]
	s_cbranch_vccnz .LBB102_2
; %bb.1:
	s_load_dword s12, s[12:13], 0x0
.LBB102_2:
	s_andn2_b64 vcc, exec, s[4:5]
	s_cbranch_vccnz .LBB102_4
; %bb.3:
	s_load_dword s16, s[16:17], 0x0
.LBB102_4:
	s_waitcnt lgkmcnt(0)
	v_cmp_neq_f32_e64 s[4:5], s12, 0
	v_cmp_neq_f32_e64 s[6:7], s16, 1.0
	s_or_b64 s[4:5], s[4:5], s[6:7]
	s_andn2_b64 vcc, exec, s[4:5]
	s_cbranch_vccnz .LBB102_10
; %bb.5:
	s_load_dwordx2 s[4:5], s[0:1], 0x20
	v_lshrrev_b32_e32 v1, 4, v0
	v_lshl_or_b32 v2, s2, 4, v1
	v_mov_b32_e32 v3, 0
	s_mov_b64 s[2:3], 0
	s_waitcnt lgkmcnt(0)
	s_cmp_lg_u64 s[4:5], 0
	s_cbranch_scc0 .LBB102_11
; %bb.6:
	v_cmp_gt_i64_e32 vcc, s[14:15], v[2:3]
                                        ; implicit-def: $vgpr4_vgpr5
	s_and_saveexec_b64 s[6:7], vcc
	s_xor_b64 s[6:7], exec, s[6:7]
                                        ; implicit-def: $sgpr14_sgpr15
	s_cbranch_execz .LBB102_8
; %bb.7:
	v_lshl_add_u64 v[4:5], v[2:3], 3, s[4:5]
	global_load_dwordx2 v[4:5], v[4:5], off
	s_mov_b64 s[2:3], exec
	s_mov_b32 s15, 0
	s_waitcnt vmcnt(0)
	v_subrev_co_u32_e32 v4, vcc, s18, v4
	s_nop 1
	v_subbrev_co_u32_e32 v5, vcc, 0, v5, vcc
.LBB102_8:
	s_or_b64 exec, exec, s[6:7]
.LBB102_9:
	s_and_saveexec_b64 s[4:5], s[2:3]
	s_cbranch_execnz .LBB102_15
.LBB102_10:
	s_endpgm
.LBB102_11:
                                        ; implicit-def: $vgpr4_vgpr5
                                        ; implicit-def: $sgpr14_sgpr15
	s_cbranch_execz .LBB102_9
; %bb.12:
	s_load_dwordx2 s[4:5], s[0:1], 0x0
                                        ; implicit-def: $vgpr4_vgpr5
	s_waitcnt lgkmcnt(0)
	v_cmp_gt_i64_e32 vcc, s[4:5], v[2:3]
	s_and_saveexec_b64 s[4:5], vcc
                                        ; implicit-def: $sgpr14_sgpr15
; %bb.13:
	s_mov_b32 s15, 0
	s_or_b64 s[2:3], s[2:3], exec
	v_mov_b64_e32 v[4:5], v[2:3]
; %bb.14:
	s_or_b64 exec, exec, s[4:5]
	s_and_saveexec_b64 s[4:5], s[2:3]
	s_cbranch_execz .LBB102_10
.LBB102_15:
	s_load_dwordx8 s[4:11], s[0:1], 0x28
	v_lshlrev_b64 v[2:3], 3, v[4:5]
	v_mov_b32_e32 v10, s15
	v_and_b32_e32 v0, 15, v0
	v_mov_b32_e32 v1, 0
	s_waitcnt lgkmcnt(0)
	v_lshl_add_u64 v[6:7], s[4:5], 0, v[2:3]
	s_cmp_eq_u64 s[6:7], 0
	global_load_dwordx2 v[8:9], v[6:7], off
	v_lshl_add_u64 v[2:3], s[6:7], 0, v[2:3]
	v_lshl_add_u64 v[6:7], v[6:7], 0, 8
	s_cselect_b64 vcc, -1, 0
	v_cndmask_b32_e32 v3, v3, v7, vcc
	v_cndmask_b32_e32 v2, v2, v6, vcc
	global_load_dwordx2 v[6:7], v[2:3], off
	s_load_dword s2, s[0:1], 0x8
	s_load_dwordx2 s[4:5], s[0:1], 0x48
	s_waitcnt lgkmcnt(0)
	s_cmp_eq_u32 s2, 1
	s_waitcnt vmcnt(1)
	v_subrev_co_u32_e32 v2, vcc, s18, v8
	s_nop 1
	v_subb_co_u32_e32 v3, vcc, v9, v10, vcc
	v_lshl_add_u64 v[2:3], v[2:3], 0, v[0:1]
	v_mad_u64_u32 v[8:9], s[2:3], v2, 18, s[10:11]
	s_waitcnt vmcnt(0)
	v_subrev_co_u32_e32 v6, vcc, s18, v6
	s_nop 1
	v_subb_co_u32_e32 v7, vcc, v7, v10, vcc
	v_mov_b32_e32 v10, v9
	v_mad_u64_u32 v[10:11], s[2:3], v3, 18, v[10:11]
	v_mov_b32_e32 v9, v10
	v_cmp_lt_i64_e64 s[2:3], v[2:3], v[6:7]
	s_cbranch_scc1 .LBB102_21
; %bb.16:
	v_mov_b32_e32 v10, v1
	v_mov_b32_e32 v18, v1
	s_and_saveexec_b64 s[6:7], s[2:3]
	s_cbranch_execz .LBB102_20
; %bb.17:
	v_mov_b32_e32 v18, 0
	v_lshl_add_u64 v[12:13], v[2:3], 3, s[8:9]
	s_mov_b64 s[10:11], 0
	v_mov_b32_e32 v1, s15
	s_mov_b64 s[20:21], 0x120
	s_mov_b64 s[22:23], 0x80
	v_mov_b64_e32 v[14:15], v[8:9]
	v_mov_b64_e32 v[16:17], v[2:3]
	v_mov_b32_e32 v10, 0
	v_mov_b32_e32 v11, v18
.LBB102_18:                             ; =>This Inner Loop Header: Depth=1
	global_load_dwordx2 v[24:25], v[12:13], off
	global_load_dwordx4 v[20:23], v[14:15], off
	v_lshl_add_u64 v[16:17], v[16:17], 0, 16
	v_lshl_add_u64 v[12:13], v[12:13], 0, s[22:23]
	s_waitcnt vmcnt(1)
	v_subrev_co_u32_e32 v19, vcc, s18, v24
	s_nop 1
	v_subb_co_u32_e32 v27, vcc, v25, v1, vcc
	v_mad_u64_u32 v[24:25], s[24:25], v19, 6, s[4:5]
	v_mov_b32_e32 v26, v25
	v_mad_u64_u32 v[26:27], s[24:25], v27, 6, v[26:27]
	v_mov_b32_e32 v25, v26
	global_load_dword v19, v[24:25], off
	global_load_ushort v31, v[24:25], off offset:4
	global_load_ushort v32, v[14:15], off offset:16
	s_waitcnt vmcnt(3)
	v_cvt_f32_f16_sdwa v25, v21 dst_sel:DWORD dst_unused:UNUSED_PAD src0_sel:WORD_1
	v_cvt_f32_f16_e32 v24, v20
	v_cvt_f32_f16_sdwa v26, v20 dst_sel:DWORD dst_unused:UNUSED_PAD src0_sel:WORD_1
	v_cvt_f32_f16_e32 v27, v22
	;; [unrolled: 2-line block ×3, first 2 shown]
	v_cmp_ge_i64_e32 vcc, v[16:17], v[6:7]
	v_lshl_add_u64 v[14:15], v[14:15], 0, s[20:21]
	s_or_b64 s[10:11], vcc, s[10:11]
	s_waitcnt vmcnt(2)
	v_cvt_f32_f16_e32 v20, v19
	v_cvt_f32_f16_sdwa v22, v19 dst_sel:DWORD dst_unused:UNUSED_PAD src0_sel:WORD_1
	s_waitcnt vmcnt(1)
	v_cvt_f32_f16_e32 v30, v31
	v_fma_mix_f32 v18, v23, v19, v18 op_sel_hi:[1,1,0]
	v_pk_fma_f32 v[10:11], v[24:25], v[20:21], v[10:11] op_sel_hi:[1,0,1]
	v_fma_mix_f32 v18, v23, v19, v18 op_sel:[1,1,0] op_sel_hi:[1,1,0]
	v_pk_fma_f32 v[10:11], v[26:27], v[22:23], v[10:11] op_sel_hi:[1,0,1]
	s_waitcnt vmcnt(0)
	v_fma_mix_f32 v18, v32, v31, v18 op_sel_hi:[1,1,0]
	v_pk_fma_f32 v[10:11], v[28:29], v[30:31], v[10:11] op_sel_hi:[1,0,1]
	s_andn2_b64 exec, exec, s[10:11]
	s_cbranch_execnz .LBB102_18
; %bb.19:
	s_or_b64 exec, exec, s[10:11]
	v_mov_b32_e32 v1, v11
.LBB102_20:
	s_or_b64 exec, exec, s[6:7]
	v_mov_b32_e32 v11, v1
	s_cbranch_execz .LBB102_22
	s_branch .LBB102_27
.LBB102_21:
                                        ; implicit-def: $vgpr11
                                        ; implicit-def: $vgpr18
.LBB102_22:
	v_mov_b32_e32 v11, 0
	v_mov_b32_e32 v10, v11
	;; [unrolled: 1-line block ×3, first 2 shown]
	s_and_saveexec_b64 s[6:7], s[2:3]
	s_cbranch_execz .LBB102_26
; %bb.23:
	v_mov_b32_e32 v18, 0
	v_lshl_add_u64 v[12:13], v[2:3], 3, s[8:9]
	s_mov_b64 s[2:3], 0
	v_mov_b32_e32 v1, s15
	s_mov_b64 s[8:9], 0x120
	s_mov_b64 s[10:11], 0x80
	v_mov_b32_e32 v10, 0
	v_mov_b32_e32 v11, v18
.LBB102_24:                             ; =>This Inner Loop Header: Depth=1
	global_load_dwordx2 v[20:21], v[12:13], off
	global_load_dwordx4 v[14:17], v[8:9], off
	v_lshl_add_u64 v[2:3], v[2:3], 0, 16
	v_lshl_add_u64 v[12:13], v[12:13], 0, s[10:11]
	s_waitcnt vmcnt(1)
	v_subrev_co_u32_e32 v19, vcc, s18, v20
	s_nop 1
	v_subb_co_u32_e32 v23, vcc, v21, v1, vcc
	v_mad_u64_u32 v[20:21], s[14:15], v19, 6, s[4:5]
	v_mov_b32_e32 v22, v21
	v_mad_u64_u32 v[22:23], s[14:15], v23, 6, v[22:23]
	v_mov_b32_e32 v21, v22
	global_load_dword v19, v[20:21], off
	global_load_ushort v27, v[20:21], off offset:4
	global_load_ushort v29, v[8:9], off offset:16
	s_waitcnt vmcnt(3)
	v_cvt_f32_f16_sdwa v21, v14 dst_sel:DWORD dst_unused:UNUSED_PAD src0_sel:WORD_1
	v_cvt_f32_f16_e32 v20, v14
	v_cvt_f32_f16_sdwa v22, v15 dst_sel:DWORD dst_unused:UNUSED_PAD src0_sel:WORD_1
	v_cvt_f32_f16_e32 v23, v16
	;; [unrolled: 2-line block ×3, first 2 shown]
	v_cmp_ge_i64_e32 vcc, v[2:3], v[6:7]
	v_lshl_add_u64 v[8:9], v[8:9], 0, s[8:9]
	s_or_b64 s[2:3], vcc, s[2:3]
	s_waitcnt vmcnt(2)
	v_cvt_f32_f16_e32 v14, v19
	v_cvt_f32_f16_sdwa v26, v19 dst_sel:DWORD dst_unused:UNUSED_PAD src0_sel:WORD_1
	v_fma_mix_f32 v15, v15, v19, v18 op_sel_hi:[1,1,0]
	s_waitcnt vmcnt(1)
	v_cvt_f32_f16_e32 v28, v27
	v_fma_mix_f32 v15, v16, v19, v15 op_sel:[1,1,0] op_sel_hi:[1,1,0]
	s_nop 0
	v_pk_fma_f32 v[10:11], v[20:21], v[14:15], v[10:11] op_sel_hi:[1,0,1]
	s_waitcnt vmcnt(0)
	v_fma_mix_f32 v18, v29, v27, v15 op_sel_hi:[1,1,0]
	v_pk_fma_f32 v[10:11], v[22:23], v[26:27], v[10:11] op_sel_hi:[1,0,1]
	s_nop 0
	v_pk_fma_f32 v[10:11], v[24:25], v[28:29], v[10:11] op_sel_hi:[1,0,1]
	s_andn2_b64 exec, exec, s[2:3]
	s_cbranch_execnz .LBB102_24
; %bb.25:
	s_or_b64 exec, exec, s[2:3]
.LBB102_26:
	s_or_b64 exec, exec, s[6:7]
.LBB102_27:
	v_mov_b32_dpp v2, v10 row_shr:1 row_mask:0xf bank_mask:0xf
	v_mov_b32_dpp v3, v11 row_shr:1 row_mask:0xf bank_mask:0xf
	;; [unrolled: 1-line block ×3, first 2 shown]
	v_pk_add_f32 v[2:3], v[10:11], v[2:3]
	v_add_f32_e32 v1, v18, v1
	v_cmp_eq_u32_e32 vcc, 15, v0
	v_mov_b32_dpp v6, v2 row_shr:2 row_mask:0xf bank_mask:0xf
	v_mov_b32_dpp v7, v3 row_shr:2 row_mask:0xf bank_mask:0xf
	;; [unrolled: 1-line block ×3, first 2 shown]
	v_pk_add_f32 v[2:3], v[2:3], v[6:7]
	v_add_f32_e32 v1, v1, v8
	s_nop 0
	v_mov_b32_dpp v6, v2 row_shr:4 row_mask:0xf bank_mask:0xe
	v_mov_b32_dpp v7, v3 row_shr:4 row_mask:0xf bank_mask:0xe
	;; [unrolled: 1-line block ×3, first 2 shown]
	v_pk_add_f32 v[2:3], v[2:3], v[6:7]
	v_add_f32_e32 v1, v1, v8
	s_nop 0
	v_mov_b32_dpp v6, v2 row_shr:8 row_mask:0xf bank_mask:0xc
	v_mov_b32_dpp v7, v3 row_shr:8 row_mask:0xf bank_mask:0xc
	;; [unrolled: 1-line block ×3, first 2 shown]
	s_and_b64 exec, exec, vcc
	s_cbranch_execz .LBB102_10
; %bb.28:
	s_load_dwordx2 s[0:1], s[0:1], 0x58
	v_add_f32_e32 v0, v1, v8
	v_cmp_eq_f32_e64 s[2:3], s16, 0
	v_pk_add_f32 v[6:7], v[2:3], v[6:7]
	s_and_b64 vcc, exec, s[2:3]
	v_mul_f32_e32 v2, s12, v0
	s_cbranch_vccz .LBB102_30
; %bb.29:
	s_waitcnt lgkmcnt(0)
	v_mad_u64_u32 v[8:9], s[2:3], v4, 12, s[0:1]
	v_mov_b32_e32 v0, v9
	v_mad_u64_u32 v[0:1], s[2:3], v5, 12, v[0:1]
	v_mov_b32_e32 v9, v0
	v_pk_mul_f32 v[0:1], s[12:13], v[6:7] op_sel_hi:[0,1]
	global_store_dwordx3 v[8:9], v[0:2], off
	s_cbranch_execnz .LBB102_10
	s_branch .LBB102_31
.LBB102_30:
.LBB102_31:
	s_waitcnt lgkmcnt(0)
	v_mad_u64_u32 v[12:13], s[0:1], v4, 12, s[0:1]
	v_mov_b32_e32 v0, v13
	v_mad_u64_u32 v[0:1], s[0:1], v5, 12, v[0:1]
	v_mov_b32_e32 v13, v0
	global_load_dwordx3 v[8:10], v[12:13], off
	v_pk_mul_f32 v[0:1], s[12:13], v[6:7] op_sel_hi:[0,1]
	s_waitcnt vmcnt(0)
	v_pk_fma_f32 v[0:1], s[16:17], v[8:9], v[0:1] op_sel_hi:[0,1,1]
	v_fmac_f32_e32 v2, s16, v10
	global_store_dwordx3 v[12:13], v[0:2], off
	s_endpgm
	.section	.rodata,"a",@progbits
	.p2align	6, 0x0
	.amdhsa_kernel _ZN9rocsparseL18bsrxmvn_3x3_kernelILj256ELj16EfllDF16_DF16_fEEvT3_20rocsparse_direction_NS_24const_host_device_scalarIT1_EES1_PKS1_PKT2_SA_S7_PKT4_PKT5_S5_PT6_21rocsparse_index_base_b
		.amdhsa_group_segment_fixed_size 0
		.amdhsa_private_segment_fixed_size 0
		.amdhsa_kernarg_size 104
		.amdhsa_user_sgpr_count 2
		.amdhsa_user_sgpr_dispatch_ptr 0
		.amdhsa_user_sgpr_queue_ptr 0
		.amdhsa_user_sgpr_kernarg_segment_ptr 1
		.amdhsa_user_sgpr_dispatch_id 0
		.amdhsa_user_sgpr_kernarg_preload_length 0
		.amdhsa_user_sgpr_kernarg_preload_offset 0
		.amdhsa_user_sgpr_private_segment_size 0
		.amdhsa_uses_dynamic_stack 0
		.amdhsa_enable_private_segment 0
		.amdhsa_system_sgpr_workgroup_id_x 1
		.amdhsa_system_sgpr_workgroup_id_y 0
		.amdhsa_system_sgpr_workgroup_id_z 0
		.amdhsa_system_sgpr_workgroup_info 0
		.amdhsa_system_vgpr_workitem_id 0
		.amdhsa_next_free_vgpr 33
		.amdhsa_next_free_sgpr 26
		.amdhsa_accum_offset 36
		.amdhsa_reserve_vcc 1
		.amdhsa_float_round_mode_32 0
		.amdhsa_float_round_mode_16_64 0
		.amdhsa_float_denorm_mode_32 3
		.amdhsa_float_denorm_mode_16_64 3
		.amdhsa_dx10_clamp 1
		.amdhsa_ieee_mode 1
		.amdhsa_fp16_overflow 0
		.amdhsa_tg_split 0
		.amdhsa_exception_fp_ieee_invalid_op 0
		.amdhsa_exception_fp_denorm_src 0
		.amdhsa_exception_fp_ieee_div_zero 0
		.amdhsa_exception_fp_ieee_overflow 0
		.amdhsa_exception_fp_ieee_underflow 0
		.amdhsa_exception_fp_ieee_inexact 0
		.amdhsa_exception_int_div_zero 0
	.end_amdhsa_kernel
	.section	.text._ZN9rocsparseL18bsrxmvn_3x3_kernelILj256ELj16EfllDF16_DF16_fEEvT3_20rocsparse_direction_NS_24const_host_device_scalarIT1_EES1_PKS1_PKT2_SA_S7_PKT4_PKT5_S5_PT6_21rocsparse_index_base_b,"axG",@progbits,_ZN9rocsparseL18bsrxmvn_3x3_kernelILj256ELj16EfllDF16_DF16_fEEvT3_20rocsparse_direction_NS_24const_host_device_scalarIT1_EES1_PKS1_PKT2_SA_S7_PKT4_PKT5_S5_PT6_21rocsparse_index_base_b,comdat
.Lfunc_end102:
	.size	_ZN9rocsparseL18bsrxmvn_3x3_kernelILj256ELj16EfllDF16_DF16_fEEvT3_20rocsparse_direction_NS_24const_host_device_scalarIT1_EES1_PKS1_PKT2_SA_S7_PKT4_PKT5_S5_PT6_21rocsparse_index_base_b, .Lfunc_end102-_ZN9rocsparseL18bsrxmvn_3x3_kernelILj256ELj16EfllDF16_DF16_fEEvT3_20rocsparse_direction_NS_24const_host_device_scalarIT1_EES1_PKS1_PKT2_SA_S7_PKT4_PKT5_S5_PT6_21rocsparse_index_base_b
                                        ; -- End function
	.section	.AMDGPU.csdata,"",@progbits
; Kernel info:
; codeLenInByte = 1412
; NumSgprs: 32
; NumVgprs: 33
; NumAgprs: 0
; TotalNumVgprs: 33
; ScratchSize: 0
; MemoryBound: 0
; FloatMode: 240
; IeeeMode: 1
; LDSByteSize: 0 bytes/workgroup (compile time only)
; SGPRBlocks: 3
; VGPRBlocks: 4
; NumSGPRsForWavesPerEU: 32
; NumVGPRsForWavesPerEU: 33
; AccumOffset: 36
; Occupancy: 8
; WaveLimiterHint : 1
; COMPUTE_PGM_RSRC2:SCRATCH_EN: 0
; COMPUTE_PGM_RSRC2:USER_SGPR: 2
; COMPUTE_PGM_RSRC2:TRAP_HANDLER: 0
; COMPUTE_PGM_RSRC2:TGID_X_EN: 1
; COMPUTE_PGM_RSRC2:TGID_Y_EN: 0
; COMPUTE_PGM_RSRC2:TGID_Z_EN: 0
; COMPUTE_PGM_RSRC2:TIDIG_COMP_CNT: 0
; COMPUTE_PGM_RSRC3_GFX90A:ACCUM_OFFSET: 8
; COMPUTE_PGM_RSRC3_GFX90A:TG_SPLIT: 0
	.section	.text._ZN9rocsparseL18bsrxmvn_3x3_kernelILj256ELj32EfllDF16_DF16_fEEvT3_20rocsparse_direction_NS_24const_host_device_scalarIT1_EES1_PKS1_PKT2_SA_S7_PKT4_PKT5_S5_PT6_21rocsparse_index_base_b,"axG",@progbits,_ZN9rocsparseL18bsrxmvn_3x3_kernelILj256ELj32EfllDF16_DF16_fEEvT3_20rocsparse_direction_NS_24const_host_device_scalarIT1_EES1_PKS1_PKT2_SA_S7_PKT4_PKT5_S5_PT6_21rocsparse_index_base_b,comdat
	.globl	_ZN9rocsparseL18bsrxmvn_3x3_kernelILj256ELj32EfllDF16_DF16_fEEvT3_20rocsparse_direction_NS_24const_host_device_scalarIT1_EES1_PKS1_PKT2_SA_S7_PKT4_PKT5_S5_PT6_21rocsparse_index_base_b ; -- Begin function _ZN9rocsparseL18bsrxmvn_3x3_kernelILj256ELj32EfllDF16_DF16_fEEvT3_20rocsparse_direction_NS_24const_host_device_scalarIT1_EES1_PKS1_PKT2_SA_S7_PKT4_PKT5_S5_PT6_21rocsparse_index_base_b
	.p2align	8
	.type	_ZN9rocsparseL18bsrxmvn_3x3_kernelILj256ELj32EfllDF16_DF16_fEEvT3_20rocsparse_direction_NS_24const_host_device_scalarIT1_EES1_PKS1_PKT2_SA_S7_PKT4_PKT5_S5_PT6_21rocsparse_index_base_b,@function
_ZN9rocsparseL18bsrxmvn_3x3_kernelILj256ELj32EfllDF16_DF16_fEEvT3_20rocsparse_direction_NS_24const_host_device_scalarIT1_EES1_PKS1_PKT2_SA_S7_PKT4_PKT5_S5_PT6_21rocsparse_index_base_b: ; @_ZN9rocsparseL18bsrxmvn_3x3_kernelILj256ELj32EfllDF16_DF16_fEEvT3_20rocsparse_direction_NS_24const_host_device_scalarIT1_EES1_PKS1_PKT2_SA_S7_PKT4_PKT5_S5_PT6_21rocsparse_index_base_b
; %bb.0:
	s_load_dwordx2 s[18:19], s[0:1], 0x60
	s_load_dwordx4 s[12:15], s[0:1], 0x10
	s_load_dwordx2 s[16:17], s[0:1], 0x50
	s_waitcnt lgkmcnt(0)
	s_bitcmp1_b32 s19, 0
	s_cselect_b64 s[6:7], -1, 0
	s_xor_b64 s[4:5], s[6:7], -1
	s_and_b64 vcc, exec, s[6:7]
	s_cbranch_vccnz .LBB103_2
; %bb.1:
	s_load_dword s12, s[12:13], 0x0
.LBB103_2:
	s_andn2_b64 vcc, exec, s[4:5]
	s_cbranch_vccnz .LBB103_4
; %bb.3:
	s_load_dword s16, s[16:17], 0x0
.LBB103_4:
	s_waitcnt lgkmcnt(0)
	v_cmp_neq_f32_e64 s[4:5], s12, 0
	v_cmp_neq_f32_e64 s[6:7], s16, 1.0
	s_or_b64 s[4:5], s[4:5], s[6:7]
	s_andn2_b64 vcc, exec, s[4:5]
	s_cbranch_vccnz .LBB103_10
; %bb.5:
	s_load_dwordx2 s[4:5], s[0:1], 0x20
	v_lshrrev_b32_e32 v1, 5, v0
	v_lshl_or_b32 v2, s2, 3, v1
	v_mov_b32_e32 v3, 0
	s_mov_b64 s[2:3], 0
	s_waitcnt lgkmcnt(0)
	s_cmp_lg_u64 s[4:5], 0
	s_cbranch_scc0 .LBB103_11
; %bb.6:
	v_cmp_gt_i64_e32 vcc, s[14:15], v[2:3]
                                        ; implicit-def: $vgpr4_vgpr5
	s_and_saveexec_b64 s[6:7], vcc
	s_xor_b64 s[6:7], exec, s[6:7]
                                        ; implicit-def: $sgpr14_sgpr15
	s_cbranch_execz .LBB103_8
; %bb.7:
	v_lshl_add_u64 v[4:5], v[2:3], 3, s[4:5]
	global_load_dwordx2 v[4:5], v[4:5], off
	s_mov_b64 s[2:3], exec
	s_mov_b32 s15, 0
	s_waitcnt vmcnt(0)
	v_subrev_co_u32_e32 v4, vcc, s18, v4
	s_nop 1
	v_subbrev_co_u32_e32 v5, vcc, 0, v5, vcc
.LBB103_8:
	s_or_b64 exec, exec, s[6:7]
.LBB103_9:
	s_and_saveexec_b64 s[4:5], s[2:3]
	s_cbranch_execnz .LBB103_15
.LBB103_10:
	s_endpgm
.LBB103_11:
                                        ; implicit-def: $vgpr4_vgpr5
                                        ; implicit-def: $sgpr14_sgpr15
	s_cbranch_execz .LBB103_9
; %bb.12:
	s_load_dwordx2 s[4:5], s[0:1], 0x0
                                        ; implicit-def: $vgpr4_vgpr5
	s_waitcnt lgkmcnt(0)
	v_cmp_gt_i64_e32 vcc, s[4:5], v[2:3]
	s_and_saveexec_b64 s[4:5], vcc
                                        ; implicit-def: $sgpr14_sgpr15
; %bb.13:
	s_mov_b32 s15, 0
	s_or_b64 s[2:3], s[2:3], exec
	v_mov_b64_e32 v[4:5], v[2:3]
; %bb.14:
	s_or_b64 exec, exec, s[4:5]
	s_and_saveexec_b64 s[4:5], s[2:3]
	s_cbranch_execz .LBB103_10
.LBB103_15:
	s_load_dwordx8 s[4:11], s[0:1], 0x28
	v_lshlrev_b64 v[2:3], 3, v[4:5]
	v_mov_b32_e32 v10, s15
	v_and_b32_e32 v0, 31, v0
	v_mov_b32_e32 v1, 0
	s_waitcnt lgkmcnt(0)
	v_lshl_add_u64 v[6:7], s[4:5], 0, v[2:3]
	s_cmp_eq_u64 s[6:7], 0
	global_load_dwordx2 v[8:9], v[6:7], off
	v_lshl_add_u64 v[2:3], s[6:7], 0, v[2:3]
	v_lshl_add_u64 v[6:7], v[6:7], 0, 8
	s_cselect_b64 vcc, -1, 0
	v_cndmask_b32_e32 v3, v3, v7, vcc
	v_cndmask_b32_e32 v2, v2, v6, vcc
	global_load_dwordx2 v[6:7], v[2:3], off
	s_load_dword s2, s[0:1], 0x8
	s_load_dwordx2 s[4:5], s[0:1], 0x48
	s_waitcnt lgkmcnt(0)
	s_cmp_eq_u32 s2, 1
	s_waitcnt vmcnt(1)
	v_subrev_co_u32_e32 v2, vcc, s18, v8
	s_nop 1
	v_subb_co_u32_e32 v3, vcc, v9, v10, vcc
	v_lshl_add_u64 v[2:3], v[2:3], 0, v[0:1]
	v_mad_u64_u32 v[8:9], s[2:3], v2, 18, s[10:11]
	s_waitcnt vmcnt(0)
	v_subrev_co_u32_e32 v6, vcc, s18, v6
	s_nop 1
	v_subb_co_u32_e32 v7, vcc, v7, v10, vcc
	v_mov_b32_e32 v10, v9
	v_mad_u64_u32 v[10:11], s[2:3], v3, 18, v[10:11]
	v_mov_b32_e32 v9, v10
	v_cmp_lt_i64_e64 s[2:3], v[2:3], v[6:7]
	s_cbranch_scc1 .LBB103_21
; %bb.16:
	v_mov_b32_e32 v10, v1
	v_mov_b32_e32 v18, v1
	s_and_saveexec_b64 s[6:7], s[2:3]
	s_cbranch_execz .LBB103_20
; %bb.17:
	v_mov_b32_e32 v18, 0
	v_lshl_add_u64 v[12:13], v[2:3], 3, s[8:9]
	s_mov_b64 s[10:11], 0
	v_mov_b32_e32 v1, s15
	s_mov_b64 s[20:21], 0x240
	s_mov_b64 s[22:23], 0x100
	v_mov_b64_e32 v[14:15], v[8:9]
	v_mov_b64_e32 v[16:17], v[2:3]
	v_mov_b32_e32 v11, 0
	v_mov_b32_e32 v10, v18
.LBB103_18:                             ; =>This Inner Loop Header: Depth=1
	global_load_dwordx2 v[24:25], v[12:13], off
	global_load_dwordx4 v[20:23], v[14:15], off
	v_lshl_add_u64 v[16:17], v[16:17], 0, 32
	v_lshl_add_u64 v[12:13], v[12:13], 0, s[22:23]
	s_waitcnt vmcnt(1)
	v_subrev_co_u32_e32 v19, vcc, s18, v24
	s_nop 1
	v_subb_co_u32_e32 v27, vcc, v25, v1, vcc
	v_mad_u64_u32 v[24:25], s[24:25], v19, 6, s[4:5]
	v_mov_b32_e32 v26, v25
	v_mad_u64_u32 v[26:27], s[24:25], v27, 6, v[26:27]
	v_mov_b32_e32 v25, v26
	global_load_dword v19, v[24:25], off
	global_load_ushort v31, v[24:25], off offset:4
	global_load_ushort v32, v[14:15], off offset:16
	s_waitcnt vmcnt(3)
	v_cvt_f32_f16_e32 v24, v20
	v_cvt_f32_f16_sdwa v25, v21 dst_sel:DWORD dst_unused:UNUSED_PAD src0_sel:WORD_1
	v_cvt_f32_f16_sdwa v26, v20 dst_sel:DWORD dst_unused:UNUSED_PAD src0_sel:WORD_1
	v_cvt_f32_f16_e32 v27, v22
	v_cvt_f32_f16_sdwa v29, v22 dst_sel:DWORD dst_unused:UNUSED_PAD src0_sel:WORD_1
	v_cvt_f32_f16_e32 v28, v21
	v_cmp_ge_i64_e32 vcc, v[16:17], v[6:7]
	v_lshl_add_u64 v[14:15], v[14:15], 0, s[20:21]
	s_or_b64 s[10:11], vcc, s[10:11]
	s_waitcnt vmcnt(2)
	v_cvt_f32_f16_e32 v20, v19
	v_cvt_f32_f16_sdwa v22, v19 dst_sel:DWORD dst_unused:UNUSED_PAD src0_sel:WORD_1
	s_waitcnt vmcnt(1)
	v_cvt_f32_f16_e32 v30, v31
	v_fma_mix_f32 v18, v23, v19, v18 op_sel_hi:[1,1,0]
	v_pk_fma_f32 v[10:11], v[24:25], v[20:21], v[10:11] op_sel_hi:[1,0,1]
	v_fma_mix_f32 v18, v23, v19, v18 op_sel:[1,1,0] op_sel_hi:[1,1,0]
	v_pk_fma_f32 v[10:11], v[26:27], v[22:23], v[10:11] op_sel_hi:[1,0,1]
	s_waitcnt vmcnt(0)
	v_fma_mix_f32 v18, v32, v31, v18 op_sel_hi:[1,1,0]
	v_pk_fma_f32 v[10:11], v[28:29], v[30:31], v[10:11] op_sel_hi:[1,0,1]
	s_andn2_b64 exec, exec, s[10:11]
	s_cbranch_execnz .LBB103_18
; %bb.19:
	s_or_b64 exec, exec, s[10:11]
	v_mov_b32_e32 v1, v11
.LBB103_20:
	s_or_b64 exec, exec, s[6:7]
	v_mov_b32_e32 v11, v1
	s_cbranch_execz .LBB103_22
	s_branch .LBB103_27
.LBB103_21:
                                        ; implicit-def: $vgpr11
                                        ; implicit-def: $vgpr18
.LBB103_22:
	v_mov_b32_e32 v11, 0
	v_mov_b32_e32 v10, v11
	v_mov_b32_e32 v18, v11
	s_and_saveexec_b64 s[6:7], s[2:3]
	s_cbranch_execz .LBB103_26
; %bb.23:
	v_mov_b32_e32 v18, 0
	v_lshl_add_u64 v[12:13], v[2:3], 3, s[8:9]
	s_mov_b64 s[2:3], 0
	v_mov_b32_e32 v1, s15
	s_mov_b64 s[8:9], 0x240
	s_mov_b64 s[10:11], 0x100
	v_mov_b32_e32 v11, 0
	v_mov_b32_e32 v10, v18
.LBB103_24:                             ; =>This Inner Loop Header: Depth=1
	global_load_dwordx2 v[20:21], v[12:13], off
	global_load_dwordx4 v[14:17], v[8:9], off
	v_lshl_add_u64 v[2:3], v[2:3], 0, 32
	v_lshl_add_u64 v[12:13], v[12:13], 0, s[10:11]
	s_waitcnt vmcnt(1)
	v_subrev_co_u32_e32 v19, vcc, s18, v20
	s_nop 1
	v_subb_co_u32_e32 v23, vcc, v21, v1, vcc
	v_mad_u64_u32 v[20:21], s[14:15], v19, 6, s[4:5]
	v_mov_b32_e32 v22, v21
	v_mad_u64_u32 v[22:23], s[14:15], v23, 6, v[22:23]
	v_mov_b32_e32 v21, v22
	global_load_dword v19, v[20:21], off
	global_load_ushort v27, v[20:21], off offset:4
	global_load_ushort v29, v[8:9], off offset:16
	s_waitcnt vmcnt(3)
	v_cvt_f32_f16_sdwa v21, v14 dst_sel:DWORD dst_unused:UNUSED_PAD src0_sel:WORD_1
	v_cvt_f32_f16_e32 v20, v14
	v_cvt_f32_f16_sdwa v22, v15 dst_sel:DWORD dst_unused:UNUSED_PAD src0_sel:WORD_1
	v_cvt_f32_f16_e32 v23, v16
	;; [unrolled: 2-line block ×3, first 2 shown]
	v_cmp_ge_i64_e32 vcc, v[2:3], v[6:7]
	v_lshl_add_u64 v[8:9], v[8:9], 0, s[8:9]
	s_or_b64 s[2:3], vcc, s[2:3]
	s_waitcnt vmcnt(2)
	v_cvt_f32_f16_e32 v14, v19
	v_cvt_f32_f16_sdwa v26, v19 dst_sel:DWORD dst_unused:UNUSED_PAD src0_sel:WORD_1
	v_fma_mix_f32 v15, v15, v19, v18 op_sel_hi:[1,1,0]
	s_waitcnt vmcnt(1)
	v_cvt_f32_f16_e32 v28, v27
	v_fma_mix_f32 v15, v16, v19, v15 op_sel:[1,1,0] op_sel_hi:[1,1,0]
	s_nop 0
	v_pk_fma_f32 v[10:11], v[20:21], v[14:15], v[10:11] op_sel_hi:[1,0,1]
	s_waitcnt vmcnt(0)
	v_fma_mix_f32 v18, v29, v27, v15 op_sel_hi:[1,1,0]
	v_pk_fma_f32 v[10:11], v[22:23], v[26:27], v[10:11] op_sel_hi:[1,0,1]
	s_nop 0
	v_pk_fma_f32 v[10:11], v[24:25], v[28:29], v[10:11] op_sel_hi:[1,0,1]
	s_andn2_b64 exec, exec, s[2:3]
	s_cbranch_execnz .LBB103_24
; %bb.25:
	s_or_b64 exec, exec, s[2:3]
.LBB103_26:
	s_or_b64 exec, exec, s[6:7]
.LBB103_27:
	v_mov_b32_dpp v2, v10 row_shr:1 row_mask:0xf bank_mask:0xf
	v_mov_b32_dpp v3, v11 row_shr:1 row_mask:0xf bank_mask:0xf
	;; [unrolled: 1-line block ×3, first 2 shown]
	v_pk_add_f32 v[2:3], v[10:11], v[2:3]
	v_add_f32_e32 v1, v18, v1
	v_cmp_eq_u32_e32 vcc, 31, v0
	v_mov_b32_dpp v6, v2 row_shr:2 row_mask:0xf bank_mask:0xf
	v_mov_b32_dpp v7, v3 row_shr:2 row_mask:0xf bank_mask:0xf
	v_mov_b32_dpp v8, v1 row_shr:2 row_mask:0xf bank_mask:0xf
	v_pk_add_f32 v[2:3], v[2:3], v[6:7]
	v_add_f32_e32 v1, v1, v8
	s_nop 0
	v_mov_b32_dpp v6, v2 row_shr:4 row_mask:0xf bank_mask:0xe
	v_mov_b32_dpp v7, v3 row_shr:4 row_mask:0xf bank_mask:0xe
	v_mov_b32_dpp v8, v1 row_shr:4 row_mask:0xf bank_mask:0xe
	v_pk_add_f32 v[2:3], v[2:3], v[6:7]
	v_add_f32_e32 v1, v1, v8
	s_nop 0
	v_mov_b32_dpp v6, v2 row_shr:8 row_mask:0xf bank_mask:0xc
	v_mov_b32_dpp v7, v3 row_shr:8 row_mask:0xf bank_mask:0xc
	v_mov_b32_dpp v8, v1 row_shr:8 row_mask:0xf bank_mask:0xc
	v_pk_add_f32 v[2:3], v[2:3], v[6:7]
	v_add_f32_e32 v1, v1, v8
	s_nop 0
	v_mov_b32_dpp v6, v2 row_bcast:15 row_mask:0xa bank_mask:0xf
	v_mov_b32_dpp v7, v3 row_bcast:15 row_mask:0xa bank_mask:0xf
	;; [unrolled: 1-line block ×3, first 2 shown]
	s_and_b64 exec, exec, vcc
	s_cbranch_execz .LBB103_10
; %bb.28:
	s_load_dwordx2 s[0:1], s[0:1], 0x58
	v_add_f32_e32 v0, v1, v8
	v_cmp_eq_f32_e64 s[2:3], s16, 0
	v_pk_add_f32 v[6:7], v[2:3], v[6:7]
	s_and_b64 vcc, exec, s[2:3]
	v_mul_f32_e32 v2, s12, v0
	s_cbranch_vccz .LBB103_30
; %bb.29:
	s_waitcnt lgkmcnt(0)
	v_mad_u64_u32 v[8:9], s[2:3], v4, 12, s[0:1]
	v_mov_b32_e32 v0, v9
	v_mad_u64_u32 v[0:1], s[2:3], v5, 12, v[0:1]
	v_mov_b32_e32 v9, v0
	v_pk_mul_f32 v[0:1], s[12:13], v[6:7] op_sel_hi:[0,1]
	global_store_dwordx3 v[8:9], v[0:2], off
	s_cbranch_execnz .LBB103_10
	s_branch .LBB103_31
.LBB103_30:
.LBB103_31:
	s_waitcnt lgkmcnt(0)
	v_mad_u64_u32 v[12:13], s[0:1], v4, 12, s[0:1]
	v_mov_b32_e32 v0, v13
	v_mad_u64_u32 v[0:1], s[0:1], v5, 12, v[0:1]
	v_mov_b32_e32 v13, v0
	global_load_dwordx3 v[8:10], v[12:13], off
	v_pk_mul_f32 v[0:1], s[12:13], v[6:7] op_sel_hi:[0,1]
	s_waitcnt vmcnt(0)
	v_pk_fma_f32 v[0:1], s[16:17], v[8:9], v[0:1] op_sel_hi:[0,1,1]
	v_fmac_f32_e32 v2, s16, v10
	global_store_dwordx3 v[12:13], v[0:2], off
	s_endpgm
	.section	.rodata,"a",@progbits
	.p2align	6, 0x0
	.amdhsa_kernel _ZN9rocsparseL18bsrxmvn_3x3_kernelILj256ELj32EfllDF16_DF16_fEEvT3_20rocsparse_direction_NS_24const_host_device_scalarIT1_EES1_PKS1_PKT2_SA_S7_PKT4_PKT5_S5_PT6_21rocsparse_index_base_b
		.amdhsa_group_segment_fixed_size 0
		.amdhsa_private_segment_fixed_size 0
		.amdhsa_kernarg_size 104
		.amdhsa_user_sgpr_count 2
		.amdhsa_user_sgpr_dispatch_ptr 0
		.amdhsa_user_sgpr_queue_ptr 0
		.amdhsa_user_sgpr_kernarg_segment_ptr 1
		.amdhsa_user_sgpr_dispatch_id 0
		.amdhsa_user_sgpr_kernarg_preload_length 0
		.amdhsa_user_sgpr_kernarg_preload_offset 0
		.amdhsa_user_sgpr_private_segment_size 0
		.amdhsa_uses_dynamic_stack 0
		.amdhsa_enable_private_segment 0
		.amdhsa_system_sgpr_workgroup_id_x 1
		.amdhsa_system_sgpr_workgroup_id_y 0
		.amdhsa_system_sgpr_workgroup_id_z 0
		.amdhsa_system_sgpr_workgroup_info 0
		.amdhsa_system_vgpr_workitem_id 0
		.amdhsa_next_free_vgpr 33
		.amdhsa_next_free_sgpr 26
		.amdhsa_accum_offset 36
		.amdhsa_reserve_vcc 1
		.amdhsa_float_round_mode_32 0
		.amdhsa_float_round_mode_16_64 0
		.amdhsa_float_denorm_mode_32 3
		.amdhsa_float_denorm_mode_16_64 3
		.amdhsa_dx10_clamp 1
		.amdhsa_ieee_mode 1
		.amdhsa_fp16_overflow 0
		.amdhsa_tg_split 0
		.amdhsa_exception_fp_ieee_invalid_op 0
		.amdhsa_exception_fp_denorm_src 0
		.amdhsa_exception_fp_ieee_div_zero 0
		.amdhsa_exception_fp_ieee_overflow 0
		.amdhsa_exception_fp_ieee_underflow 0
		.amdhsa_exception_fp_ieee_inexact 0
		.amdhsa_exception_int_div_zero 0
	.end_amdhsa_kernel
	.section	.text._ZN9rocsparseL18bsrxmvn_3x3_kernelILj256ELj32EfllDF16_DF16_fEEvT3_20rocsparse_direction_NS_24const_host_device_scalarIT1_EES1_PKS1_PKT2_SA_S7_PKT4_PKT5_S5_PT6_21rocsparse_index_base_b,"axG",@progbits,_ZN9rocsparseL18bsrxmvn_3x3_kernelILj256ELj32EfllDF16_DF16_fEEvT3_20rocsparse_direction_NS_24const_host_device_scalarIT1_EES1_PKS1_PKT2_SA_S7_PKT4_PKT5_S5_PT6_21rocsparse_index_base_b,comdat
.Lfunc_end103:
	.size	_ZN9rocsparseL18bsrxmvn_3x3_kernelILj256ELj32EfllDF16_DF16_fEEvT3_20rocsparse_direction_NS_24const_host_device_scalarIT1_EES1_PKS1_PKT2_SA_S7_PKT4_PKT5_S5_PT6_21rocsparse_index_base_b, .Lfunc_end103-_ZN9rocsparseL18bsrxmvn_3x3_kernelILj256ELj32EfllDF16_DF16_fEEvT3_20rocsparse_direction_NS_24const_host_device_scalarIT1_EES1_PKS1_PKT2_SA_S7_PKT4_PKT5_S5_PT6_21rocsparse_index_base_b
                                        ; -- End function
	.section	.AMDGPU.csdata,"",@progbits
; Kernel info:
; codeLenInByte = 1452
; NumSgprs: 32
; NumVgprs: 33
; NumAgprs: 0
; TotalNumVgprs: 33
; ScratchSize: 0
; MemoryBound: 0
; FloatMode: 240
; IeeeMode: 1
; LDSByteSize: 0 bytes/workgroup (compile time only)
; SGPRBlocks: 3
; VGPRBlocks: 4
; NumSGPRsForWavesPerEU: 32
; NumVGPRsForWavesPerEU: 33
; AccumOffset: 36
; Occupancy: 8
; WaveLimiterHint : 1
; COMPUTE_PGM_RSRC2:SCRATCH_EN: 0
; COMPUTE_PGM_RSRC2:USER_SGPR: 2
; COMPUTE_PGM_RSRC2:TRAP_HANDLER: 0
; COMPUTE_PGM_RSRC2:TGID_X_EN: 1
; COMPUTE_PGM_RSRC2:TGID_Y_EN: 0
; COMPUTE_PGM_RSRC2:TGID_Z_EN: 0
; COMPUTE_PGM_RSRC2:TIDIG_COMP_CNT: 0
; COMPUTE_PGM_RSRC3_GFX90A:ACCUM_OFFSET: 8
; COMPUTE_PGM_RSRC3_GFX90A:TG_SPLIT: 0
	.section	.text._ZN9rocsparseL18bsrxmvn_3x3_kernelILj256ELj64EfllDF16_DF16_fEEvT3_20rocsparse_direction_NS_24const_host_device_scalarIT1_EES1_PKS1_PKT2_SA_S7_PKT4_PKT5_S5_PT6_21rocsparse_index_base_b,"axG",@progbits,_ZN9rocsparseL18bsrxmvn_3x3_kernelILj256ELj64EfllDF16_DF16_fEEvT3_20rocsparse_direction_NS_24const_host_device_scalarIT1_EES1_PKS1_PKT2_SA_S7_PKT4_PKT5_S5_PT6_21rocsparse_index_base_b,comdat
	.globl	_ZN9rocsparseL18bsrxmvn_3x3_kernelILj256ELj64EfllDF16_DF16_fEEvT3_20rocsparse_direction_NS_24const_host_device_scalarIT1_EES1_PKS1_PKT2_SA_S7_PKT4_PKT5_S5_PT6_21rocsparse_index_base_b ; -- Begin function _ZN9rocsparseL18bsrxmvn_3x3_kernelILj256ELj64EfllDF16_DF16_fEEvT3_20rocsparse_direction_NS_24const_host_device_scalarIT1_EES1_PKS1_PKT2_SA_S7_PKT4_PKT5_S5_PT6_21rocsparse_index_base_b
	.p2align	8
	.type	_ZN9rocsparseL18bsrxmvn_3x3_kernelILj256ELj64EfllDF16_DF16_fEEvT3_20rocsparse_direction_NS_24const_host_device_scalarIT1_EES1_PKS1_PKT2_SA_S7_PKT4_PKT5_S5_PT6_21rocsparse_index_base_b,@function
_ZN9rocsparseL18bsrxmvn_3x3_kernelILj256ELj64EfllDF16_DF16_fEEvT3_20rocsparse_direction_NS_24const_host_device_scalarIT1_EES1_PKS1_PKT2_SA_S7_PKT4_PKT5_S5_PT6_21rocsparse_index_base_b: ; @_ZN9rocsparseL18bsrxmvn_3x3_kernelILj256ELj64EfllDF16_DF16_fEEvT3_20rocsparse_direction_NS_24const_host_device_scalarIT1_EES1_PKS1_PKT2_SA_S7_PKT4_PKT5_S5_PT6_21rocsparse_index_base_b
; %bb.0:
	s_load_dwordx2 s[18:19], s[0:1], 0x60
	s_load_dwordx4 s[12:15], s[0:1], 0x10
	s_load_dwordx2 s[16:17], s[0:1], 0x50
	s_waitcnt lgkmcnt(0)
	s_bitcmp1_b32 s19, 0
	s_cselect_b64 s[6:7], -1, 0
	s_xor_b64 s[4:5], s[6:7], -1
	s_and_b64 vcc, exec, s[6:7]
	s_cbranch_vccnz .LBB104_2
; %bb.1:
	s_load_dword s12, s[12:13], 0x0
.LBB104_2:
	s_andn2_b64 vcc, exec, s[4:5]
	s_cbranch_vccnz .LBB104_4
; %bb.3:
	s_load_dword s16, s[16:17], 0x0
.LBB104_4:
	s_waitcnt lgkmcnt(0)
	v_cmp_neq_f32_e64 s[4:5], s12, 0
	v_cmp_neq_f32_e64 s[6:7], s16, 1.0
	s_or_b64 s[4:5], s[4:5], s[6:7]
	s_andn2_b64 vcc, exec, s[4:5]
	s_cbranch_vccnz .LBB104_10
; %bb.5:
	s_load_dwordx2 s[4:5], s[0:1], 0x20
	v_lshrrev_b32_e32 v1, 6, v0
	v_lshl_or_b32 v2, s2, 2, v1
	v_mov_b32_e32 v3, 0
	s_mov_b64 s[2:3], 0
	s_waitcnt lgkmcnt(0)
	s_cmp_lg_u64 s[4:5], 0
	s_cbranch_scc0 .LBB104_11
; %bb.6:
	v_cmp_gt_i64_e32 vcc, s[14:15], v[2:3]
                                        ; implicit-def: $vgpr4_vgpr5
	s_and_saveexec_b64 s[6:7], vcc
	s_xor_b64 s[6:7], exec, s[6:7]
                                        ; implicit-def: $sgpr14_sgpr15
	s_cbranch_execz .LBB104_8
; %bb.7:
	v_lshl_add_u64 v[4:5], v[2:3], 3, s[4:5]
	global_load_dwordx2 v[4:5], v[4:5], off
	s_mov_b64 s[2:3], exec
	s_mov_b32 s15, 0
	s_waitcnt vmcnt(0)
	v_subrev_co_u32_e32 v4, vcc, s18, v4
	s_nop 1
	v_subbrev_co_u32_e32 v5, vcc, 0, v5, vcc
.LBB104_8:
	s_or_b64 exec, exec, s[6:7]
.LBB104_9:
	s_and_saveexec_b64 s[4:5], s[2:3]
	s_cbranch_execnz .LBB104_15
.LBB104_10:
	s_endpgm
.LBB104_11:
                                        ; implicit-def: $vgpr4_vgpr5
                                        ; implicit-def: $sgpr14_sgpr15
	s_cbranch_execz .LBB104_9
; %bb.12:
	s_load_dwordx2 s[4:5], s[0:1], 0x0
                                        ; implicit-def: $vgpr4_vgpr5
	s_waitcnt lgkmcnt(0)
	v_cmp_gt_i64_e32 vcc, s[4:5], v[2:3]
	s_and_saveexec_b64 s[4:5], vcc
                                        ; implicit-def: $sgpr14_sgpr15
; %bb.13:
	s_mov_b32 s15, 0
	s_or_b64 s[2:3], s[2:3], exec
	v_mov_b64_e32 v[4:5], v[2:3]
; %bb.14:
	s_or_b64 exec, exec, s[4:5]
	s_and_saveexec_b64 s[4:5], s[2:3]
	s_cbranch_execz .LBB104_10
.LBB104_15:
	s_load_dwordx8 s[4:11], s[0:1], 0x28
	v_lshlrev_b64 v[2:3], 3, v[4:5]
	v_mov_b32_e32 v10, s15
	v_and_b32_e32 v0, 63, v0
	v_mov_b32_e32 v1, 0
	s_waitcnt lgkmcnt(0)
	v_lshl_add_u64 v[6:7], s[4:5], 0, v[2:3]
	s_cmp_eq_u64 s[6:7], 0
	global_load_dwordx2 v[8:9], v[6:7], off
	v_lshl_add_u64 v[2:3], s[6:7], 0, v[2:3]
	v_lshl_add_u64 v[6:7], v[6:7], 0, 8
	s_cselect_b64 vcc, -1, 0
	v_cndmask_b32_e32 v3, v3, v7, vcc
	v_cndmask_b32_e32 v2, v2, v6, vcc
	global_load_dwordx2 v[6:7], v[2:3], off
	s_load_dword s2, s[0:1], 0x8
	s_load_dwordx2 s[4:5], s[0:1], 0x48
	s_waitcnt lgkmcnt(0)
	s_cmp_eq_u32 s2, 1
	s_waitcnt vmcnt(1)
	v_subrev_co_u32_e32 v2, vcc, s18, v8
	s_nop 1
	v_subb_co_u32_e32 v3, vcc, v9, v10, vcc
	v_lshl_add_u64 v[2:3], v[2:3], 0, v[0:1]
	v_mad_u64_u32 v[8:9], s[2:3], v2, 18, s[10:11]
	s_waitcnt vmcnt(0)
	v_subrev_co_u32_e32 v6, vcc, s18, v6
	s_nop 1
	v_subb_co_u32_e32 v7, vcc, v7, v10, vcc
	v_mov_b32_e32 v10, v9
	v_mad_u64_u32 v[10:11], s[2:3], v3, 18, v[10:11]
	v_mov_b32_e32 v9, v10
	v_cmp_lt_i64_e64 s[2:3], v[2:3], v[6:7]
	s_cbranch_scc1 .LBB104_21
; %bb.16:
	v_mov_b32_e32 v10, v1
	v_mov_b32_e32 v18, v1
	s_and_saveexec_b64 s[6:7], s[2:3]
	s_cbranch_execz .LBB104_20
; %bb.17:
	v_mov_b32_e32 v18, 0
	v_lshl_add_u64 v[12:13], v[2:3], 3, s[8:9]
	s_mov_b64 s[10:11], 0
	v_mov_b32_e32 v1, s15
	s_mov_b64 s[20:21], 0x480
	s_mov_b64 s[22:23], 0x200
	v_mov_b64_e32 v[14:15], v[8:9]
	v_mov_b64_e32 v[16:17], v[2:3]
	v_mov_b32_e32 v10, 0
	v_mov_b32_e32 v11, v18
.LBB104_18:                             ; =>This Inner Loop Header: Depth=1
	global_load_dwordx2 v[24:25], v[12:13], off
	global_load_dwordx4 v[20:23], v[14:15], off
	v_lshl_add_u64 v[16:17], v[16:17], 0, 64
	v_lshl_add_u64 v[12:13], v[12:13], 0, s[22:23]
	s_waitcnt vmcnt(1)
	v_subrev_co_u32_e32 v19, vcc, s18, v24
	s_nop 1
	v_subb_co_u32_e32 v27, vcc, v25, v1, vcc
	v_mad_u64_u32 v[24:25], s[24:25], v19, 6, s[4:5]
	v_mov_b32_e32 v26, v25
	v_mad_u64_u32 v[26:27], s[24:25], v27, 6, v[26:27]
	v_mov_b32_e32 v25, v26
	global_load_dword v19, v[24:25], off
	global_load_ushort v31, v[24:25], off offset:4
	global_load_ushort v32, v[14:15], off offset:16
	s_waitcnt vmcnt(3)
	v_cvt_f32_f16_sdwa v24, v20 dst_sel:DWORD dst_unused:UNUSED_PAD src0_sel:WORD_1
	v_cvt_f32_f16_sdwa v27, v21 dst_sel:DWORD dst_unused:UNUSED_PAD src0_sel:WORD_1
	v_cvt_f32_f16_e32 v26, v20
	v_cvt_f32_f16_e32 v25, v22
	v_cvt_f32_f16_sdwa v29, v22 dst_sel:DWORD dst_unused:UNUSED_PAD src0_sel:WORD_1
	v_cvt_f32_f16_e32 v28, v21
	v_cmp_ge_i64_e32 vcc, v[16:17], v[6:7]
	v_lshl_add_u64 v[14:15], v[14:15], 0, s[20:21]
	s_or_b64 s[10:11], vcc, s[10:11]
	s_waitcnt vmcnt(2)
	v_cvt_f32_f16_e32 v20, v19
	v_cvt_f32_f16_sdwa v22, v19 dst_sel:DWORD dst_unused:UNUSED_PAD src0_sel:WORD_1
	s_waitcnt vmcnt(1)
	v_cvt_f32_f16_e32 v30, v31
	v_fma_mix_f32 v18, v23, v19, v18 op_sel_hi:[1,1,0]
	v_pk_fma_f32 v[10:11], v[26:27], v[20:21], v[10:11] op_sel_hi:[1,0,1]
	v_fma_mix_f32 v18, v23, v19, v18 op_sel:[1,1,0] op_sel_hi:[1,1,0]
	v_pk_fma_f32 v[10:11], v[24:25], v[22:23], v[10:11] op_sel_hi:[1,0,1]
	s_waitcnt vmcnt(0)
	v_fma_mix_f32 v18, v32, v31, v18 op_sel_hi:[1,1,0]
	v_pk_fma_f32 v[10:11], v[28:29], v[30:31], v[10:11] op_sel_hi:[1,0,1]
	s_andn2_b64 exec, exec, s[10:11]
	s_cbranch_execnz .LBB104_18
; %bb.19:
	s_or_b64 exec, exec, s[10:11]
	v_mov_b32_e32 v1, v11
.LBB104_20:
	s_or_b64 exec, exec, s[6:7]
	v_mov_b32_e32 v11, v1
	s_cbranch_execz .LBB104_22
	s_branch .LBB104_27
.LBB104_21:
                                        ; implicit-def: $vgpr11
                                        ; implicit-def: $vgpr18
.LBB104_22:
	v_mov_b32_e32 v11, 0
	v_mov_b32_e32 v10, v11
	;; [unrolled: 1-line block ×3, first 2 shown]
	s_and_saveexec_b64 s[6:7], s[2:3]
	s_cbranch_execz .LBB104_26
; %bb.23:
	v_mov_b32_e32 v18, 0
	v_lshl_add_u64 v[12:13], v[2:3], 3, s[8:9]
	s_mov_b64 s[2:3], 0
	v_mov_b32_e32 v1, s15
	s_mov_b64 s[8:9], 0x480
	s_mov_b64 s[10:11], 0x200
	v_mov_b32_e32 v10, 0
	v_mov_b32_e32 v11, v18
.LBB104_24:                             ; =>This Inner Loop Header: Depth=1
	global_load_dwordx2 v[20:21], v[12:13], off
	global_load_dwordx4 v[14:17], v[8:9], off
	v_lshl_add_u64 v[2:3], v[2:3], 0, 64
	v_lshl_add_u64 v[12:13], v[12:13], 0, s[10:11]
	s_waitcnt vmcnt(1)
	v_subrev_co_u32_e32 v19, vcc, s18, v20
	s_nop 1
	v_subb_co_u32_e32 v23, vcc, v21, v1, vcc
	v_mad_u64_u32 v[20:21], s[14:15], v19, 6, s[4:5]
	v_mov_b32_e32 v22, v21
	v_mad_u64_u32 v[22:23], s[14:15], v23, 6, v[22:23]
	v_mov_b32_e32 v21, v22
	global_load_dword v19, v[20:21], off
	global_load_ushort v27, v[20:21], off offset:4
	global_load_ushort v29, v[8:9], off offset:16
	s_waitcnt vmcnt(3)
	v_cvt_f32_f16_sdwa v21, v14 dst_sel:DWORD dst_unused:UNUSED_PAD src0_sel:WORD_1
	v_cvt_f32_f16_e32 v20, v14
	v_cvt_f32_f16_sdwa v22, v15 dst_sel:DWORD dst_unused:UNUSED_PAD src0_sel:WORD_1
	v_cvt_f32_f16_e32 v23, v16
	;; [unrolled: 2-line block ×3, first 2 shown]
	v_cmp_ge_i64_e32 vcc, v[2:3], v[6:7]
	v_lshl_add_u64 v[8:9], v[8:9], 0, s[8:9]
	s_or_b64 s[2:3], vcc, s[2:3]
	s_waitcnt vmcnt(2)
	v_cvt_f32_f16_e32 v14, v19
	v_cvt_f32_f16_sdwa v26, v19 dst_sel:DWORD dst_unused:UNUSED_PAD src0_sel:WORD_1
	v_fma_mix_f32 v15, v15, v19, v18 op_sel_hi:[1,1,0]
	s_waitcnt vmcnt(1)
	v_cvt_f32_f16_e32 v28, v27
	v_fma_mix_f32 v15, v16, v19, v15 op_sel:[1,1,0] op_sel_hi:[1,1,0]
	s_nop 0
	v_pk_fma_f32 v[10:11], v[20:21], v[14:15], v[10:11] op_sel_hi:[1,0,1]
	s_waitcnt vmcnt(0)
	v_fma_mix_f32 v18, v29, v27, v15 op_sel_hi:[1,1,0]
	v_pk_fma_f32 v[10:11], v[22:23], v[26:27], v[10:11] op_sel_hi:[1,0,1]
	s_nop 0
	v_pk_fma_f32 v[10:11], v[24:25], v[28:29], v[10:11] op_sel_hi:[1,0,1]
	s_andn2_b64 exec, exec, s[2:3]
	s_cbranch_execnz .LBB104_24
; %bb.25:
	s_or_b64 exec, exec, s[2:3]
.LBB104_26:
	s_or_b64 exec, exec, s[6:7]
.LBB104_27:
	v_mov_b32_dpp v2, v10 row_shr:1 row_mask:0xf bank_mask:0xf
	v_mov_b32_dpp v3, v11 row_shr:1 row_mask:0xf bank_mask:0xf
	;; [unrolled: 1-line block ×3, first 2 shown]
	v_pk_add_f32 v[2:3], v[10:11], v[2:3]
	v_add_f32_e32 v1, v18, v1
	v_cmp_eq_u32_e32 vcc, 63, v0
	v_mov_b32_dpp v6, v2 row_shr:2 row_mask:0xf bank_mask:0xf
	v_mov_b32_dpp v7, v3 row_shr:2 row_mask:0xf bank_mask:0xf
	v_mov_b32_dpp v8, v1 row_shr:2 row_mask:0xf bank_mask:0xf
	v_pk_add_f32 v[2:3], v[2:3], v[6:7]
	v_add_f32_e32 v1, v1, v8
	s_nop 0
	v_mov_b32_dpp v6, v2 row_shr:4 row_mask:0xf bank_mask:0xe
	v_mov_b32_dpp v7, v3 row_shr:4 row_mask:0xf bank_mask:0xe
	v_mov_b32_dpp v8, v1 row_shr:4 row_mask:0xf bank_mask:0xe
	v_pk_add_f32 v[2:3], v[2:3], v[6:7]
	v_add_f32_e32 v1, v1, v8
	s_nop 0
	v_mov_b32_dpp v6, v2 row_shr:8 row_mask:0xf bank_mask:0xc
	v_mov_b32_dpp v7, v3 row_shr:8 row_mask:0xf bank_mask:0xc
	v_mov_b32_dpp v8, v1 row_shr:8 row_mask:0xf bank_mask:0xc
	v_pk_add_f32 v[2:3], v[2:3], v[6:7]
	v_add_f32_e32 v1, v1, v8
	s_nop 0
	v_mov_b32_dpp v6, v2 row_bcast:15 row_mask:0xa bank_mask:0xf
	v_mov_b32_dpp v7, v3 row_bcast:15 row_mask:0xa bank_mask:0xf
	;; [unrolled: 1-line block ×3, first 2 shown]
	v_pk_add_f32 v[2:3], v[2:3], v[6:7]
	v_add_f32_e32 v1, v1, v8
	s_nop 0
	v_mov_b32_dpp v6, v2 row_bcast:31 row_mask:0xc bank_mask:0xf
	v_mov_b32_dpp v7, v3 row_bcast:31 row_mask:0xc bank_mask:0xf
	;; [unrolled: 1-line block ×3, first 2 shown]
	s_and_b64 exec, exec, vcc
	s_cbranch_execz .LBB104_10
; %bb.28:
	s_load_dwordx2 s[0:1], s[0:1], 0x58
	v_add_f32_e32 v0, v1, v8
	v_cmp_eq_f32_e64 s[2:3], s16, 0
	v_pk_add_f32 v[6:7], v[2:3], v[6:7]
	s_and_b64 vcc, exec, s[2:3]
	v_mul_f32_e32 v2, s12, v0
	s_cbranch_vccz .LBB104_30
; %bb.29:
	s_waitcnt lgkmcnt(0)
	v_mad_u64_u32 v[8:9], s[2:3], v4, 12, s[0:1]
	v_mov_b32_e32 v0, v9
	v_mad_u64_u32 v[0:1], s[2:3], v5, 12, v[0:1]
	v_mov_b32_e32 v9, v0
	v_pk_mul_f32 v[0:1], s[12:13], v[6:7] op_sel_hi:[0,1]
	global_store_dwordx3 v[8:9], v[0:2], off
	s_cbranch_execnz .LBB104_10
	s_branch .LBB104_31
.LBB104_30:
.LBB104_31:
	s_waitcnt lgkmcnt(0)
	v_mad_u64_u32 v[12:13], s[0:1], v4, 12, s[0:1]
	v_mov_b32_e32 v0, v13
	v_mad_u64_u32 v[0:1], s[0:1], v5, 12, v[0:1]
	v_mov_b32_e32 v13, v0
	global_load_dwordx3 v[8:10], v[12:13], off
	v_pk_mul_f32 v[0:1], s[12:13], v[6:7] op_sel_hi:[0,1]
	s_waitcnt vmcnt(0)
	v_pk_fma_f32 v[0:1], s[16:17], v[8:9], v[0:1] op_sel_hi:[0,1,1]
	v_fmac_f32_e32 v2, s16, v10
	global_store_dwordx3 v[12:13], v[0:2], off
	s_endpgm
	.section	.rodata,"a",@progbits
	.p2align	6, 0x0
	.amdhsa_kernel _ZN9rocsparseL18bsrxmvn_3x3_kernelILj256ELj64EfllDF16_DF16_fEEvT3_20rocsparse_direction_NS_24const_host_device_scalarIT1_EES1_PKS1_PKT2_SA_S7_PKT4_PKT5_S5_PT6_21rocsparse_index_base_b
		.amdhsa_group_segment_fixed_size 0
		.amdhsa_private_segment_fixed_size 0
		.amdhsa_kernarg_size 104
		.amdhsa_user_sgpr_count 2
		.amdhsa_user_sgpr_dispatch_ptr 0
		.amdhsa_user_sgpr_queue_ptr 0
		.amdhsa_user_sgpr_kernarg_segment_ptr 1
		.amdhsa_user_sgpr_dispatch_id 0
		.amdhsa_user_sgpr_kernarg_preload_length 0
		.amdhsa_user_sgpr_kernarg_preload_offset 0
		.amdhsa_user_sgpr_private_segment_size 0
		.amdhsa_uses_dynamic_stack 0
		.amdhsa_enable_private_segment 0
		.amdhsa_system_sgpr_workgroup_id_x 1
		.amdhsa_system_sgpr_workgroup_id_y 0
		.amdhsa_system_sgpr_workgroup_id_z 0
		.amdhsa_system_sgpr_workgroup_info 0
		.amdhsa_system_vgpr_workitem_id 0
		.amdhsa_next_free_vgpr 33
		.amdhsa_next_free_sgpr 26
		.amdhsa_accum_offset 36
		.amdhsa_reserve_vcc 1
		.amdhsa_float_round_mode_32 0
		.amdhsa_float_round_mode_16_64 0
		.amdhsa_float_denorm_mode_32 3
		.amdhsa_float_denorm_mode_16_64 3
		.amdhsa_dx10_clamp 1
		.amdhsa_ieee_mode 1
		.amdhsa_fp16_overflow 0
		.amdhsa_tg_split 0
		.amdhsa_exception_fp_ieee_invalid_op 0
		.amdhsa_exception_fp_denorm_src 0
		.amdhsa_exception_fp_ieee_div_zero 0
		.amdhsa_exception_fp_ieee_overflow 0
		.amdhsa_exception_fp_ieee_underflow 0
		.amdhsa_exception_fp_ieee_inexact 0
		.amdhsa_exception_int_div_zero 0
	.end_amdhsa_kernel
	.section	.text._ZN9rocsparseL18bsrxmvn_3x3_kernelILj256ELj64EfllDF16_DF16_fEEvT3_20rocsparse_direction_NS_24const_host_device_scalarIT1_EES1_PKS1_PKT2_SA_S7_PKT4_PKT5_S5_PT6_21rocsparse_index_base_b,"axG",@progbits,_ZN9rocsparseL18bsrxmvn_3x3_kernelILj256ELj64EfllDF16_DF16_fEEvT3_20rocsparse_direction_NS_24const_host_device_scalarIT1_EES1_PKS1_PKT2_SA_S7_PKT4_PKT5_S5_PT6_21rocsparse_index_base_b,comdat
.Lfunc_end104:
	.size	_ZN9rocsparseL18bsrxmvn_3x3_kernelILj256ELj64EfllDF16_DF16_fEEvT3_20rocsparse_direction_NS_24const_host_device_scalarIT1_EES1_PKS1_PKT2_SA_S7_PKT4_PKT5_S5_PT6_21rocsparse_index_base_b, .Lfunc_end104-_ZN9rocsparseL18bsrxmvn_3x3_kernelILj256ELj64EfllDF16_DF16_fEEvT3_20rocsparse_direction_NS_24const_host_device_scalarIT1_EES1_PKS1_PKT2_SA_S7_PKT4_PKT5_S5_PT6_21rocsparse_index_base_b
                                        ; -- End function
	.section	.AMDGPU.csdata,"",@progbits
; Kernel info:
; codeLenInByte = 1492
; NumSgprs: 32
; NumVgprs: 33
; NumAgprs: 0
; TotalNumVgprs: 33
; ScratchSize: 0
; MemoryBound: 0
; FloatMode: 240
; IeeeMode: 1
; LDSByteSize: 0 bytes/workgroup (compile time only)
; SGPRBlocks: 3
; VGPRBlocks: 4
; NumSGPRsForWavesPerEU: 32
; NumVGPRsForWavesPerEU: 33
; AccumOffset: 36
; Occupancy: 8
; WaveLimiterHint : 1
; COMPUTE_PGM_RSRC2:SCRATCH_EN: 0
; COMPUTE_PGM_RSRC2:USER_SGPR: 2
; COMPUTE_PGM_RSRC2:TRAP_HANDLER: 0
; COMPUTE_PGM_RSRC2:TGID_X_EN: 1
; COMPUTE_PGM_RSRC2:TGID_Y_EN: 0
; COMPUTE_PGM_RSRC2:TGID_Z_EN: 0
; COMPUTE_PGM_RSRC2:TIDIG_COMP_CNT: 0
; COMPUTE_PGM_RSRC3_GFX90A:ACCUM_OFFSET: 8
; COMPUTE_PGM_RSRC3_GFX90A:TG_SPLIT: 0
	.section	.text._ZN9rocsparseL18bsrxmvn_3x3_kernelILj256ELj4Efii18rocsparse_bfloat16S1_fEEvT3_20rocsparse_direction_NS_24const_host_device_scalarIT1_EES2_PKS2_PKT2_SB_S8_PKT4_PKT5_S6_PT6_21rocsparse_index_base_b,"axG",@progbits,_ZN9rocsparseL18bsrxmvn_3x3_kernelILj256ELj4Efii18rocsparse_bfloat16S1_fEEvT3_20rocsparse_direction_NS_24const_host_device_scalarIT1_EES2_PKS2_PKT2_SB_S8_PKT4_PKT5_S6_PT6_21rocsparse_index_base_b,comdat
	.globl	_ZN9rocsparseL18bsrxmvn_3x3_kernelILj256ELj4Efii18rocsparse_bfloat16S1_fEEvT3_20rocsparse_direction_NS_24const_host_device_scalarIT1_EES2_PKS2_PKT2_SB_S8_PKT4_PKT5_S6_PT6_21rocsparse_index_base_b ; -- Begin function _ZN9rocsparseL18bsrxmvn_3x3_kernelILj256ELj4Efii18rocsparse_bfloat16S1_fEEvT3_20rocsparse_direction_NS_24const_host_device_scalarIT1_EES2_PKS2_PKT2_SB_S8_PKT4_PKT5_S6_PT6_21rocsparse_index_base_b
	.p2align	8
	.type	_ZN9rocsparseL18bsrxmvn_3x3_kernelILj256ELj4Efii18rocsparse_bfloat16S1_fEEvT3_20rocsparse_direction_NS_24const_host_device_scalarIT1_EES2_PKS2_PKT2_SB_S8_PKT4_PKT5_S6_PT6_21rocsparse_index_base_b,@function
_ZN9rocsparseL18bsrxmvn_3x3_kernelILj256ELj4Efii18rocsparse_bfloat16S1_fEEvT3_20rocsparse_direction_NS_24const_host_device_scalarIT1_EES2_PKS2_PKT2_SB_S8_PKT4_PKT5_S6_PT6_21rocsparse_index_base_b: ; @_ZN9rocsparseL18bsrxmvn_3x3_kernelILj256ELj4Efii18rocsparse_bfloat16S1_fEEvT3_20rocsparse_direction_NS_24const_host_device_scalarIT1_EES2_PKS2_PKT2_SB_S8_PKT4_PKT5_S6_PT6_21rocsparse_index_base_b
; %bb.0:
	s_load_dwordx2 s[16:17], s[0:1], 0x58
	s_load_dwordx2 s[12:13], s[0:1], 0x8
	;; [unrolled: 1-line block ×3, first 2 shown]
	s_waitcnt lgkmcnt(0)
	s_bitcmp1_b32 s17, 0
	s_cselect_b64 s[6:7], -1, 0
	s_xor_b64 s[4:5], s[6:7], -1
	s_and_b64 vcc, exec, s[6:7]
	s_cbranch_vccnz .LBB105_2
; %bb.1:
	s_load_dword s12, s[12:13], 0x0
.LBB105_2:
	s_andn2_b64 vcc, exec, s[4:5]
	s_cbranch_vccnz .LBB105_4
; %bb.3:
	s_load_dword s14, s[14:15], 0x0
.LBB105_4:
	s_waitcnt lgkmcnt(0)
	v_cmp_neq_f32_e64 s[4:5], s12, 0
	v_cmp_neq_f32_e64 s[6:7], s14, 1.0
	s_or_b64 s[4:5], s[4:5], s[6:7]
	s_andn2_b64 vcc, exec, s[4:5]
	s_cbranch_vccnz .LBB105_10
; %bb.5:
	s_load_dwordx2 s[4:5], s[0:1], 0x18
	s_load_dwordx2 s[18:19], s[0:1], 0x0
	v_lshrrev_b32_e32 v1, 2, v0
	v_lshl_or_b32 v2, s2, 6, v1
	s_mov_b64 s[2:3], 0
	s_waitcnt lgkmcnt(0)
	s_cmp_lg_u64 s[4:5], 0
	s_cbranch_scc0 .LBB105_11
; %bb.6:
	s_load_dword s6, s[0:1], 0x10
                                        ; implicit-def: $vgpr1
	s_waitcnt lgkmcnt(0)
	v_cmp_gt_i32_e32 vcc, s6, v2
	s_and_saveexec_b64 s[6:7], vcc
	s_xor_b64 s[6:7], exec, s[6:7]
	s_cbranch_execz .LBB105_8
; %bb.7:
	v_ashrrev_i32_e32 v3, 31, v2
	v_lshl_add_u64 v[4:5], v[2:3], 2, s[4:5]
	global_load_dword v1, v[4:5], off
	s_mov_b64 s[2:3], exec
	s_waitcnt vmcnt(0)
	v_subrev_u32_e32 v1, s16, v1
.LBB105_8:
	s_or_b64 exec, exec, s[6:7]
	s_branch .LBB105_12
.LBB105_9:
	v_cmp_gt_i32_e32 vcc, s18, v2
	s_andn2_b64 s[2:3], s[2:3], exec
	s_and_b64 s[4:5], vcc, exec
	s_or_b64 s[2:3], s[2:3], s[4:5]
	s_and_saveexec_b64 s[4:5], s[2:3]
	s_cbranch_execnz .LBB105_13
.LBB105_10:
	s_endpgm
.LBB105_11:
                                        ; implicit-def: $vgpr1
	s_cbranch_execnz .LBB105_9
.LBB105_12:
	v_mov_b32_e32 v2, v1
	s_and_saveexec_b64 s[4:5], s[2:3]
	s_cbranch_execz .LBB105_10
.LBB105_13:
	s_load_dwordx8 s[4:11], s[0:1], 0x20
	v_ashrrev_i32_e32 v3, 31, v2
	v_lshlrev_b64 v[4:5], 2, v[2:3]
	v_and_b32_e32 v3, 3, v0
	s_waitcnt lgkmcnt(0)
	v_lshl_add_u64 v[6:7], s[4:5], 0, v[4:5]
	s_cmp_eq_u64 s[6:7], 0
	global_load_dword v1, v[6:7], off
	v_lshl_add_u64 v[6:7], v[6:7], 0, 4
	v_lshl_add_u64 v[4:5], s[6:7], 0, v[4:5]
	s_cselect_b64 vcc, -1, 0
	v_cndmask_b32_e32 v5, v5, v7, vcc
	v_cndmask_b32_e32 v4, v4, v6, vcc
	global_load_dword v4, v[4:5], off
	s_load_dwordx2 s[4:5], s[0:1], 0x40
	s_cmp_eq_u32 s19, 1
	s_waitcnt vmcnt(1)
	v_subrev_u32_e32 v0, s16, v1
	v_add_u32_e32 v0, v0, v3
	s_waitcnt vmcnt(0)
	v_subrev_u32_e32 v13, s16, v4
	v_mad_i64_i32 v[4:5], s[2:3], v0, 18, s[10:11]
	v_cmp_lt_i32_e64 s[2:3], v0, v13
	s_cbranch_scc1 .LBB105_19
; %bb.14:
	v_mov_b32_e32 v7, 0
	v_mov_b32_e32 v6, v7
	;; [unrolled: 1-line block ×3, first 2 shown]
	s_and_saveexec_b64 s[6:7], s[2:3]
	s_cbranch_execz .LBB105_18
; %bb.15:
	v_mov_b32_e32 v12, 0
	s_mov_b64 s[10:11], 0
	s_mov_b64 s[18:19], 0x48
	v_mov_b64_e32 v[8:9], v[4:5]
	v_mov_b32_e32 v10, v0
	v_mov_b32_e32 v6, 0
	;; [unrolled: 1-line block ×3, first 2 shown]
.LBB105_16:                             ; =>This Inner Loop Header: Depth=1
	v_ashrrev_i32_e32 v11, 31, v10
	v_lshl_add_u64 v[18:19], v[10:11], 2, s[8:9]
	global_load_dword v1, v[18:19], off
	global_load_dwordx4 v[14:17], v[8:9], off
	global_load_ushort v11, v[8:9], off offset:16
	v_add_u32_e32 v10, 4, v10
	v_cmp_ge_i32_e32 vcc, v10, v13
	v_lshl_add_u64 v[8:9], v[8:9], 0, s[18:19]
	s_or_b64 s[10:11], vcc, s[10:11]
	s_waitcnt vmcnt(2)
	v_subrev_u32_e32 v1, s16, v1
	v_lshl_add_u32 v18, v1, 1, v1
	v_ashrrev_i32_e32 v19, 31, v18
	s_waitcnt lgkmcnt(0)
	v_lshl_add_u64 v[18:19], v[18:19], 1, s[4:5]
	global_load_dword v1, v[18:19], off
	global_load_ushort v24, v[18:19], off offset:4
	s_waitcnt vmcnt(3)
	v_and_b32_e32 v19, 0xffff0000, v15
	v_lshlrev_b32_e32 v18, 16, v14
	v_and_b32_e32 v20, 0xffff0000, v14
	v_lshlrev_b32_e32 v22, 16, v15
	v_lshlrev_b32_e32 v15, 16, v17
	;; [unrolled: 1-line block ×3, first 2 shown]
	v_and_b32_e32 v23, 0xffff0000, v16
	v_and_b32_e32 v17, 0xffff0000, v17
	s_waitcnt vmcnt(2)
	v_lshlrev_b32_e32 v11, 16, v11
	s_waitcnt vmcnt(1)
	v_lshlrev_b32_e32 v14, 16, v1
	v_and_b32_e32 v16, 0xffff0000, v1
	v_pk_fma_f32 v[6:7], v[18:19], v[14:15], v[6:7] op_sel_hi:[1,0,1]
	v_fmac_f32_e32 v12, v15, v14
	s_waitcnt vmcnt(0)
	v_lshlrev_b32_e32 v24, 16, v24
	v_pk_fma_f32 v[6:7], v[20:21], v[16:17], v[6:7] op_sel_hi:[1,0,1]
	v_fmac_f32_e32 v12, v17, v16
	v_pk_fma_f32 v[6:7], v[22:23], v[24:25], v[6:7] op_sel_hi:[1,0,1]
	v_fmac_f32_e32 v12, v11, v24
	s_andn2_b64 exec, exec, s[10:11]
	s_cbranch_execnz .LBB105_16
; %bb.17:
	s_or_b64 exec, exec, s[10:11]
.LBB105_18:
	s_or_b64 exec, exec, s[6:7]
	s_cbranch_execz .LBB105_20
	s_branch .LBB105_25
.LBB105_19:
                                        ; implicit-def: $vgpr7
                                        ; implicit-def: $vgpr12
.LBB105_20:
	v_mov_b32_e32 v7, 0
	v_mov_b32_e32 v6, v7
	;; [unrolled: 1-line block ×3, first 2 shown]
	s_and_saveexec_b64 s[6:7], s[2:3]
	s_cbranch_execz .LBB105_24
; %bb.21:
	v_mov_b32_e32 v12, 0
	s_mov_b64 s[2:3], 0
	s_mov_b64 s[10:11], 0x48
	v_mov_b32_e32 v6, 0
	v_mov_b32_e32 v7, v12
.LBB105_22:                             ; =>This Inner Loop Header: Depth=1
	v_ashrrev_i32_e32 v1, 31, v0
	v_lshl_add_u64 v[14:15], v[0:1], 2, s[8:9]
	global_load_dword v1, v[14:15], off
	global_load_dwordx4 v[8:11], v[4:5], off
	global_load_ushort v18, v[4:5], off offset:16
	v_add_u32_e32 v0, 4, v0
	v_cmp_ge_i32_e32 vcc, v0, v13
	v_lshl_add_u64 v[4:5], v[4:5], 0, s[10:11]
	s_or_b64 s[2:3], vcc, s[2:3]
	s_waitcnt vmcnt(2)
	v_subrev_u32_e32 v1, s16, v1
	v_lshl_add_u32 v14, v1, 1, v1
	v_ashrrev_i32_e32 v15, 31, v14
	s_waitcnt lgkmcnt(0)
	v_lshl_add_u64 v[14:15], v[14:15], 1, s[4:5]
	global_load_dword v1, v[14:15], off
	global_load_ushort v19, v[14:15], off offset:4
	s_waitcnt vmcnt(3)
	v_lshlrev_b32_e32 v21, 16, v9
	v_and_b32_e32 v22, 0xffff0000, v10
	v_and_b32_e32 v15, 0xffff0000, v8
	v_lshlrev_b32_e32 v14, 16, v8
	v_lshlrev_b32_e32 v17, 16, v10
	v_and_b32_e32 v16, 0xffff0000, v9
	v_and_b32_e32 v9, 0xffff0000, v11
	v_lshlrev_b32_e32 v8, 16, v11
	s_waitcnt vmcnt(2)
	v_lshlrev_b32_e32 v11, 16, v18
	s_waitcnt vmcnt(1)
	v_lshlrev_b32_e32 v10, 16, v1
	v_and_b32_e32 v18, 0xffff0000, v1
	v_fmac_f32_e32 v12, v21, v10
	v_pk_fma_f32 v[6:7], v[14:15], v[10:11], v[6:7] op_sel_hi:[1,0,1]
	s_waitcnt vmcnt(0)
	v_lshlrev_b32_e32 v20, 16, v19
	v_fmac_f32_e32 v12, v22, v18
	v_pk_fma_f32 v[6:7], v[16:17], v[18:19], v[6:7] op_sel_hi:[1,0,1]
	v_fmac_f32_e32 v12, v11, v20
	v_pk_fma_f32 v[6:7], v[8:9], v[20:21], v[6:7] op_sel_hi:[1,0,1]
	s_andn2_b64 exec, exec, s[2:3]
	s_cbranch_execnz .LBB105_22
; %bb.23:
	s_or_b64 exec, exec, s[2:3]
.LBB105_24:
	s_or_b64 exec, exec, s[6:7]
.LBB105_25:
	v_mov_b32_dpp v0, v6 row_shr:1 row_mask:0xf bank_mask:0xf
	v_mov_b32_dpp v1, v7 row_shr:1 row_mask:0xf bank_mask:0xf
	v_pk_add_f32 v[0:1], v[6:7], v[0:1]
	v_mov_b32_dpp v6, v12 row_shr:1 row_mask:0xf bank_mask:0xf
	v_add_f32_e32 v6, v12, v6
	v_mov_b32_dpp v4, v0 row_shr:2 row_mask:0xf bank_mask:0xf
	v_mov_b32_dpp v5, v1 row_shr:2 row_mask:0xf bank_mask:0xf
	;; [unrolled: 1-line block ×3, first 2 shown]
	v_cmp_eq_u32_e32 vcc, 3, v3
	s_and_b64 exec, exec, vcc
	s_cbranch_execz .LBB105_10
; %bb.26:
	s_load_dwordx2 s[0:1], s[0:1], 0x50
	v_pk_add_f32 v[4:5], v[0:1], v[4:5]
	v_add_f32_e32 v0, v6, v7
	v_cmp_eq_f32_e64 s[2:3], s14, 0
	v_lshl_add_u32 v6, v2, 1, v2
	s_and_b64 vcc, exec, s[2:3]
	v_mul_f32_e32 v2, s12, v0
	v_ashrrev_i32_e32 v7, 31, v6
	s_cbranch_vccz .LBB105_28
; %bb.27:
	s_waitcnt lgkmcnt(0)
	v_lshl_add_u64 v[8:9], v[6:7], 2, s[0:1]
	v_pk_mul_f32 v[0:1], s[12:13], v[4:5] op_sel_hi:[0,1]
	global_store_dwordx3 v[8:9], v[0:2], off
	s_cbranch_execnz .LBB105_10
	s_branch .LBB105_29
.LBB105_28:
.LBB105_29:
	s_waitcnt lgkmcnt(0)
	v_lshl_add_u64 v[10:11], v[6:7], 2, s[0:1]
	global_load_dwordx3 v[6:8], v[10:11], off
	v_pk_mul_f32 v[0:1], s[12:13], v[4:5] op_sel_hi:[0,1]
	s_waitcnt vmcnt(0)
	v_pk_fma_f32 v[0:1], s[14:15], v[6:7], v[0:1] op_sel_hi:[0,1,1]
	v_fmac_f32_e32 v2, s14, v8
	global_store_dwordx3 v[10:11], v[0:2], off
	s_endpgm
	.section	.rodata,"a",@progbits
	.p2align	6, 0x0
	.amdhsa_kernel _ZN9rocsparseL18bsrxmvn_3x3_kernelILj256ELj4Efii18rocsparse_bfloat16S1_fEEvT3_20rocsparse_direction_NS_24const_host_device_scalarIT1_EES2_PKS2_PKT2_SB_S8_PKT4_PKT5_S6_PT6_21rocsparse_index_base_b
		.amdhsa_group_segment_fixed_size 0
		.amdhsa_private_segment_fixed_size 0
		.amdhsa_kernarg_size 96
		.amdhsa_user_sgpr_count 2
		.amdhsa_user_sgpr_dispatch_ptr 0
		.amdhsa_user_sgpr_queue_ptr 0
		.amdhsa_user_sgpr_kernarg_segment_ptr 1
		.amdhsa_user_sgpr_dispatch_id 0
		.amdhsa_user_sgpr_kernarg_preload_length 0
		.amdhsa_user_sgpr_kernarg_preload_offset 0
		.amdhsa_user_sgpr_private_segment_size 0
		.amdhsa_uses_dynamic_stack 0
		.amdhsa_enable_private_segment 0
		.amdhsa_system_sgpr_workgroup_id_x 1
		.amdhsa_system_sgpr_workgroup_id_y 0
		.amdhsa_system_sgpr_workgroup_id_z 0
		.amdhsa_system_sgpr_workgroup_info 0
		.amdhsa_system_vgpr_workitem_id 0
		.amdhsa_next_free_vgpr 26
		.amdhsa_next_free_sgpr 20
		.amdhsa_accum_offset 28
		.amdhsa_reserve_vcc 1
		.amdhsa_float_round_mode_32 0
		.amdhsa_float_round_mode_16_64 0
		.amdhsa_float_denorm_mode_32 3
		.amdhsa_float_denorm_mode_16_64 3
		.amdhsa_dx10_clamp 1
		.amdhsa_ieee_mode 1
		.amdhsa_fp16_overflow 0
		.amdhsa_tg_split 0
		.amdhsa_exception_fp_ieee_invalid_op 0
		.amdhsa_exception_fp_denorm_src 0
		.amdhsa_exception_fp_ieee_div_zero 0
		.amdhsa_exception_fp_ieee_overflow 0
		.amdhsa_exception_fp_ieee_underflow 0
		.amdhsa_exception_fp_ieee_inexact 0
		.amdhsa_exception_int_div_zero 0
	.end_amdhsa_kernel
	.section	.text._ZN9rocsparseL18bsrxmvn_3x3_kernelILj256ELj4Efii18rocsparse_bfloat16S1_fEEvT3_20rocsparse_direction_NS_24const_host_device_scalarIT1_EES2_PKS2_PKT2_SB_S8_PKT4_PKT5_S6_PT6_21rocsparse_index_base_b,"axG",@progbits,_ZN9rocsparseL18bsrxmvn_3x3_kernelILj256ELj4Efii18rocsparse_bfloat16S1_fEEvT3_20rocsparse_direction_NS_24const_host_device_scalarIT1_EES2_PKS2_PKT2_SB_S8_PKT4_PKT5_S6_PT6_21rocsparse_index_base_b,comdat
.Lfunc_end105:
	.size	_ZN9rocsparseL18bsrxmvn_3x3_kernelILj256ELj4Efii18rocsparse_bfloat16S1_fEEvT3_20rocsparse_direction_NS_24const_host_device_scalarIT1_EES2_PKS2_PKT2_SB_S8_PKT4_PKT5_S6_PT6_21rocsparse_index_base_b, .Lfunc_end105-_ZN9rocsparseL18bsrxmvn_3x3_kernelILj256ELj4Efii18rocsparse_bfloat16S1_fEEvT3_20rocsparse_direction_NS_24const_host_device_scalarIT1_EES2_PKS2_PKT2_SB_S8_PKT4_PKT5_S6_PT6_21rocsparse_index_base_b
                                        ; -- End function
	.section	.AMDGPU.csdata,"",@progbits
; Kernel info:
; codeLenInByte = 1196
; NumSgprs: 26
; NumVgprs: 26
; NumAgprs: 0
; TotalNumVgprs: 26
; ScratchSize: 0
; MemoryBound: 0
; FloatMode: 240
; IeeeMode: 1
; LDSByteSize: 0 bytes/workgroup (compile time only)
; SGPRBlocks: 3
; VGPRBlocks: 3
; NumSGPRsForWavesPerEU: 26
; NumVGPRsForWavesPerEU: 26
; AccumOffset: 28
; Occupancy: 8
; WaveLimiterHint : 1
; COMPUTE_PGM_RSRC2:SCRATCH_EN: 0
; COMPUTE_PGM_RSRC2:USER_SGPR: 2
; COMPUTE_PGM_RSRC2:TRAP_HANDLER: 0
; COMPUTE_PGM_RSRC2:TGID_X_EN: 1
; COMPUTE_PGM_RSRC2:TGID_Y_EN: 0
; COMPUTE_PGM_RSRC2:TGID_Z_EN: 0
; COMPUTE_PGM_RSRC2:TIDIG_COMP_CNT: 0
; COMPUTE_PGM_RSRC3_GFX90A:ACCUM_OFFSET: 6
; COMPUTE_PGM_RSRC3_GFX90A:TG_SPLIT: 0
	.section	.text._ZN9rocsparseL18bsrxmvn_3x3_kernelILj256ELj8Efii18rocsparse_bfloat16S1_fEEvT3_20rocsparse_direction_NS_24const_host_device_scalarIT1_EES2_PKS2_PKT2_SB_S8_PKT4_PKT5_S6_PT6_21rocsparse_index_base_b,"axG",@progbits,_ZN9rocsparseL18bsrxmvn_3x3_kernelILj256ELj8Efii18rocsparse_bfloat16S1_fEEvT3_20rocsparse_direction_NS_24const_host_device_scalarIT1_EES2_PKS2_PKT2_SB_S8_PKT4_PKT5_S6_PT6_21rocsparse_index_base_b,comdat
	.globl	_ZN9rocsparseL18bsrxmvn_3x3_kernelILj256ELj8Efii18rocsparse_bfloat16S1_fEEvT3_20rocsparse_direction_NS_24const_host_device_scalarIT1_EES2_PKS2_PKT2_SB_S8_PKT4_PKT5_S6_PT6_21rocsparse_index_base_b ; -- Begin function _ZN9rocsparseL18bsrxmvn_3x3_kernelILj256ELj8Efii18rocsparse_bfloat16S1_fEEvT3_20rocsparse_direction_NS_24const_host_device_scalarIT1_EES2_PKS2_PKT2_SB_S8_PKT4_PKT5_S6_PT6_21rocsparse_index_base_b
	.p2align	8
	.type	_ZN9rocsparseL18bsrxmvn_3x3_kernelILj256ELj8Efii18rocsparse_bfloat16S1_fEEvT3_20rocsparse_direction_NS_24const_host_device_scalarIT1_EES2_PKS2_PKT2_SB_S8_PKT4_PKT5_S6_PT6_21rocsparse_index_base_b,@function
_ZN9rocsparseL18bsrxmvn_3x3_kernelILj256ELj8Efii18rocsparse_bfloat16S1_fEEvT3_20rocsparse_direction_NS_24const_host_device_scalarIT1_EES2_PKS2_PKT2_SB_S8_PKT4_PKT5_S6_PT6_21rocsparse_index_base_b: ; @_ZN9rocsparseL18bsrxmvn_3x3_kernelILj256ELj8Efii18rocsparse_bfloat16S1_fEEvT3_20rocsparse_direction_NS_24const_host_device_scalarIT1_EES2_PKS2_PKT2_SB_S8_PKT4_PKT5_S6_PT6_21rocsparse_index_base_b
; %bb.0:
	s_load_dwordx2 s[16:17], s[0:1], 0x58
	s_load_dwordx2 s[12:13], s[0:1], 0x8
	;; [unrolled: 1-line block ×3, first 2 shown]
	s_waitcnt lgkmcnt(0)
	s_bitcmp1_b32 s17, 0
	s_cselect_b64 s[6:7], -1, 0
	s_xor_b64 s[4:5], s[6:7], -1
	s_and_b64 vcc, exec, s[6:7]
	s_cbranch_vccnz .LBB106_2
; %bb.1:
	s_load_dword s12, s[12:13], 0x0
.LBB106_2:
	s_andn2_b64 vcc, exec, s[4:5]
	s_cbranch_vccnz .LBB106_4
; %bb.3:
	s_load_dword s14, s[14:15], 0x0
.LBB106_4:
	s_waitcnt lgkmcnt(0)
	v_cmp_neq_f32_e64 s[4:5], s12, 0
	v_cmp_neq_f32_e64 s[6:7], s14, 1.0
	s_or_b64 s[4:5], s[4:5], s[6:7]
	s_andn2_b64 vcc, exec, s[4:5]
	s_cbranch_vccnz .LBB106_10
; %bb.5:
	s_load_dwordx2 s[4:5], s[0:1], 0x18
	s_load_dwordx2 s[18:19], s[0:1], 0x0
	v_lshrrev_b32_e32 v1, 3, v0
	v_lshl_or_b32 v2, s2, 5, v1
	s_mov_b64 s[2:3], 0
	s_waitcnt lgkmcnt(0)
	s_cmp_lg_u64 s[4:5], 0
	s_cbranch_scc0 .LBB106_11
; %bb.6:
	s_load_dword s6, s[0:1], 0x10
                                        ; implicit-def: $vgpr1
	s_waitcnt lgkmcnt(0)
	v_cmp_gt_i32_e32 vcc, s6, v2
	s_and_saveexec_b64 s[6:7], vcc
	s_xor_b64 s[6:7], exec, s[6:7]
	s_cbranch_execz .LBB106_8
; %bb.7:
	v_ashrrev_i32_e32 v3, 31, v2
	v_lshl_add_u64 v[4:5], v[2:3], 2, s[4:5]
	global_load_dword v1, v[4:5], off
	s_mov_b64 s[2:3], exec
	s_waitcnt vmcnt(0)
	v_subrev_u32_e32 v1, s16, v1
.LBB106_8:
	s_or_b64 exec, exec, s[6:7]
	s_branch .LBB106_12
.LBB106_9:
	v_cmp_gt_i32_e32 vcc, s18, v2
	s_andn2_b64 s[2:3], s[2:3], exec
	s_and_b64 s[4:5], vcc, exec
	s_or_b64 s[2:3], s[2:3], s[4:5]
	s_and_saveexec_b64 s[4:5], s[2:3]
	s_cbranch_execnz .LBB106_13
.LBB106_10:
	s_endpgm
.LBB106_11:
                                        ; implicit-def: $vgpr1
	s_cbranch_execnz .LBB106_9
.LBB106_12:
	v_mov_b32_e32 v2, v1
	s_and_saveexec_b64 s[4:5], s[2:3]
	s_cbranch_execz .LBB106_10
.LBB106_13:
	s_load_dwordx8 s[4:11], s[0:1], 0x20
	v_ashrrev_i32_e32 v3, 31, v2
	v_lshlrev_b64 v[4:5], 2, v[2:3]
	v_and_b32_e32 v3, 7, v0
	s_waitcnt lgkmcnt(0)
	v_lshl_add_u64 v[6:7], s[4:5], 0, v[4:5]
	s_cmp_eq_u64 s[6:7], 0
	global_load_dword v1, v[6:7], off
	v_lshl_add_u64 v[6:7], v[6:7], 0, 4
	v_lshl_add_u64 v[4:5], s[6:7], 0, v[4:5]
	s_cselect_b64 vcc, -1, 0
	v_cndmask_b32_e32 v5, v5, v7, vcc
	v_cndmask_b32_e32 v4, v4, v6, vcc
	global_load_dword v4, v[4:5], off
	s_load_dwordx2 s[4:5], s[0:1], 0x40
	s_cmp_eq_u32 s19, 1
	s_waitcnt vmcnt(1)
	v_subrev_u32_e32 v0, s16, v1
	v_add_u32_e32 v0, v0, v3
	s_waitcnt vmcnt(0)
	v_subrev_u32_e32 v13, s16, v4
	v_mad_i64_i32 v[4:5], s[2:3], v0, 18, s[10:11]
	v_cmp_lt_i32_e64 s[2:3], v0, v13
	s_cbranch_scc1 .LBB106_19
; %bb.14:
	v_mov_b32_e32 v7, 0
	v_mov_b32_e32 v6, v7
	;; [unrolled: 1-line block ×3, first 2 shown]
	s_and_saveexec_b64 s[6:7], s[2:3]
	s_cbranch_execz .LBB106_18
; %bb.15:
	v_mov_b32_e32 v12, 0
	s_mov_b64 s[10:11], 0
	s_mov_b64 s[18:19], 0x90
	v_mov_b64_e32 v[8:9], v[4:5]
	v_mov_b32_e32 v10, v0
	v_mov_b32_e32 v6, 0
	;; [unrolled: 1-line block ×3, first 2 shown]
.LBB106_16:                             ; =>This Inner Loop Header: Depth=1
	v_ashrrev_i32_e32 v11, 31, v10
	v_lshl_add_u64 v[18:19], v[10:11], 2, s[8:9]
	global_load_dword v1, v[18:19], off
	global_load_dwordx4 v[14:17], v[8:9], off
	global_load_ushort v11, v[8:9], off offset:16
	v_add_u32_e32 v10, 8, v10
	v_cmp_ge_i32_e32 vcc, v10, v13
	v_lshl_add_u64 v[8:9], v[8:9], 0, s[18:19]
	s_or_b64 s[10:11], vcc, s[10:11]
	s_waitcnt vmcnt(2)
	v_subrev_u32_e32 v1, s16, v1
	v_lshl_add_u32 v18, v1, 1, v1
	v_ashrrev_i32_e32 v19, 31, v18
	s_waitcnt lgkmcnt(0)
	v_lshl_add_u64 v[18:19], v[18:19], 1, s[4:5]
	global_load_dword v1, v[18:19], off
	global_load_ushort v24, v[18:19], off offset:4
	s_waitcnt vmcnt(3)
	v_and_b32_e32 v19, 0xffff0000, v15
	v_lshlrev_b32_e32 v18, 16, v14
	v_and_b32_e32 v20, 0xffff0000, v14
	v_lshlrev_b32_e32 v22, 16, v15
	v_lshlrev_b32_e32 v15, 16, v17
	;; [unrolled: 1-line block ×3, first 2 shown]
	v_and_b32_e32 v23, 0xffff0000, v16
	v_and_b32_e32 v17, 0xffff0000, v17
	s_waitcnt vmcnt(2)
	v_lshlrev_b32_e32 v11, 16, v11
	s_waitcnt vmcnt(1)
	v_lshlrev_b32_e32 v14, 16, v1
	v_and_b32_e32 v16, 0xffff0000, v1
	v_pk_fma_f32 v[6:7], v[18:19], v[14:15], v[6:7] op_sel_hi:[1,0,1]
	v_fmac_f32_e32 v12, v15, v14
	s_waitcnt vmcnt(0)
	v_lshlrev_b32_e32 v24, 16, v24
	v_pk_fma_f32 v[6:7], v[20:21], v[16:17], v[6:7] op_sel_hi:[1,0,1]
	v_fmac_f32_e32 v12, v17, v16
	v_pk_fma_f32 v[6:7], v[22:23], v[24:25], v[6:7] op_sel_hi:[1,0,1]
	v_fmac_f32_e32 v12, v11, v24
	s_andn2_b64 exec, exec, s[10:11]
	s_cbranch_execnz .LBB106_16
; %bb.17:
	s_or_b64 exec, exec, s[10:11]
.LBB106_18:
	s_or_b64 exec, exec, s[6:7]
	s_cbranch_execz .LBB106_20
	s_branch .LBB106_25
.LBB106_19:
                                        ; implicit-def: $vgpr7
                                        ; implicit-def: $vgpr12
.LBB106_20:
	v_mov_b32_e32 v7, 0
	v_mov_b32_e32 v6, v7
	;; [unrolled: 1-line block ×3, first 2 shown]
	s_and_saveexec_b64 s[6:7], s[2:3]
	s_cbranch_execz .LBB106_24
; %bb.21:
	v_mov_b32_e32 v12, 0
	s_mov_b64 s[2:3], 0
	s_mov_b64 s[10:11], 0x90
	v_mov_b32_e32 v6, 0
	v_mov_b32_e32 v7, v12
.LBB106_22:                             ; =>This Inner Loop Header: Depth=1
	v_ashrrev_i32_e32 v1, 31, v0
	v_lshl_add_u64 v[14:15], v[0:1], 2, s[8:9]
	global_load_dword v1, v[14:15], off
	global_load_dwordx4 v[8:11], v[4:5], off
	global_load_ushort v18, v[4:5], off offset:16
	v_add_u32_e32 v0, 8, v0
	v_cmp_ge_i32_e32 vcc, v0, v13
	v_lshl_add_u64 v[4:5], v[4:5], 0, s[10:11]
	s_or_b64 s[2:3], vcc, s[2:3]
	s_waitcnt vmcnt(2)
	v_subrev_u32_e32 v1, s16, v1
	v_lshl_add_u32 v14, v1, 1, v1
	v_ashrrev_i32_e32 v15, 31, v14
	s_waitcnt lgkmcnt(0)
	v_lshl_add_u64 v[14:15], v[14:15], 1, s[4:5]
	global_load_dword v1, v[14:15], off
	global_load_ushort v19, v[14:15], off offset:4
	s_waitcnt vmcnt(3)
	v_lshlrev_b32_e32 v21, 16, v9
	v_and_b32_e32 v22, 0xffff0000, v10
	v_and_b32_e32 v15, 0xffff0000, v8
	v_lshlrev_b32_e32 v14, 16, v8
	v_lshlrev_b32_e32 v17, 16, v10
	v_and_b32_e32 v16, 0xffff0000, v9
	v_and_b32_e32 v9, 0xffff0000, v11
	v_lshlrev_b32_e32 v8, 16, v11
	s_waitcnt vmcnt(2)
	v_lshlrev_b32_e32 v11, 16, v18
	s_waitcnt vmcnt(1)
	v_lshlrev_b32_e32 v10, 16, v1
	v_and_b32_e32 v18, 0xffff0000, v1
	v_fmac_f32_e32 v12, v21, v10
	v_pk_fma_f32 v[6:7], v[14:15], v[10:11], v[6:7] op_sel_hi:[1,0,1]
	s_waitcnt vmcnt(0)
	v_lshlrev_b32_e32 v20, 16, v19
	v_fmac_f32_e32 v12, v22, v18
	v_pk_fma_f32 v[6:7], v[16:17], v[18:19], v[6:7] op_sel_hi:[1,0,1]
	v_fmac_f32_e32 v12, v11, v20
	v_pk_fma_f32 v[6:7], v[8:9], v[20:21], v[6:7] op_sel_hi:[1,0,1]
	s_andn2_b64 exec, exec, s[2:3]
	s_cbranch_execnz .LBB106_22
; %bb.23:
	s_or_b64 exec, exec, s[2:3]
.LBB106_24:
	s_or_b64 exec, exec, s[6:7]
.LBB106_25:
	v_mov_b32_dpp v0, v6 row_shr:1 row_mask:0xf bank_mask:0xf
	v_mov_b32_dpp v1, v7 row_shr:1 row_mask:0xf bank_mask:0xf
	v_pk_add_f32 v[0:1], v[6:7], v[0:1]
	v_mov_b32_dpp v6, v12 row_shr:1 row_mask:0xf bank_mask:0xf
	v_add_f32_e32 v6, v12, v6
	v_mov_b32_dpp v4, v0 row_shr:2 row_mask:0xf bank_mask:0xf
	v_mov_b32_dpp v5, v1 row_shr:2 row_mask:0xf bank_mask:0xf
	v_mov_b32_dpp v7, v6 row_shr:2 row_mask:0xf bank_mask:0xf
	v_pk_add_f32 v[0:1], v[0:1], v[4:5]
	v_add_f32_e32 v6, v6, v7
	v_cmp_eq_u32_e32 vcc, 7, v3
	v_mov_b32_dpp v4, v0 row_shr:4 row_mask:0xf bank_mask:0xe
	v_mov_b32_dpp v5, v1 row_shr:4 row_mask:0xf bank_mask:0xe
	;; [unrolled: 1-line block ×3, first 2 shown]
	s_and_b64 exec, exec, vcc
	s_cbranch_execz .LBB106_10
; %bb.26:
	s_load_dwordx2 s[0:1], s[0:1], 0x50
	v_pk_add_f32 v[4:5], v[0:1], v[4:5]
	v_add_f32_e32 v0, v6, v7
	v_cmp_eq_f32_e64 s[2:3], s14, 0
	v_lshl_add_u32 v6, v2, 1, v2
	s_and_b64 vcc, exec, s[2:3]
	v_mul_f32_e32 v2, s12, v0
	v_ashrrev_i32_e32 v7, 31, v6
	s_cbranch_vccz .LBB106_28
; %bb.27:
	s_waitcnt lgkmcnt(0)
	v_lshl_add_u64 v[8:9], v[6:7], 2, s[0:1]
	v_pk_mul_f32 v[0:1], s[12:13], v[4:5] op_sel_hi:[0,1]
	global_store_dwordx3 v[8:9], v[0:2], off
	s_cbranch_execnz .LBB106_10
	s_branch .LBB106_29
.LBB106_28:
.LBB106_29:
	s_waitcnt lgkmcnt(0)
	v_lshl_add_u64 v[10:11], v[6:7], 2, s[0:1]
	global_load_dwordx3 v[6:8], v[10:11], off
	v_pk_mul_f32 v[0:1], s[12:13], v[4:5] op_sel_hi:[0,1]
	s_waitcnt vmcnt(0)
	v_pk_fma_f32 v[0:1], s[14:15], v[6:7], v[0:1] op_sel_hi:[0,1,1]
	v_fmac_f32_e32 v2, s14, v8
	global_store_dwordx3 v[10:11], v[0:2], off
	s_endpgm
	.section	.rodata,"a",@progbits
	.p2align	6, 0x0
	.amdhsa_kernel _ZN9rocsparseL18bsrxmvn_3x3_kernelILj256ELj8Efii18rocsparse_bfloat16S1_fEEvT3_20rocsparse_direction_NS_24const_host_device_scalarIT1_EES2_PKS2_PKT2_SB_S8_PKT4_PKT5_S6_PT6_21rocsparse_index_base_b
		.amdhsa_group_segment_fixed_size 0
		.amdhsa_private_segment_fixed_size 0
		.amdhsa_kernarg_size 96
		.amdhsa_user_sgpr_count 2
		.amdhsa_user_sgpr_dispatch_ptr 0
		.amdhsa_user_sgpr_queue_ptr 0
		.amdhsa_user_sgpr_kernarg_segment_ptr 1
		.amdhsa_user_sgpr_dispatch_id 0
		.amdhsa_user_sgpr_kernarg_preload_length 0
		.amdhsa_user_sgpr_kernarg_preload_offset 0
		.amdhsa_user_sgpr_private_segment_size 0
		.amdhsa_uses_dynamic_stack 0
		.amdhsa_enable_private_segment 0
		.amdhsa_system_sgpr_workgroup_id_x 1
		.amdhsa_system_sgpr_workgroup_id_y 0
		.amdhsa_system_sgpr_workgroup_id_z 0
		.amdhsa_system_sgpr_workgroup_info 0
		.amdhsa_system_vgpr_workitem_id 0
		.amdhsa_next_free_vgpr 26
		.amdhsa_next_free_sgpr 20
		.amdhsa_accum_offset 28
		.amdhsa_reserve_vcc 1
		.amdhsa_float_round_mode_32 0
		.amdhsa_float_round_mode_16_64 0
		.amdhsa_float_denorm_mode_32 3
		.amdhsa_float_denorm_mode_16_64 3
		.amdhsa_dx10_clamp 1
		.amdhsa_ieee_mode 1
		.amdhsa_fp16_overflow 0
		.amdhsa_tg_split 0
		.amdhsa_exception_fp_ieee_invalid_op 0
		.amdhsa_exception_fp_denorm_src 0
		.amdhsa_exception_fp_ieee_div_zero 0
		.amdhsa_exception_fp_ieee_overflow 0
		.amdhsa_exception_fp_ieee_underflow 0
		.amdhsa_exception_fp_ieee_inexact 0
		.amdhsa_exception_int_div_zero 0
	.end_amdhsa_kernel
	.section	.text._ZN9rocsparseL18bsrxmvn_3x3_kernelILj256ELj8Efii18rocsparse_bfloat16S1_fEEvT3_20rocsparse_direction_NS_24const_host_device_scalarIT1_EES2_PKS2_PKT2_SB_S8_PKT4_PKT5_S6_PT6_21rocsparse_index_base_b,"axG",@progbits,_ZN9rocsparseL18bsrxmvn_3x3_kernelILj256ELj8Efii18rocsparse_bfloat16S1_fEEvT3_20rocsparse_direction_NS_24const_host_device_scalarIT1_EES2_PKS2_PKT2_SB_S8_PKT4_PKT5_S6_PT6_21rocsparse_index_base_b,comdat
.Lfunc_end106:
	.size	_ZN9rocsparseL18bsrxmvn_3x3_kernelILj256ELj8Efii18rocsparse_bfloat16S1_fEEvT3_20rocsparse_direction_NS_24const_host_device_scalarIT1_EES2_PKS2_PKT2_SB_S8_PKT4_PKT5_S6_PT6_21rocsparse_index_base_b, .Lfunc_end106-_ZN9rocsparseL18bsrxmvn_3x3_kernelILj256ELj8Efii18rocsparse_bfloat16S1_fEEvT3_20rocsparse_direction_NS_24const_host_device_scalarIT1_EES2_PKS2_PKT2_SB_S8_PKT4_PKT5_S6_PT6_21rocsparse_index_base_b
                                        ; -- End function
	.section	.AMDGPU.csdata,"",@progbits
; Kernel info:
; codeLenInByte = 1232
; NumSgprs: 26
; NumVgprs: 26
; NumAgprs: 0
; TotalNumVgprs: 26
; ScratchSize: 0
; MemoryBound: 0
; FloatMode: 240
; IeeeMode: 1
; LDSByteSize: 0 bytes/workgroup (compile time only)
; SGPRBlocks: 3
; VGPRBlocks: 3
; NumSGPRsForWavesPerEU: 26
; NumVGPRsForWavesPerEU: 26
; AccumOffset: 28
; Occupancy: 8
; WaveLimiterHint : 1
; COMPUTE_PGM_RSRC2:SCRATCH_EN: 0
; COMPUTE_PGM_RSRC2:USER_SGPR: 2
; COMPUTE_PGM_RSRC2:TRAP_HANDLER: 0
; COMPUTE_PGM_RSRC2:TGID_X_EN: 1
; COMPUTE_PGM_RSRC2:TGID_Y_EN: 0
; COMPUTE_PGM_RSRC2:TGID_Z_EN: 0
; COMPUTE_PGM_RSRC2:TIDIG_COMP_CNT: 0
; COMPUTE_PGM_RSRC3_GFX90A:ACCUM_OFFSET: 6
; COMPUTE_PGM_RSRC3_GFX90A:TG_SPLIT: 0
	.section	.text._ZN9rocsparseL18bsrxmvn_3x3_kernelILj256ELj16Efii18rocsparse_bfloat16S1_fEEvT3_20rocsparse_direction_NS_24const_host_device_scalarIT1_EES2_PKS2_PKT2_SB_S8_PKT4_PKT5_S6_PT6_21rocsparse_index_base_b,"axG",@progbits,_ZN9rocsparseL18bsrxmvn_3x3_kernelILj256ELj16Efii18rocsparse_bfloat16S1_fEEvT3_20rocsparse_direction_NS_24const_host_device_scalarIT1_EES2_PKS2_PKT2_SB_S8_PKT4_PKT5_S6_PT6_21rocsparse_index_base_b,comdat
	.globl	_ZN9rocsparseL18bsrxmvn_3x3_kernelILj256ELj16Efii18rocsparse_bfloat16S1_fEEvT3_20rocsparse_direction_NS_24const_host_device_scalarIT1_EES2_PKS2_PKT2_SB_S8_PKT4_PKT5_S6_PT6_21rocsparse_index_base_b ; -- Begin function _ZN9rocsparseL18bsrxmvn_3x3_kernelILj256ELj16Efii18rocsparse_bfloat16S1_fEEvT3_20rocsparse_direction_NS_24const_host_device_scalarIT1_EES2_PKS2_PKT2_SB_S8_PKT4_PKT5_S6_PT6_21rocsparse_index_base_b
	.p2align	8
	.type	_ZN9rocsparseL18bsrxmvn_3x3_kernelILj256ELj16Efii18rocsparse_bfloat16S1_fEEvT3_20rocsparse_direction_NS_24const_host_device_scalarIT1_EES2_PKS2_PKT2_SB_S8_PKT4_PKT5_S6_PT6_21rocsparse_index_base_b,@function
_ZN9rocsparseL18bsrxmvn_3x3_kernelILj256ELj16Efii18rocsparse_bfloat16S1_fEEvT3_20rocsparse_direction_NS_24const_host_device_scalarIT1_EES2_PKS2_PKT2_SB_S8_PKT4_PKT5_S6_PT6_21rocsparse_index_base_b: ; @_ZN9rocsparseL18bsrxmvn_3x3_kernelILj256ELj16Efii18rocsparse_bfloat16S1_fEEvT3_20rocsparse_direction_NS_24const_host_device_scalarIT1_EES2_PKS2_PKT2_SB_S8_PKT4_PKT5_S6_PT6_21rocsparse_index_base_b
; %bb.0:
	s_load_dwordx2 s[16:17], s[0:1], 0x58
	s_load_dwordx2 s[12:13], s[0:1], 0x8
	;; [unrolled: 1-line block ×3, first 2 shown]
	s_waitcnt lgkmcnt(0)
	s_bitcmp1_b32 s17, 0
	s_cselect_b64 s[6:7], -1, 0
	s_xor_b64 s[4:5], s[6:7], -1
	s_and_b64 vcc, exec, s[6:7]
	s_cbranch_vccnz .LBB107_2
; %bb.1:
	s_load_dword s12, s[12:13], 0x0
.LBB107_2:
	s_andn2_b64 vcc, exec, s[4:5]
	s_cbranch_vccnz .LBB107_4
; %bb.3:
	s_load_dword s14, s[14:15], 0x0
.LBB107_4:
	s_waitcnt lgkmcnt(0)
	v_cmp_neq_f32_e64 s[4:5], s12, 0
	v_cmp_neq_f32_e64 s[6:7], s14, 1.0
	s_or_b64 s[4:5], s[4:5], s[6:7]
	s_andn2_b64 vcc, exec, s[4:5]
	s_cbranch_vccnz .LBB107_10
; %bb.5:
	s_load_dwordx2 s[4:5], s[0:1], 0x18
	s_load_dwordx2 s[18:19], s[0:1], 0x0
	v_lshrrev_b32_e32 v1, 4, v0
	v_lshl_or_b32 v2, s2, 4, v1
	s_mov_b64 s[2:3], 0
	s_waitcnt lgkmcnt(0)
	s_cmp_lg_u64 s[4:5], 0
	s_cbranch_scc0 .LBB107_11
; %bb.6:
	s_load_dword s6, s[0:1], 0x10
                                        ; implicit-def: $vgpr1
	s_waitcnt lgkmcnt(0)
	v_cmp_gt_i32_e32 vcc, s6, v2
	s_and_saveexec_b64 s[6:7], vcc
	s_xor_b64 s[6:7], exec, s[6:7]
	s_cbranch_execz .LBB107_8
; %bb.7:
	v_ashrrev_i32_e32 v3, 31, v2
	v_lshl_add_u64 v[4:5], v[2:3], 2, s[4:5]
	global_load_dword v1, v[4:5], off
	s_mov_b64 s[2:3], exec
	s_waitcnt vmcnt(0)
	v_subrev_u32_e32 v1, s16, v1
.LBB107_8:
	s_or_b64 exec, exec, s[6:7]
	s_branch .LBB107_12
.LBB107_9:
	v_cmp_gt_i32_e32 vcc, s18, v2
	s_andn2_b64 s[2:3], s[2:3], exec
	s_and_b64 s[4:5], vcc, exec
	s_or_b64 s[2:3], s[2:3], s[4:5]
	s_and_saveexec_b64 s[4:5], s[2:3]
	s_cbranch_execnz .LBB107_13
.LBB107_10:
	s_endpgm
.LBB107_11:
                                        ; implicit-def: $vgpr1
	s_cbranch_execnz .LBB107_9
.LBB107_12:
	v_mov_b32_e32 v2, v1
	s_and_saveexec_b64 s[4:5], s[2:3]
	s_cbranch_execz .LBB107_10
.LBB107_13:
	s_load_dwordx8 s[4:11], s[0:1], 0x20
	v_ashrrev_i32_e32 v3, 31, v2
	v_lshlrev_b64 v[4:5], 2, v[2:3]
	v_and_b32_e32 v3, 15, v0
	s_waitcnt lgkmcnt(0)
	v_lshl_add_u64 v[6:7], s[4:5], 0, v[4:5]
	s_cmp_eq_u64 s[6:7], 0
	global_load_dword v1, v[6:7], off
	v_lshl_add_u64 v[6:7], v[6:7], 0, 4
	v_lshl_add_u64 v[4:5], s[6:7], 0, v[4:5]
	s_cselect_b64 vcc, -1, 0
	v_cndmask_b32_e32 v5, v5, v7, vcc
	v_cndmask_b32_e32 v4, v4, v6, vcc
	global_load_dword v4, v[4:5], off
	s_load_dwordx2 s[4:5], s[0:1], 0x40
	s_cmp_eq_u32 s19, 1
	s_waitcnt vmcnt(1)
	v_subrev_u32_e32 v0, s16, v1
	v_add_u32_e32 v0, v0, v3
	s_waitcnt vmcnt(0)
	v_subrev_u32_e32 v13, s16, v4
	v_mad_i64_i32 v[4:5], s[2:3], v0, 18, s[10:11]
	v_cmp_lt_i32_e64 s[2:3], v0, v13
	s_cbranch_scc1 .LBB107_19
; %bb.14:
	v_mov_b32_e32 v7, 0
	v_mov_b32_e32 v6, v7
	;; [unrolled: 1-line block ×3, first 2 shown]
	s_and_saveexec_b64 s[6:7], s[2:3]
	s_cbranch_execz .LBB107_18
; %bb.15:
	v_mov_b32_e32 v12, 0
	s_mov_b64 s[10:11], 0
	s_mov_b64 s[18:19], 0x120
	v_mov_b64_e32 v[8:9], v[4:5]
	v_mov_b32_e32 v10, v0
	v_mov_b32_e32 v6, 0
	;; [unrolled: 1-line block ×3, first 2 shown]
.LBB107_16:                             ; =>This Inner Loop Header: Depth=1
	v_ashrrev_i32_e32 v11, 31, v10
	v_lshl_add_u64 v[18:19], v[10:11], 2, s[8:9]
	global_load_dword v1, v[18:19], off
	global_load_dwordx4 v[14:17], v[8:9], off
	global_load_ushort v11, v[8:9], off offset:16
	v_add_u32_e32 v10, 16, v10
	v_cmp_ge_i32_e32 vcc, v10, v13
	v_lshl_add_u64 v[8:9], v[8:9], 0, s[18:19]
	s_or_b64 s[10:11], vcc, s[10:11]
	s_waitcnt vmcnt(2)
	v_subrev_u32_e32 v1, s16, v1
	v_lshl_add_u32 v18, v1, 1, v1
	v_ashrrev_i32_e32 v19, 31, v18
	s_waitcnt lgkmcnt(0)
	v_lshl_add_u64 v[18:19], v[18:19], 1, s[4:5]
	global_load_dword v1, v[18:19], off
	global_load_ushort v24, v[18:19], off offset:4
	s_waitcnt vmcnt(3)
	v_lshlrev_b32_e32 v18, 16, v14
	v_and_b32_e32 v19, 0xffff0000, v15
	v_and_b32_e32 v20, 0xffff0000, v14
	v_lshlrev_b32_e32 v22, 16, v15
	v_lshlrev_b32_e32 v15, 16, v17
	;; [unrolled: 1-line block ×3, first 2 shown]
	v_and_b32_e32 v23, 0xffff0000, v16
	v_and_b32_e32 v17, 0xffff0000, v17
	s_waitcnt vmcnt(2)
	v_lshlrev_b32_e32 v11, 16, v11
	s_waitcnt vmcnt(1)
	v_lshlrev_b32_e32 v14, 16, v1
	v_and_b32_e32 v16, 0xffff0000, v1
	v_pk_fma_f32 v[6:7], v[18:19], v[14:15], v[6:7] op_sel_hi:[1,0,1]
	v_fmac_f32_e32 v12, v15, v14
	s_waitcnt vmcnt(0)
	v_lshlrev_b32_e32 v24, 16, v24
	v_pk_fma_f32 v[6:7], v[20:21], v[16:17], v[6:7] op_sel_hi:[1,0,1]
	v_fmac_f32_e32 v12, v17, v16
	v_pk_fma_f32 v[6:7], v[22:23], v[24:25], v[6:7] op_sel_hi:[1,0,1]
	v_fmac_f32_e32 v12, v11, v24
	s_andn2_b64 exec, exec, s[10:11]
	s_cbranch_execnz .LBB107_16
; %bb.17:
	s_or_b64 exec, exec, s[10:11]
.LBB107_18:
	s_or_b64 exec, exec, s[6:7]
	s_cbranch_execz .LBB107_20
	s_branch .LBB107_25
.LBB107_19:
                                        ; implicit-def: $vgpr7
                                        ; implicit-def: $vgpr12
.LBB107_20:
	v_mov_b32_e32 v7, 0
	v_mov_b32_e32 v6, v7
	;; [unrolled: 1-line block ×3, first 2 shown]
	s_and_saveexec_b64 s[6:7], s[2:3]
	s_cbranch_execz .LBB107_24
; %bb.21:
	v_mov_b32_e32 v12, 0
	s_mov_b64 s[2:3], 0
	s_mov_b64 s[10:11], 0x120
	v_mov_b32_e32 v6, 0
	v_mov_b32_e32 v7, v12
.LBB107_22:                             ; =>This Inner Loop Header: Depth=1
	v_ashrrev_i32_e32 v1, 31, v0
	v_lshl_add_u64 v[14:15], v[0:1], 2, s[8:9]
	global_load_dword v1, v[14:15], off
	global_load_dwordx4 v[8:11], v[4:5], off
	global_load_ushort v18, v[4:5], off offset:16
	v_add_u32_e32 v0, 16, v0
	v_cmp_ge_i32_e32 vcc, v0, v13
	v_lshl_add_u64 v[4:5], v[4:5], 0, s[10:11]
	s_or_b64 s[2:3], vcc, s[2:3]
	s_waitcnt vmcnt(2)
	v_subrev_u32_e32 v1, s16, v1
	v_lshl_add_u32 v14, v1, 1, v1
	v_ashrrev_i32_e32 v15, 31, v14
	s_waitcnt lgkmcnt(0)
	v_lshl_add_u64 v[14:15], v[14:15], 1, s[4:5]
	global_load_dword v1, v[14:15], off
	global_load_ushort v19, v[14:15], off offset:4
	s_waitcnt vmcnt(3)
	v_and_b32_e32 v15, 0xffff0000, v8
	v_lshlrev_b32_e32 v14, 16, v8
	v_lshlrev_b32_e32 v21, 16, v9
	v_and_b32_e32 v22, 0xffff0000, v10
	v_lshlrev_b32_e32 v17, 16, v10
	v_and_b32_e32 v16, 0xffff0000, v9
	v_and_b32_e32 v9, 0xffff0000, v11
	v_lshlrev_b32_e32 v8, 16, v11
	s_waitcnt vmcnt(2)
	v_lshlrev_b32_e32 v11, 16, v18
	s_waitcnt vmcnt(1)
	v_lshlrev_b32_e32 v10, 16, v1
	v_and_b32_e32 v18, 0xffff0000, v1
	v_fmac_f32_e32 v12, v21, v10
	v_pk_fma_f32 v[6:7], v[14:15], v[10:11], v[6:7] op_sel_hi:[1,0,1]
	s_waitcnt vmcnt(0)
	v_lshlrev_b32_e32 v20, 16, v19
	v_fmac_f32_e32 v12, v22, v18
	v_pk_fma_f32 v[6:7], v[16:17], v[18:19], v[6:7] op_sel_hi:[1,0,1]
	v_fmac_f32_e32 v12, v11, v20
	v_pk_fma_f32 v[6:7], v[8:9], v[20:21], v[6:7] op_sel_hi:[1,0,1]
	s_andn2_b64 exec, exec, s[2:3]
	s_cbranch_execnz .LBB107_22
; %bb.23:
	s_or_b64 exec, exec, s[2:3]
.LBB107_24:
	s_or_b64 exec, exec, s[6:7]
.LBB107_25:
	v_mov_b32_dpp v0, v6 row_shr:1 row_mask:0xf bank_mask:0xf
	v_mov_b32_dpp v1, v7 row_shr:1 row_mask:0xf bank_mask:0xf
	v_pk_add_f32 v[0:1], v[6:7], v[0:1]
	v_mov_b32_dpp v6, v12 row_shr:1 row_mask:0xf bank_mask:0xf
	v_add_f32_e32 v6, v12, v6
	v_mov_b32_dpp v4, v0 row_shr:2 row_mask:0xf bank_mask:0xf
	v_mov_b32_dpp v5, v1 row_shr:2 row_mask:0xf bank_mask:0xf
	;; [unrolled: 1-line block ×3, first 2 shown]
	v_pk_add_f32 v[0:1], v[0:1], v[4:5]
	v_add_f32_e32 v6, v6, v7
	v_cmp_eq_u32_e32 vcc, 15, v3
	v_mov_b32_dpp v4, v0 row_shr:4 row_mask:0xf bank_mask:0xe
	v_mov_b32_dpp v5, v1 row_shr:4 row_mask:0xf bank_mask:0xe
	;; [unrolled: 1-line block ×3, first 2 shown]
	v_pk_add_f32 v[0:1], v[0:1], v[4:5]
	v_add_f32_e32 v6, v6, v7
	s_nop 0
	v_mov_b32_dpp v4, v0 row_shr:8 row_mask:0xf bank_mask:0xc
	v_mov_b32_dpp v5, v1 row_shr:8 row_mask:0xf bank_mask:0xc
	;; [unrolled: 1-line block ×3, first 2 shown]
	s_and_b64 exec, exec, vcc
	s_cbranch_execz .LBB107_10
; %bb.26:
	s_load_dwordx2 s[0:1], s[0:1], 0x50
	v_pk_add_f32 v[4:5], v[0:1], v[4:5]
	v_add_f32_e32 v0, v6, v7
	v_cmp_eq_f32_e64 s[2:3], s14, 0
	v_lshl_add_u32 v6, v2, 1, v2
	s_and_b64 vcc, exec, s[2:3]
	v_mul_f32_e32 v2, s12, v0
	v_ashrrev_i32_e32 v7, 31, v6
	s_cbranch_vccz .LBB107_28
; %bb.27:
	s_waitcnt lgkmcnt(0)
	v_lshl_add_u64 v[8:9], v[6:7], 2, s[0:1]
	v_pk_mul_f32 v[0:1], s[12:13], v[4:5] op_sel_hi:[0,1]
	global_store_dwordx3 v[8:9], v[0:2], off
	s_cbranch_execnz .LBB107_10
	s_branch .LBB107_29
.LBB107_28:
.LBB107_29:
	s_waitcnt lgkmcnt(0)
	v_lshl_add_u64 v[10:11], v[6:7], 2, s[0:1]
	global_load_dwordx3 v[6:8], v[10:11], off
	v_pk_mul_f32 v[0:1], s[12:13], v[4:5] op_sel_hi:[0,1]
	s_waitcnt vmcnt(0)
	v_pk_fma_f32 v[0:1], s[14:15], v[6:7], v[0:1] op_sel_hi:[0,1,1]
	v_fmac_f32_e32 v2, s14, v8
	global_store_dwordx3 v[10:11], v[0:2], off
	s_endpgm
	.section	.rodata,"a",@progbits
	.p2align	6, 0x0
	.amdhsa_kernel _ZN9rocsparseL18bsrxmvn_3x3_kernelILj256ELj16Efii18rocsparse_bfloat16S1_fEEvT3_20rocsparse_direction_NS_24const_host_device_scalarIT1_EES2_PKS2_PKT2_SB_S8_PKT4_PKT5_S6_PT6_21rocsparse_index_base_b
		.amdhsa_group_segment_fixed_size 0
		.amdhsa_private_segment_fixed_size 0
		.amdhsa_kernarg_size 96
		.amdhsa_user_sgpr_count 2
		.amdhsa_user_sgpr_dispatch_ptr 0
		.amdhsa_user_sgpr_queue_ptr 0
		.amdhsa_user_sgpr_kernarg_segment_ptr 1
		.amdhsa_user_sgpr_dispatch_id 0
		.amdhsa_user_sgpr_kernarg_preload_length 0
		.amdhsa_user_sgpr_kernarg_preload_offset 0
		.amdhsa_user_sgpr_private_segment_size 0
		.amdhsa_uses_dynamic_stack 0
		.amdhsa_enable_private_segment 0
		.amdhsa_system_sgpr_workgroup_id_x 1
		.amdhsa_system_sgpr_workgroup_id_y 0
		.amdhsa_system_sgpr_workgroup_id_z 0
		.amdhsa_system_sgpr_workgroup_info 0
		.amdhsa_system_vgpr_workitem_id 0
		.amdhsa_next_free_vgpr 26
		.amdhsa_next_free_sgpr 20
		.amdhsa_accum_offset 28
		.amdhsa_reserve_vcc 1
		.amdhsa_float_round_mode_32 0
		.amdhsa_float_round_mode_16_64 0
		.amdhsa_float_denorm_mode_32 3
		.amdhsa_float_denorm_mode_16_64 3
		.amdhsa_dx10_clamp 1
		.amdhsa_ieee_mode 1
		.amdhsa_fp16_overflow 0
		.amdhsa_tg_split 0
		.amdhsa_exception_fp_ieee_invalid_op 0
		.amdhsa_exception_fp_denorm_src 0
		.amdhsa_exception_fp_ieee_div_zero 0
		.amdhsa_exception_fp_ieee_overflow 0
		.amdhsa_exception_fp_ieee_underflow 0
		.amdhsa_exception_fp_ieee_inexact 0
		.amdhsa_exception_int_div_zero 0
	.end_amdhsa_kernel
	.section	.text._ZN9rocsparseL18bsrxmvn_3x3_kernelILj256ELj16Efii18rocsparse_bfloat16S1_fEEvT3_20rocsparse_direction_NS_24const_host_device_scalarIT1_EES2_PKS2_PKT2_SB_S8_PKT4_PKT5_S6_PT6_21rocsparse_index_base_b,"axG",@progbits,_ZN9rocsparseL18bsrxmvn_3x3_kernelILj256ELj16Efii18rocsparse_bfloat16S1_fEEvT3_20rocsparse_direction_NS_24const_host_device_scalarIT1_EES2_PKS2_PKT2_SB_S8_PKT4_PKT5_S6_PT6_21rocsparse_index_base_b,comdat
.Lfunc_end107:
	.size	_ZN9rocsparseL18bsrxmvn_3x3_kernelILj256ELj16Efii18rocsparse_bfloat16S1_fEEvT3_20rocsparse_direction_NS_24const_host_device_scalarIT1_EES2_PKS2_PKT2_SB_S8_PKT4_PKT5_S6_PT6_21rocsparse_index_base_b, .Lfunc_end107-_ZN9rocsparseL18bsrxmvn_3x3_kernelILj256ELj16Efii18rocsparse_bfloat16S1_fEEvT3_20rocsparse_direction_NS_24const_host_device_scalarIT1_EES2_PKS2_PKT2_SB_S8_PKT4_PKT5_S6_PT6_21rocsparse_index_base_b
                                        ; -- End function
	.section	.AMDGPU.csdata,"",@progbits
; Kernel info:
; codeLenInByte = 1272
; NumSgprs: 26
; NumVgprs: 26
; NumAgprs: 0
; TotalNumVgprs: 26
; ScratchSize: 0
; MemoryBound: 0
; FloatMode: 240
; IeeeMode: 1
; LDSByteSize: 0 bytes/workgroup (compile time only)
; SGPRBlocks: 3
; VGPRBlocks: 3
; NumSGPRsForWavesPerEU: 26
; NumVGPRsForWavesPerEU: 26
; AccumOffset: 28
; Occupancy: 8
; WaveLimiterHint : 1
; COMPUTE_PGM_RSRC2:SCRATCH_EN: 0
; COMPUTE_PGM_RSRC2:USER_SGPR: 2
; COMPUTE_PGM_RSRC2:TRAP_HANDLER: 0
; COMPUTE_PGM_RSRC2:TGID_X_EN: 1
; COMPUTE_PGM_RSRC2:TGID_Y_EN: 0
; COMPUTE_PGM_RSRC2:TGID_Z_EN: 0
; COMPUTE_PGM_RSRC2:TIDIG_COMP_CNT: 0
; COMPUTE_PGM_RSRC3_GFX90A:ACCUM_OFFSET: 6
; COMPUTE_PGM_RSRC3_GFX90A:TG_SPLIT: 0
	.section	.text._ZN9rocsparseL18bsrxmvn_3x3_kernelILj256ELj32Efii18rocsparse_bfloat16S1_fEEvT3_20rocsparse_direction_NS_24const_host_device_scalarIT1_EES2_PKS2_PKT2_SB_S8_PKT4_PKT5_S6_PT6_21rocsparse_index_base_b,"axG",@progbits,_ZN9rocsparseL18bsrxmvn_3x3_kernelILj256ELj32Efii18rocsparse_bfloat16S1_fEEvT3_20rocsparse_direction_NS_24const_host_device_scalarIT1_EES2_PKS2_PKT2_SB_S8_PKT4_PKT5_S6_PT6_21rocsparse_index_base_b,comdat
	.globl	_ZN9rocsparseL18bsrxmvn_3x3_kernelILj256ELj32Efii18rocsparse_bfloat16S1_fEEvT3_20rocsparse_direction_NS_24const_host_device_scalarIT1_EES2_PKS2_PKT2_SB_S8_PKT4_PKT5_S6_PT6_21rocsparse_index_base_b ; -- Begin function _ZN9rocsparseL18bsrxmvn_3x3_kernelILj256ELj32Efii18rocsparse_bfloat16S1_fEEvT3_20rocsparse_direction_NS_24const_host_device_scalarIT1_EES2_PKS2_PKT2_SB_S8_PKT4_PKT5_S6_PT6_21rocsparse_index_base_b
	.p2align	8
	.type	_ZN9rocsparseL18bsrxmvn_3x3_kernelILj256ELj32Efii18rocsparse_bfloat16S1_fEEvT3_20rocsparse_direction_NS_24const_host_device_scalarIT1_EES2_PKS2_PKT2_SB_S8_PKT4_PKT5_S6_PT6_21rocsparse_index_base_b,@function
_ZN9rocsparseL18bsrxmvn_3x3_kernelILj256ELj32Efii18rocsparse_bfloat16S1_fEEvT3_20rocsparse_direction_NS_24const_host_device_scalarIT1_EES2_PKS2_PKT2_SB_S8_PKT4_PKT5_S6_PT6_21rocsparse_index_base_b: ; @_ZN9rocsparseL18bsrxmvn_3x3_kernelILj256ELj32Efii18rocsparse_bfloat16S1_fEEvT3_20rocsparse_direction_NS_24const_host_device_scalarIT1_EES2_PKS2_PKT2_SB_S8_PKT4_PKT5_S6_PT6_21rocsparse_index_base_b
; %bb.0:
	s_load_dwordx2 s[16:17], s[0:1], 0x58
	s_load_dwordx2 s[12:13], s[0:1], 0x8
	;; [unrolled: 1-line block ×3, first 2 shown]
	s_waitcnt lgkmcnt(0)
	s_bitcmp1_b32 s17, 0
	s_cselect_b64 s[6:7], -1, 0
	s_xor_b64 s[4:5], s[6:7], -1
	s_and_b64 vcc, exec, s[6:7]
	s_cbranch_vccnz .LBB108_2
; %bb.1:
	s_load_dword s12, s[12:13], 0x0
.LBB108_2:
	s_andn2_b64 vcc, exec, s[4:5]
	s_cbranch_vccnz .LBB108_4
; %bb.3:
	s_load_dword s14, s[14:15], 0x0
.LBB108_4:
	s_waitcnt lgkmcnt(0)
	v_cmp_neq_f32_e64 s[4:5], s12, 0
	v_cmp_neq_f32_e64 s[6:7], s14, 1.0
	s_or_b64 s[4:5], s[4:5], s[6:7]
	s_andn2_b64 vcc, exec, s[4:5]
	s_cbranch_vccnz .LBB108_10
; %bb.5:
	s_load_dwordx2 s[4:5], s[0:1], 0x18
	s_load_dwordx2 s[18:19], s[0:1], 0x0
	v_lshrrev_b32_e32 v1, 5, v0
	v_lshl_or_b32 v2, s2, 3, v1
	s_mov_b64 s[2:3], 0
	s_waitcnt lgkmcnt(0)
	s_cmp_lg_u64 s[4:5], 0
	s_cbranch_scc0 .LBB108_11
; %bb.6:
	s_load_dword s6, s[0:1], 0x10
                                        ; implicit-def: $vgpr1
	s_waitcnt lgkmcnt(0)
	v_cmp_gt_i32_e32 vcc, s6, v2
	s_and_saveexec_b64 s[6:7], vcc
	s_xor_b64 s[6:7], exec, s[6:7]
	s_cbranch_execz .LBB108_8
; %bb.7:
	v_ashrrev_i32_e32 v3, 31, v2
	v_lshl_add_u64 v[4:5], v[2:3], 2, s[4:5]
	global_load_dword v1, v[4:5], off
	s_mov_b64 s[2:3], exec
	s_waitcnt vmcnt(0)
	v_subrev_u32_e32 v1, s16, v1
.LBB108_8:
	s_or_b64 exec, exec, s[6:7]
	s_branch .LBB108_12
.LBB108_9:
	v_cmp_gt_i32_e32 vcc, s18, v2
	s_andn2_b64 s[2:3], s[2:3], exec
	s_and_b64 s[4:5], vcc, exec
	s_or_b64 s[2:3], s[2:3], s[4:5]
	s_and_saveexec_b64 s[4:5], s[2:3]
	s_cbranch_execnz .LBB108_13
.LBB108_10:
	s_endpgm
.LBB108_11:
                                        ; implicit-def: $vgpr1
	s_cbranch_execnz .LBB108_9
.LBB108_12:
	v_mov_b32_e32 v2, v1
	s_and_saveexec_b64 s[4:5], s[2:3]
	s_cbranch_execz .LBB108_10
.LBB108_13:
	s_load_dwordx8 s[4:11], s[0:1], 0x20
	v_ashrrev_i32_e32 v3, 31, v2
	v_lshlrev_b64 v[4:5], 2, v[2:3]
	v_and_b32_e32 v3, 31, v0
	s_waitcnt lgkmcnt(0)
	v_lshl_add_u64 v[6:7], s[4:5], 0, v[4:5]
	s_cmp_eq_u64 s[6:7], 0
	global_load_dword v1, v[6:7], off
	v_lshl_add_u64 v[6:7], v[6:7], 0, 4
	v_lshl_add_u64 v[4:5], s[6:7], 0, v[4:5]
	s_cselect_b64 vcc, -1, 0
	v_cndmask_b32_e32 v5, v5, v7, vcc
	v_cndmask_b32_e32 v4, v4, v6, vcc
	global_load_dword v4, v[4:5], off
	s_load_dwordx2 s[4:5], s[0:1], 0x40
	s_cmp_eq_u32 s19, 1
	s_waitcnt vmcnt(1)
	v_subrev_u32_e32 v0, s16, v1
	v_add_u32_e32 v0, v0, v3
	s_waitcnt vmcnt(0)
	v_subrev_u32_e32 v13, s16, v4
	v_mad_i64_i32 v[4:5], s[2:3], v0, 18, s[10:11]
	v_cmp_lt_i32_e64 s[2:3], v0, v13
	s_cbranch_scc1 .LBB108_19
; %bb.14:
	v_mov_b32_e32 v7, 0
	v_mov_b32_e32 v6, v7
	v_mov_b32_e32 v12, v7
	s_and_saveexec_b64 s[6:7], s[2:3]
	s_cbranch_execz .LBB108_18
; %bb.15:
	v_mov_b32_e32 v12, 0
	s_mov_b64 s[10:11], 0
	s_mov_b64 s[18:19], 0x240
	v_mov_b64_e32 v[8:9], v[4:5]
	v_mov_b32_e32 v10, v0
	v_mov_b32_e32 v7, 0
	;; [unrolled: 1-line block ×3, first 2 shown]
.LBB108_16:                             ; =>This Inner Loop Header: Depth=1
	v_ashrrev_i32_e32 v11, 31, v10
	v_lshl_add_u64 v[18:19], v[10:11], 2, s[8:9]
	global_load_dword v1, v[18:19], off
	global_load_dwordx4 v[14:17], v[8:9], off
	global_load_ushort v11, v[8:9], off offset:16
	v_add_u32_e32 v10, 32, v10
	v_cmp_ge_i32_e32 vcc, v10, v13
	v_lshl_add_u64 v[8:9], v[8:9], 0, s[18:19]
	s_or_b64 s[10:11], vcc, s[10:11]
	s_waitcnt vmcnt(2)
	v_subrev_u32_e32 v1, s16, v1
	v_lshl_add_u32 v18, v1, 1, v1
	v_ashrrev_i32_e32 v19, 31, v18
	s_waitcnt lgkmcnt(0)
	v_lshl_add_u64 v[18:19], v[18:19], 1, s[4:5]
	global_load_dword v1, v[18:19], off
	global_load_ushort v24, v[18:19], off offset:4
	s_waitcnt vmcnt(3)
	v_and_b32_e32 v18, 0xffff0000, v14
	v_and_b32_e32 v21, 0xffff0000, v15
	v_lshlrev_b32_e32 v20, 16, v14
	v_lshlrev_b32_e32 v22, 16, v15
	;; [unrolled: 1-line block ×4, first 2 shown]
	v_and_b32_e32 v23, 0xffff0000, v16
	v_and_b32_e32 v17, 0xffff0000, v17
	s_waitcnt vmcnt(2)
	v_lshlrev_b32_e32 v11, 16, v11
	s_waitcnt vmcnt(1)
	v_lshlrev_b32_e32 v14, 16, v1
	v_and_b32_e32 v16, 0xffff0000, v1
	v_pk_fma_f32 v[6:7], v[20:21], v[14:15], v[6:7] op_sel_hi:[1,0,1]
	v_fmac_f32_e32 v12, v15, v14
	s_waitcnt vmcnt(0)
	v_lshlrev_b32_e32 v24, 16, v24
	v_pk_fma_f32 v[6:7], v[18:19], v[16:17], v[6:7] op_sel_hi:[1,0,1]
	v_fmac_f32_e32 v12, v17, v16
	v_pk_fma_f32 v[6:7], v[22:23], v[24:25], v[6:7] op_sel_hi:[1,0,1]
	v_fmac_f32_e32 v12, v11, v24
	s_andn2_b64 exec, exec, s[10:11]
	s_cbranch_execnz .LBB108_16
; %bb.17:
	s_or_b64 exec, exec, s[10:11]
.LBB108_18:
	s_or_b64 exec, exec, s[6:7]
	s_cbranch_execz .LBB108_20
	s_branch .LBB108_25
.LBB108_19:
                                        ; implicit-def: $vgpr7
                                        ; implicit-def: $vgpr12
.LBB108_20:
	v_mov_b32_e32 v7, 0
	v_mov_b32_e32 v6, v7
	;; [unrolled: 1-line block ×3, first 2 shown]
	s_and_saveexec_b64 s[6:7], s[2:3]
	s_cbranch_execz .LBB108_24
; %bb.21:
	v_mov_b32_e32 v12, 0
	s_mov_b64 s[2:3], 0
	s_mov_b64 s[10:11], 0x240
	v_mov_b32_e32 v7, 0
	v_mov_b32_e32 v6, v12
.LBB108_22:                             ; =>This Inner Loop Header: Depth=1
	v_ashrrev_i32_e32 v1, 31, v0
	v_lshl_add_u64 v[14:15], v[0:1], 2, s[8:9]
	global_load_dword v1, v[14:15], off
	global_load_dwordx4 v[8:11], v[4:5], off
	global_load_ushort v18, v[4:5], off offset:16
	v_add_u32_e32 v0, 32, v0
	v_cmp_ge_i32_e32 vcc, v0, v13
	v_lshl_add_u64 v[4:5], v[4:5], 0, s[10:11]
	s_or_b64 s[2:3], vcc, s[2:3]
	s_waitcnt vmcnt(2)
	v_subrev_u32_e32 v1, s16, v1
	v_lshl_add_u32 v14, v1, 1, v1
	v_ashrrev_i32_e32 v15, 31, v14
	s_waitcnt lgkmcnt(0)
	v_lshl_add_u64 v[14:15], v[14:15], 1, s[4:5]
	global_load_dword v1, v[14:15], off
	global_load_ushort v19, v[14:15], off offset:4
	s_waitcnt vmcnt(3)
	v_and_b32_e32 v15, 0xffff0000, v8
	v_lshlrev_b32_e32 v14, 16, v8
	v_lshlrev_b32_e32 v21, 16, v9
	;; [unrolled: 1-line block ×3, first 2 shown]
	v_and_b32_e32 v16, 0xffff0000, v9
	v_and_b32_e32 v22, 0xffff0000, v10
	;; [unrolled: 1-line block ×3, first 2 shown]
	v_lshlrev_b32_e32 v8, 16, v11
	s_waitcnt vmcnt(2)
	v_lshlrev_b32_e32 v11, 16, v18
	s_waitcnt vmcnt(1)
	v_lshlrev_b32_e32 v10, 16, v1
	v_and_b32_e32 v18, 0xffff0000, v1
	v_fmac_f32_e32 v12, v21, v10
	v_pk_fma_f32 v[6:7], v[14:15], v[10:11], v[6:7] op_sel_hi:[1,0,1]
	s_waitcnt vmcnt(0)
	v_lshlrev_b32_e32 v20, 16, v19
	v_fmac_f32_e32 v12, v22, v18
	v_pk_fma_f32 v[6:7], v[16:17], v[18:19], v[6:7] op_sel_hi:[1,0,1]
	v_fmac_f32_e32 v12, v11, v20
	v_pk_fma_f32 v[6:7], v[8:9], v[20:21], v[6:7] op_sel_hi:[1,0,1]
	s_andn2_b64 exec, exec, s[2:3]
	s_cbranch_execnz .LBB108_22
; %bb.23:
	s_or_b64 exec, exec, s[2:3]
.LBB108_24:
	s_or_b64 exec, exec, s[6:7]
.LBB108_25:
	v_mov_b32_dpp v0, v6 row_shr:1 row_mask:0xf bank_mask:0xf
	v_mov_b32_dpp v1, v7 row_shr:1 row_mask:0xf bank_mask:0xf
	v_pk_add_f32 v[0:1], v[6:7], v[0:1]
	v_mov_b32_dpp v6, v12 row_shr:1 row_mask:0xf bank_mask:0xf
	v_add_f32_e32 v6, v12, v6
	v_mov_b32_dpp v4, v0 row_shr:2 row_mask:0xf bank_mask:0xf
	v_mov_b32_dpp v5, v1 row_shr:2 row_mask:0xf bank_mask:0xf
	;; [unrolled: 1-line block ×3, first 2 shown]
	v_pk_add_f32 v[0:1], v[0:1], v[4:5]
	v_add_f32_e32 v6, v6, v7
	v_cmp_eq_u32_e32 vcc, 31, v3
	v_mov_b32_dpp v4, v0 row_shr:4 row_mask:0xf bank_mask:0xe
	v_mov_b32_dpp v5, v1 row_shr:4 row_mask:0xf bank_mask:0xe
	v_mov_b32_dpp v7, v6 row_shr:4 row_mask:0xf bank_mask:0xe
	v_pk_add_f32 v[0:1], v[0:1], v[4:5]
	v_add_f32_e32 v6, v6, v7
	s_nop 0
	v_mov_b32_dpp v4, v0 row_shr:8 row_mask:0xf bank_mask:0xc
	v_mov_b32_dpp v5, v1 row_shr:8 row_mask:0xf bank_mask:0xc
	;; [unrolled: 1-line block ×3, first 2 shown]
	v_pk_add_f32 v[0:1], v[0:1], v[4:5]
	v_add_f32_e32 v6, v6, v7
	s_nop 0
	v_mov_b32_dpp v4, v0 row_bcast:15 row_mask:0xa bank_mask:0xf
	v_mov_b32_dpp v5, v1 row_bcast:15 row_mask:0xa bank_mask:0xf
	;; [unrolled: 1-line block ×3, first 2 shown]
	s_and_b64 exec, exec, vcc
	s_cbranch_execz .LBB108_10
; %bb.26:
	s_load_dwordx2 s[0:1], s[0:1], 0x50
	v_pk_add_f32 v[4:5], v[0:1], v[4:5]
	v_add_f32_e32 v0, v6, v7
	v_cmp_eq_f32_e64 s[2:3], s14, 0
	v_lshl_add_u32 v6, v2, 1, v2
	s_and_b64 vcc, exec, s[2:3]
	v_mul_f32_e32 v2, s12, v0
	v_ashrrev_i32_e32 v7, 31, v6
	s_cbranch_vccz .LBB108_28
; %bb.27:
	s_waitcnt lgkmcnt(0)
	v_lshl_add_u64 v[8:9], v[6:7], 2, s[0:1]
	v_pk_mul_f32 v[0:1], s[12:13], v[4:5] op_sel_hi:[0,1]
	global_store_dwordx3 v[8:9], v[0:2], off
	s_cbranch_execnz .LBB108_10
	s_branch .LBB108_29
.LBB108_28:
.LBB108_29:
	s_waitcnt lgkmcnt(0)
	v_lshl_add_u64 v[10:11], v[6:7], 2, s[0:1]
	global_load_dwordx3 v[6:8], v[10:11], off
	v_pk_mul_f32 v[0:1], s[12:13], v[4:5] op_sel_hi:[0,1]
	s_waitcnt vmcnt(0)
	v_pk_fma_f32 v[0:1], s[14:15], v[6:7], v[0:1] op_sel_hi:[0,1,1]
	v_fmac_f32_e32 v2, s14, v8
	global_store_dwordx3 v[10:11], v[0:2], off
	s_endpgm
	.section	.rodata,"a",@progbits
	.p2align	6, 0x0
	.amdhsa_kernel _ZN9rocsparseL18bsrxmvn_3x3_kernelILj256ELj32Efii18rocsparse_bfloat16S1_fEEvT3_20rocsparse_direction_NS_24const_host_device_scalarIT1_EES2_PKS2_PKT2_SB_S8_PKT4_PKT5_S6_PT6_21rocsparse_index_base_b
		.amdhsa_group_segment_fixed_size 0
		.amdhsa_private_segment_fixed_size 0
		.amdhsa_kernarg_size 96
		.amdhsa_user_sgpr_count 2
		.amdhsa_user_sgpr_dispatch_ptr 0
		.amdhsa_user_sgpr_queue_ptr 0
		.amdhsa_user_sgpr_kernarg_segment_ptr 1
		.amdhsa_user_sgpr_dispatch_id 0
		.amdhsa_user_sgpr_kernarg_preload_length 0
		.amdhsa_user_sgpr_kernarg_preload_offset 0
		.amdhsa_user_sgpr_private_segment_size 0
		.amdhsa_uses_dynamic_stack 0
		.amdhsa_enable_private_segment 0
		.amdhsa_system_sgpr_workgroup_id_x 1
		.amdhsa_system_sgpr_workgroup_id_y 0
		.amdhsa_system_sgpr_workgroup_id_z 0
		.amdhsa_system_sgpr_workgroup_info 0
		.amdhsa_system_vgpr_workitem_id 0
		.amdhsa_next_free_vgpr 26
		.amdhsa_next_free_sgpr 20
		.amdhsa_accum_offset 28
		.amdhsa_reserve_vcc 1
		.amdhsa_float_round_mode_32 0
		.amdhsa_float_round_mode_16_64 0
		.amdhsa_float_denorm_mode_32 3
		.amdhsa_float_denorm_mode_16_64 3
		.amdhsa_dx10_clamp 1
		.amdhsa_ieee_mode 1
		.amdhsa_fp16_overflow 0
		.amdhsa_tg_split 0
		.amdhsa_exception_fp_ieee_invalid_op 0
		.amdhsa_exception_fp_denorm_src 0
		.amdhsa_exception_fp_ieee_div_zero 0
		.amdhsa_exception_fp_ieee_overflow 0
		.amdhsa_exception_fp_ieee_underflow 0
		.amdhsa_exception_fp_ieee_inexact 0
		.amdhsa_exception_int_div_zero 0
	.end_amdhsa_kernel
	.section	.text._ZN9rocsparseL18bsrxmvn_3x3_kernelILj256ELj32Efii18rocsparse_bfloat16S1_fEEvT3_20rocsparse_direction_NS_24const_host_device_scalarIT1_EES2_PKS2_PKT2_SB_S8_PKT4_PKT5_S6_PT6_21rocsparse_index_base_b,"axG",@progbits,_ZN9rocsparseL18bsrxmvn_3x3_kernelILj256ELj32Efii18rocsparse_bfloat16S1_fEEvT3_20rocsparse_direction_NS_24const_host_device_scalarIT1_EES2_PKS2_PKT2_SB_S8_PKT4_PKT5_S6_PT6_21rocsparse_index_base_b,comdat
.Lfunc_end108:
	.size	_ZN9rocsparseL18bsrxmvn_3x3_kernelILj256ELj32Efii18rocsparse_bfloat16S1_fEEvT3_20rocsparse_direction_NS_24const_host_device_scalarIT1_EES2_PKS2_PKT2_SB_S8_PKT4_PKT5_S6_PT6_21rocsparse_index_base_b, .Lfunc_end108-_ZN9rocsparseL18bsrxmvn_3x3_kernelILj256ELj32Efii18rocsparse_bfloat16S1_fEEvT3_20rocsparse_direction_NS_24const_host_device_scalarIT1_EES2_PKS2_PKT2_SB_S8_PKT4_PKT5_S6_PT6_21rocsparse_index_base_b
                                        ; -- End function
	.section	.AMDGPU.csdata,"",@progbits
; Kernel info:
; codeLenInByte = 1312
; NumSgprs: 26
; NumVgprs: 26
; NumAgprs: 0
; TotalNumVgprs: 26
; ScratchSize: 0
; MemoryBound: 0
; FloatMode: 240
; IeeeMode: 1
; LDSByteSize: 0 bytes/workgroup (compile time only)
; SGPRBlocks: 3
; VGPRBlocks: 3
; NumSGPRsForWavesPerEU: 26
; NumVGPRsForWavesPerEU: 26
; AccumOffset: 28
; Occupancy: 8
; WaveLimiterHint : 1
; COMPUTE_PGM_RSRC2:SCRATCH_EN: 0
; COMPUTE_PGM_RSRC2:USER_SGPR: 2
; COMPUTE_PGM_RSRC2:TRAP_HANDLER: 0
; COMPUTE_PGM_RSRC2:TGID_X_EN: 1
; COMPUTE_PGM_RSRC2:TGID_Y_EN: 0
; COMPUTE_PGM_RSRC2:TGID_Z_EN: 0
; COMPUTE_PGM_RSRC2:TIDIG_COMP_CNT: 0
; COMPUTE_PGM_RSRC3_GFX90A:ACCUM_OFFSET: 6
; COMPUTE_PGM_RSRC3_GFX90A:TG_SPLIT: 0
	.section	.text._ZN9rocsparseL18bsrxmvn_3x3_kernelILj256ELj64Efii18rocsparse_bfloat16S1_fEEvT3_20rocsparse_direction_NS_24const_host_device_scalarIT1_EES2_PKS2_PKT2_SB_S8_PKT4_PKT5_S6_PT6_21rocsparse_index_base_b,"axG",@progbits,_ZN9rocsparseL18bsrxmvn_3x3_kernelILj256ELj64Efii18rocsparse_bfloat16S1_fEEvT3_20rocsparse_direction_NS_24const_host_device_scalarIT1_EES2_PKS2_PKT2_SB_S8_PKT4_PKT5_S6_PT6_21rocsparse_index_base_b,comdat
	.globl	_ZN9rocsparseL18bsrxmvn_3x3_kernelILj256ELj64Efii18rocsparse_bfloat16S1_fEEvT3_20rocsparse_direction_NS_24const_host_device_scalarIT1_EES2_PKS2_PKT2_SB_S8_PKT4_PKT5_S6_PT6_21rocsparse_index_base_b ; -- Begin function _ZN9rocsparseL18bsrxmvn_3x3_kernelILj256ELj64Efii18rocsparse_bfloat16S1_fEEvT3_20rocsparse_direction_NS_24const_host_device_scalarIT1_EES2_PKS2_PKT2_SB_S8_PKT4_PKT5_S6_PT6_21rocsparse_index_base_b
	.p2align	8
	.type	_ZN9rocsparseL18bsrxmvn_3x3_kernelILj256ELj64Efii18rocsparse_bfloat16S1_fEEvT3_20rocsparse_direction_NS_24const_host_device_scalarIT1_EES2_PKS2_PKT2_SB_S8_PKT4_PKT5_S6_PT6_21rocsparse_index_base_b,@function
_ZN9rocsparseL18bsrxmvn_3x3_kernelILj256ELj64Efii18rocsparse_bfloat16S1_fEEvT3_20rocsparse_direction_NS_24const_host_device_scalarIT1_EES2_PKS2_PKT2_SB_S8_PKT4_PKT5_S6_PT6_21rocsparse_index_base_b: ; @_ZN9rocsparseL18bsrxmvn_3x3_kernelILj256ELj64Efii18rocsparse_bfloat16S1_fEEvT3_20rocsparse_direction_NS_24const_host_device_scalarIT1_EES2_PKS2_PKT2_SB_S8_PKT4_PKT5_S6_PT6_21rocsparse_index_base_b
; %bb.0:
	s_load_dwordx2 s[16:17], s[0:1], 0x58
	s_load_dwordx2 s[12:13], s[0:1], 0x8
	;; [unrolled: 1-line block ×3, first 2 shown]
	s_waitcnt lgkmcnt(0)
	s_bitcmp1_b32 s17, 0
	s_cselect_b64 s[6:7], -1, 0
	s_xor_b64 s[4:5], s[6:7], -1
	s_and_b64 vcc, exec, s[6:7]
	s_cbranch_vccnz .LBB109_2
; %bb.1:
	s_load_dword s12, s[12:13], 0x0
.LBB109_2:
	s_andn2_b64 vcc, exec, s[4:5]
	s_cbranch_vccnz .LBB109_4
; %bb.3:
	s_load_dword s14, s[14:15], 0x0
.LBB109_4:
	s_waitcnt lgkmcnt(0)
	v_cmp_neq_f32_e64 s[4:5], s12, 0
	v_cmp_neq_f32_e64 s[6:7], s14, 1.0
	s_or_b64 s[4:5], s[4:5], s[6:7]
	s_andn2_b64 vcc, exec, s[4:5]
	s_cbranch_vccnz .LBB109_10
; %bb.5:
	s_load_dwordx2 s[4:5], s[0:1], 0x18
	s_load_dwordx2 s[18:19], s[0:1], 0x0
	v_lshrrev_b32_e32 v1, 6, v0
	v_lshl_or_b32 v2, s2, 2, v1
	s_mov_b64 s[2:3], 0
	s_waitcnt lgkmcnt(0)
	s_cmp_lg_u64 s[4:5], 0
	s_cbranch_scc0 .LBB109_11
; %bb.6:
	s_load_dword s6, s[0:1], 0x10
                                        ; implicit-def: $vgpr1
	s_waitcnt lgkmcnt(0)
	v_cmp_gt_i32_e32 vcc, s6, v2
	s_and_saveexec_b64 s[6:7], vcc
	s_xor_b64 s[6:7], exec, s[6:7]
	s_cbranch_execz .LBB109_8
; %bb.7:
	v_ashrrev_i32_e32 v3, 31, v2
	v_lshl_add_u64 v[4:5], v[2:3], 2, s[4:5]
	global_load_dword v1, v[4:5], off
	s_mov_b64 s[2:3], exec
	s_waitcnt vmcnt(0)
	v_subrev_u32_e32 v1, s16, v1
.LBB109_8:
	s_or_b64 exec, exec, s[6:7]
	s_branch .LBB109_12
.LBB109_9:
	v_cmp_gt_i32_e32 vcc, s18, v2
	s_andn2_b64 s[2:3], s[2:3], exec
	s_and_b64 s[4:5], vcc, exec
	s_or_b64 s[2:3], s[2:3], s[4:5]
	s_and_saveexec_b64 s[4:5], s[2:3]
	s_cbranch_execnz .LBB109_13
.LBB109_10:
	s_endpgm
.LBB109_11:
                                        ; implicit-def: $vgpr1
	s_cbranch_execnz .LBB109_9
.LBB109_12:
	v_mov_b32_e32 v2, v1
	s_and_saveexec_b64 s[4:5], s[2:3]
	s_cbranch_execz .LBB109_10
.LBB109_13:
	s_load_dwordx8 s[4:11], s[0:1], 0x20
	v_ashrrev_i32_e32 v3, 31, v2
	v_lshlrev_b64 v[4:5], 2, v[2:3]
	v_and_b32_e32 v3, 63, v0
	s_waitcnt lgkmcnt(0)
	v_lshl_add_u64 v[6:7], s[4:5], 0, v[4:5]
	s_cmp_eq_u64 s[6:7], 0
	global_load_dword v1, v[6:7], off
	v_lshl_add_u64 v[6:7], v[6:7], 0, 4
	v_lshl_add_u64 v[4:5], s[6:7], 0, v[4:5]
	s_cselect_b64 vcc, -1, 0
	v_cndmask_b32_e32 v5, v5, v7, vcc
	v_cndmask_b32_e32 v4, v4, v6, vcc
	global_load_dword v4, v[4:5], off
	s_load_dwordx2 s[4:5], s[0:1], 0x40
	s_cmp_eq_u32 s19, 1
	s_waitcnt vmcnt(1)
	v_subrev_u32_e32 v0, s16, v1
	v_add_u32_e32 v0, v0, v3
	s_waitcnt vmcnt(0)
	v_subrev_u32_e32 v13, s16, v4
	v_mad_i64_i32 v[4:5], s[2:3], v0, 18, s[10:11]
	v_cmp_lt_i32_e64 s[2:3], v0, v13
	s_cbranch_scc1 .LBB109_19
; %bb.14:
	v_mov_b32_e32 v7, 0
	v_mov_b32_e32 v6, v7
	;; [unrolled: 1-line block ×3, first 2 shown]
	s_and_saveexec_b64 s[6:7], s[2:3]
	s_cbranch_execz .LBB109_18
; %bb.15:
	v_mov_b32_e32 v12, 0
	s_mov_b64 s[10:11], 0
	s_mov_b64 s[18:19], 0x480
	v_mov_b64_e32 v[8:9], v[4:5]
	v_mov_b32_e32 v10, v0
	v_mov_b32_e32 v6, 0
	;; [unrolled: 1-line block ×3, first 2 shown]
.LBB109_16:                             ; =>This Inner Loop Header: Depth=1
	v_ashrrev_i32_e32 v11, 31, v10
	v_lshl_add_u64 v[18:19], v[10:11], 2, s[8:9]
	global_load_dword v1, v[18:19], off
	global_load_dwordx4 v[14:17], v[8:9], off
	global_load_ushort v11, v[8:9], off offset:16
	v_add_u32_e32 v10, 64, v10
	v_cmp_ge_i32_e32 vcc, v10, v13
	v_lshl_add_u64 v[8:9], v[8:9], 0, s[18:19]
	s_or_b64 s[10:11], vcc, s[10:11]
	s_waitcnt vmcnt(2)
	v_subrev_u32_e32 v1, s16, v1
	v_lshl_add_u32 v18, v1, 1, v1
	v_ashrrev_i32_e32 v19, 31, v18
	s_waitcnt lgkmcnt(0)
	v_lshl_add_u64 v[18:19], v[18:19], 1, s[4:5]
	global_load_dword v1, v[18:19], off
	global_load_ushort v23, v[18:19], off offset:4
	s_waitcnt vmcnt(3)
	v_lshlrev_b32_e32 v18, 16, v15
	v_and_b32_e32 v21, 0xffff0000, v15
	v_lshlrev_b32_e32 v20, 16, v14
	v_lshlrev_b32_e32 v15, 16, v16
	v_and_b32_e32 v19, 0xffff0000, v16
	v_lshlrev_b32_e32 v25, 16, v17
	v_and_b32_e32 v17, 0xffff0000, v17
	v_and_b32_e32 v14, 0xffff0000, v14
	s_waitcnt vmcnt(2)
	v_lshlrev_b32_e32 v11, 16, v11
	s_waitcnt vmcnt(1)
	v_lshlrev_b32_e32 v16, 16, v1
	v_and_b32_e32 v22, 0xffff0000, v1
	v_pk_fma_f32 v[6:7], v[20:21], v[16:17], v[6:7] op_sel_hi:[1,0,1]
	v_fmac_f32_e32 v12, v25, v16
	s_waitcnt vmcnt(0)
	v_lshlrev_b32_e32 v24, 16, v23
	v_pk_fma_f32 v[6:7], v[14:15], v[22:23], v[6:7] op_sel_hi:[1,0,1]
	v_fmac_f32_e32 v12, v17, v22
	v_pk_fma_f32 v[6:7], v[18:19], v[24:25], v[6:7] op_sel_hi:[1,0,1]
	v_fmac_f32_e32 v12, v11, v24
	s_andn2_b64 exec, exec, s[10:11]
	s_cbranch_execnz .LBB109_16
; %bb.17:
	s_or_b64 exec, exec, s[10:11]
.LBB109_18:
	s_or_b64 exec, exec, s[6:7]
	s_cbranch_execz .LBB109_20
	s_branch .LBB109_25
.LBB109_19:
                                        ; implicit-def: $vgpr7
                                        ; implicit-def: $vgpr12
.LBB109_20:
	v_mov_b32_e32 v7, 0
	v_mov_b32_e32 v6, v7
	;; [unrolled: 1-line block ×3, first 2 shown]
	s_and_saveexec_b64 s[6:7], s[2:3]
	s_cbranch_execz .LBB109_24
; %bb.21:
	v_mov_b32_e32 v12, 0
	s_mov_b64 s[2:3], 0
	s_mov_b64 s[10:11], 0x480
	v_mov_b32_e32 v6, 0
	v_mov_b32_e32 v7, v12
.LBB109_22:                             ; =>This Inner Loop Header: Depth=1
	v_ashrrev_i32_e32 v1, 31, v0
	v_lshl_add_u64 v[14:15], v[0:1], 2, s[8:9]
	global_load_dword v1, v[14:15], off
	global_load_dwordx4 v[8:11], v[4:5], off
	global_load_ushort v18, v[4:5], off offset:16
	v_add_u32_e32 v0, 64, v0
	v_cmp_ge_i32_e32 vcc, v0, v13
	v_lshl_add_u64 v[4:5], v[4:5], 0, s[10:11]
	s_or_b64 s[2:3], vcc, s[2:3]
	s_waitcnt vmcnt(2)
	v_subrev_u32_e32 v1, s16, v1
	v_lshl_add_u32 v14, v1, 1, v1
	v_ashrrev_i32_e32 v15, 31, v14
	s_waitcnt lgkmcnt(0)
	v_lshl_add_u64 v[14:15], v[14:15], 1, s[4:5]
	global_load_dword v1, v[14:15], off
	global_load_ushort v19, v[14:15], off offset:4
	s_waitcnt vmcnt(3)
	v_and_b32_e32 v15, 0xffff0000, v8
	v_lshlrev_b32_e32 v14, 16, v8
	v_lshlrev_b32_e32 v21, 16, v9
	;; [unrolled: 1-line block ×3, first 2 shown]
	v_and_b32_e32 v16, 0xffff0000, v9
	v_and_b32_e32 v22, 0xffff0000, v10
	;; [unrolled: 1-line block ×3, first 2 shown]
	v_lshlrev_b32_e32 v8, 16, v11
	s_waitcnt vmcnt(2)
	v_lshlrev_b32_e32 v11, 16, v18
	s_waitcnt vmcnt(1)
	v_lshlrev_b32_e32 v10, 16, v1
	v_and_b32_e32 v18, 0xffff0000, v1
	v_pk_fma_f32 v[6:7], v[14:15], v[10:11], v[6:7] op_sel_hi:[1,0,1]
	v_fmac_f32_e32 v12, v21, v10
	s_waitcnt vmcnt(0)
	v_lshlrev_b32_e32 v20, 16, v19
	v_fmac_f32_e32 v12, v22, v18
	v_pk_fma_f32 v[6:7], v[16:17], v[18:19], v[6:7] op_sel_hi:[1,0,1]
	v_fmac_f32_e32 v12, v11, v20
	v_pk_fma_f32 v[6:7], v[8:9], v[20:21], v[6:7] op_sel_hi:[1,0,1]
	s_andn2_b64 exec, exec, s[2:3]
	s_cbranch_execnz .LBB109_22
; %bb.23:
	s_or_b64 exec, exec, s[2:3]
.LBB109_24:
	s_or_b64 exec, exec, s[6:7]
.LBB109_25:
	v_mov_b32_dpp v0, v6 row_shr:1 row_mask:0xf bank_mask:0xf
	v_mov_b32_dpp v1, v7 row_shr:1 row_mask:0xf bank_mask:0xf
	v_pk_add_f32 v[0:1], v[6:7], v[0:1]
	v_mov_b32_dpp v6, v12 row_shr:1 row_mask:0xf bank_mask:0xf
	v_add_f32_e32 v6, v12, v6
	v_mov_b32_dpp v4, v0 row_shr:2 row_mask:0xf bank_mask:0xf
	v_mov_b32_dpp v5, v1 row_shr:2 row_mask:0xf bank_mask:0xf
	;; [unrolled: 1-line block ×3, first 2 shown]
	v_pk_add_f32 v[0:1], v[0:1], v[4:5]
	v_add_f32_e32 v6, v6, v7
	v_cmp_eq_u32_e32 vcc, 63, v3
	v_mov_b32_dpp v4, v0 row_shr:4 row_mask:0xf bank_mask:0xe
	v_mov_b32_dpp v5, v1 row_shr:4 row_mask:0xf bank_mask:0xe
	;; [unrolled: 1-line block ×3, first 2 shown]
	v_pk_add_f32 v[0:1], v[0:1], v[4:5]
	v_add_f32_e32 v6, v6, v7
	s_nop 0
	v_mov_b32_dpp v4, v0 row_shr:8 row_mask:0xf bank_mask:0xc
	v_mov_b32_dpp v5, v1 row_shr:8 row_mask:0xf bank_mask:0xc
	;; [unrolled: 1-line block ×3, first 2 shown]
	v_pk_add_f32 v[0:1], v[0:1], v[4:5]
	v_add_f32_e32 v6, v6, v7
	s_nop 0
	v_mov_b32_dpp v4, v0 row_bcast:15 row_mask:0xa bank_mask:0xf
	v_mov_b32_dpp v5, v1 row_bcast:15 row_mask:0xa bank_mask:0xf
	;; [unrolled: 1-line block ×3, first 2 shown]
	v_pk_add_f32 v[0:1], v[0:1], v[4:5]
	v_add_f32_e32 v6, v6, v7
	s_nop 0
	v_mov_b32_dpp v4, v0 row_bcast:31 row_mask:0xc bank_mask:0xf
	v_mov_b32_dpp v5, v1 row_bcast:31 row_mask:0xc bank_mask:0xf
	;; [unrolled: 1-line block ×3, first 2 shown]
	s_and_b64 exec, exec, vcc
	s_cbranch_execz .LBB109_10
; %bb.26:
	s_load_dwordx2 s[0:1], s[0:1], 0x50
	v_pk_add_f32 v[4:5], v[0:1], v[4:5]
	v_add_f32_e32 v0, v6, v7
	v_cmp_eq_f32_e64 s[2:3], s14, 0
	v_lshl_add_u32 v6, v2, 1, v2
	s_and_b64 vcc, exec, s[2:3]
	v_mul_f32_e32 v2, s12, v0
	v_ashrrev_i32_e32 v7, 31, v6
	s_cbranch_vccz .LBB109_28
; %bb.27:
	s_waitcnt lgkmcnt(0)
	v_lshl_add_u64 v[8:9], v[6:7], 2, s[0:1]
	v_pk_mul_f32 v[0:1], s[12:13], v[4:5] op_sel_hi:[0,1]
	global_store_dwordx3 v[8:9], v[0:2], off
	s_cbranch_execnz .LBB109_10
	s_branch .LBB109_29
.LBB109_28:
.LBB109_29:
	s_waitcnt lgkmcnt(0)
	v_lshl_add_u64 v[10:11], v[6:7], 2, s[0:1]
	global_load_dwordx3 v[6:8], v[10:11], off
	v_pk_mul_f32 v[0:1], s[12:13], v[4:5] op_sel_hi:[0,1]
	s_waitcnt vmcnt(0)
	v_pk_fma_f32 v[0:1], s[14:15], v[6:7], v[0:1] op_sel_hi:[0,1,1]
	v_fmac_f32_e32 v2, s14, v8
	global_store_dwordx3 v[10:11], v[0:2], off
	s_endpgm
	.section	.rodata,"a",@progbits
	.p2align	6, 0x0
	.amdhsa_kernel _ZN9rocsparseL18bsrxmvn_3x3_kernelILj256ELj64Efii18rocsparse_bfloat16S1_fEEvT3_20rocsparse_direction_NS_24const_host_device_scalarIT1_EES2_PKS2_PKT2_SB_S8_PKT4_PKT5_S6_PT6_21rocsparse_index_base_b
		.amdhsa_group_segment_fixed_size 0
		.amdhsa_private_segment_fixed_size 0
		.amdhsa_kernarg_size 96
		.amdhsa_user_sgpr_count 2
		.amdhsa_user_sgpr_dispatch_ptr 0
		.amdhsa_user_sgpr_queue_ptr 0
		.amdhsa_user_sgpr_kernarg_segment_ptr 1
		.amdhsa_user_sgpr_dispatch_id 0
		.amdhsa_user_sgpr_kernarg_preload_length 0
		.amdhsa_user_sgpr_kernarg_preload_offset 0
		.amdhsa_user_sgpr_private_segment_size 0
		.amdhsa_uses_dynamic_stack 0
		.amdhsa_enable_private_segment 0
		.amdhsa_system_sgpr_workgroup_id_x 1
		.amdhsa_system_sgpr_workgroup_id_y 0
		.amdhsa_system_sgpr_workgroup_id_z 0
		.amdhsa_system_sgpr_workgroup_info 0
		.amdhsa_system_vgpr_workitem_id 0
		.amdhsa_next_free_vgpr 26
		.amdhsa_next_free_sgpr 20
		.amdhsa_accum_offset 28
		.amdhsa_reserve_vcc 1
		.amdhsa_float_round_mode_32 0
		.amdhsa_float_round_mode_16_64 0
		.amdhsa_float_denorm_mode_32 3
		.amdhsa_float_denorm_mode_16_64 3
		.amdhsa_dx10_clamp 1
		.amdhsa_ieee_mode 1
		.amdhsa_fp16_overflow 0
		.amdhsa_tg_split 0
		.amdhsa_exception_fp_ieee_invalid_op 0
		.amdhsa_exception_fp_denorm_src 0
		.amdhsa_exception_fp_ieee_div_zero 0
		.amdhsa_exception_fp_ieee_overflow 0
		.amdhsa_exception_fp_ieee_underflow 0
		.amdhsa_exception_fp_ieee_inexact 0
		.amdhsa_exception_int_div_zero 0
	.end_amdhsa_kernel
	.section	.text._ZN9rocsparseL18bsrxmvn_3x3_kernelILj256ELj64Efii18rocsparse_bfloat16S1_fEEvT3_20rocsparse_direction_NS_24const_host_device_scalarIT1_EES2_PKS2_PKT2_SB_S8_PKT4_PKT5_S6_PT6_21rocsparse_index_base_b,"axG",@progbits,_ZN9rocsparseL18bsrxmvn_3x3_kernelILj256ELj64Efii18rocsparse_bfloat16S1_fEEvT3_20rocsparse_direction_NS_24const_host_device_scalarIT1_EES2_PKS2_PKT2_SB_S8_PKT4_PKT5_S6_PT6_21rocsparse_index_base_b,comdat
.Lfunc_end109:
	.size	_ZN9rocsparseL18bsrxmvn_3x3_kernelILj256ELj64Efii18rocsparse_bfloat16S1_fEEvT3_20rocsparse_direction_NS_24const_host_device_scalarIT1_EES2_PKS2_PKT2_SB_S8_PKT4_PKT5_S6_PT6_21rocsparse_index_base_b, .Lfunc_end109-_ZN9rocsparseL18bsrxmvn_3x3_kernelILj256ELj64Efii18rocsparse_bfloat16S1_fEEvT3_20rocsparse_direction_NS_24const_host_device_scalarIT1_EES2_PKS2_PKT2_SB_S8_PKT4_PKT5_S6_PT6_21rocsparse_index_base_b
                                        ; -- End function
	.section	.AMDGPU.csdata,"",@progbits
; Kernel info:
; codeLenInByte = 1352
; NumSgprs: 26
; NumVgprs: 26
; NumAgprs: 0
; TotalNumVgprs: 26
; ScratchSize: 0
; MemoryBound: 0
; FloatMode: 240
; IeeeMode: 1
; LDSByteSize: 0 bytes/workgroup (compile time only)
; SGPRBlocks: 3
; VGPRBlocks: 3
; NumSGPRsForWavesPerEU: 26
; NumVGPRsForWavesPerEU: 26
; AccumOffset: 28
; Occupancy: 8
; WaveLimiterHint : 1
; COMPUTE_PGM_RSRC2:SCRATCH_EN: 0
; COMPUTE_PGM_RSRC2:USER_SGPR: 2
; COMPUTE_PGM_RSRC2:TRAP_HANDLER: 0
; COMPUTE_PGM_RSRC2:TGID_X_EN: 1
; COMPUTE_PGM_RSRC2:TGID_Y_EN: 0
; COMPUTE_PGM_RSRC2:TGID_Z_EN: 0
; COMPUTE_PGM_RSRC2:TIDIG_COMP_CNT: 0
; COMPUTE_PGM_RSRC3_GFX90A:ACCUM_OFFSET: 6
; COMPUTE_PGM_RSRC3_GFX90A:TG_SPLIT: 0
	.section	.text._ZN9rocsparseL18bsrxmvn_3x3_kernelILj256ELj4Efli18rocsparse_bfloat16S1_fEEvT3_20rocsparse_direction_NS_24const_host_device_scalarIT1_EES2_PKS2_PKT2_SB_S8_PKT4_PKT5_S6_PT6_21rocsparse_index_base_b,"axG",@progbits,_ZN9rocsparseL18bsrxmvn_3x3_kernelILj256ELj4Efli18rocsparse_bfloat16S1_fEEvT3_20rocsparse_direction_NS_24const_host_device_scalarIT1_EES2_PKS2_PKT2_SB_S8_PKT4_PKT5_S6_PT6_21rocsparse_index_base_b,comdat
	.globl	_ZN9rocsparseL18bsrxmvn_3x3_kernelILj256ELj4Efli18rocsparse_bfloat16S1_fEEvT3_20rocsparse_direction_NS_24const_host_device_scalarIT1_EES2_PKS2_PKT2_SB_S8_PKT4_PKT5_S6_PT6_21rocsparse_index_base_b ; -- Begin function _ZN9rocsparseL18bsrxmvn_3x3_kernelILj256ELj4Efli18rocsparse_bfloat16S1_fEEvT3_20rocsparse_direction_NS_24const_host_device_scalarIT1_EES2_PKS2_PKT2_SB_S8_PKT4_PKT5_S6_PT6_21rocsparse_index_base_b
	.p2align	8
	.type	_ZN9rocsparseL18bsrxmvn_3x3_kernelILj256ELj4Efli18rocsparse_bfloat16S1_fEEvT3_20rocsparse_direction_NS_24const_host_device_scalarIT1_EES2_PKS2_PKT2_SB_S8_PKT4_PKT5_S6_PT6_21rocsparse_index_base_b,@function
_ZN9rocsparseL18bsrxmvn_3x3_kernelILj256ELj4Efli18rocsparse_bfloat16S1_fEEvT3_20rocsparse_direction_NS_24const_host_device_scalarIT1_EES2_PKS2_PKT2_SB_S8_PKT4_PKT5_S6_PT6_21rocsparse_index_base_b: ; @_ZN9rocsparseL18bsrxmvn_3x3_kernelILj256ELj4Efli18rocsparse_bfloat16S1_fEEvT3_20rocsparse_direction_NS_24const_host_device_scalarIT1_EES2_PKS2_PKT2_SB_S8_PKT4_PKT5_S6_PT6_21rocsparse_index_base_b
; %bb.0:
	s_load_dwordx2 s[16:17], s[0:1], 0x58
	s_load_dwordx2 s[12:13], s[0:1], 0x8
	s_load_dwordx2 s[14:15], s[0:1], 0x48
	s_waitcnt lgkmcnt(0)
	s_bitcmp1_b32 s17, 0
	s_cselect_b64 s[6:7], -1, 0
	s_xor_b64 s[4:5], s[6:7], -1
	s_and_b64 vcc, exec, s[6:7]
	s_cbranch_vccnz .LBB110_2
; %bb.1:
	s_load_dword s12, s[12:13], 0x0
.LBB110_2:
	s_andn2_b64 vcc, exec, s[4:5]
	s_cbranch_vccnz .LBB110_4
; %bb.3:
	s_load_dword s14, s[14:15], 0x0
.LBB110_4:
	s_waitcnt lgkmcnt(0)
	v_cmp_neq_f32_e64 s[4:5], s12, 0
	v_cmp_neq_f32_e64 s[6:7], s14, 1.0
	s_or_b64 s[4:5], s[4:5], s[6:7]
	s_andn2_b64 vcc, exec, s[4:5]
	s_cbranch_vccnz .LBB110_10
; %bb.5:
	s_load_dwordx2 s[4:5], s[0:1], 0x18
	s_load_dwordx2 s[18:19], s[0:1], 0x0
	v_lshrrev_b32_e32 v1, 2, v0
	v_lshl_or_b32 v2, s2, 6, v1
	s_mov_b64 s[2:3], 0
	s_waitcnt lgkmcnt(0)
	s_cmp_lg_u64 s[4:5], 0
	s_cbranch_scc0 .LBB110_11
; %bb.6:
	s_load_dword s6, s[0:1], 0x10
                                        ; implicit-def: $vgpr1
	s_waitcnt lgkmcnt(0)
	v_cmp_gt_i32_e32 vcc, s6, v2
	s_and_saveexec_b64 s[6:7], vcc
	s_xor_b64 s[6:7], exec, s[6:7]
	s_cbranch_execz .LBB110_8
; %bb.7:
	v_ashrrev_i32_e32 v3, 31, v2
	v_lshl_add_u64 v[4:5], v[2:3], 2, s[4:5]
	global_load_dword v1, v[4:5], off
	s_mov_b64 s[2:3], exec
	s_waitcnt vmcnt(0)
	v_subrev_u32_e32 v1, s16, v1
.LBB110_8:
	s_or_b64 exec, exec, s[6:7]
	s_branch .LBB110_12
.LBB110_9:
	v_cmp_gt_i32_e32 vcc, s18, v2
	s_andn2_b64 s[2:3], s[2:3], exec
	s_and_b64 s[4:5], vcc, exec
	s_or_b64 s[2:3], s[2:3], s[4:5]
	s_and_saveexec_b64 s[4:5], s[2:3]
	s_cbranch_execnz .LBB110_13
.LBB110_10:
	s_endpgm
.LBB110_11:
                                        ; implicit-def: $vgpr1
	s_cbranch_execnz .LBB110_9
.LBB110_12:
	v_mov_b32_e32 v2, v1
	s_and_saveexec_b64 s[4:5], s[2:3]
	s_cbranch_execz .LBB110_10
.LBB110_13:
	s_load_dwordx8 s[4:11], s[0:1], 0x20
	v_ashrrev_i32_e32 v3, 31, v2
	v_lshlrev_b64 v[4:5], 3, v[2:3]
	v_and_b32_e32 v0, 3, v0
	s_waitcnt lgkmcnt(0)
	v_lshl_add_u64 v[6:7], s[4:5], 0, v[4:5]
	s_cmp_eq_u64 s[6:7], 0
	v_lshl_add_u64 v[4:5], s[6:7], 0, v[4:5]
	global_load_dwordx2 v[8:9], v[6:7], off
	v_lshl_add_u64 v[6:7], v[6:7], 0, 8
	s_cselect_b64 vcc, -1, 0
	v_cndmask_b32_e32 v5, v5, v7, vcc
	v_cndmask_b32_e32 v4, v4, v6, vcc
	global_load_dwordx2 v[10:11], v[4:5], off
	v_mov_b32_e32 v5, 0
	v_mov_b32_e32 v1, v5
	s_load_dwordx2 s[4:5], s[0:1], 0x40
	s_cmp_eq_u32 s19, 1
	s_waitcnt vmcnt(1)
	v_subrev_co_u32_e32 v6, vcc, s16, v8
	s_nop 1
	v_subbrev_co_u32_e32 v7, vcc, 0, v9, vcc
	v_lshl_add_u64 v[6:7], v[6:7], 0, v[0:1]
	s_waitcnt vmcnt(0)
	v_subrev_co_u32_e32 v8, vcc, s16, v10
	s_nop 1
	v_subbrev_co_u32_e32 v9, vcc, 0, v11, vcc
	v_mad_u64_u32 v[10:11], s[2:3], v6, 18, s[10:11]
	v_mov_b32_e32 v4, v11
	v_mad_u64_u32 v[12:13], s[2:3], v7, 18, v[4:5]
	v_mov_b32_e32 v11, v12
	v_cmp_lt_i64_e64 s[2:3], v[6:7], v[8:9]
	s_cbranch_scc1 .LBB110_19
; %bb.14:
	v_mov_b32_e32 v4, 0
	v_mov_b32_e32 v1, 0
	s_and_saveexec_b64 s[6:7], s[2:3]
	s_cbranch_execz .LBB110_18
; %bb.15:
	v_mov_b32_e32 v1, 0
	v_lshl_add_u64 v[12:13], v[6:7], 2, s[8:9]
	s_mov_b64 s[10:11], 0
	s_mov_b64 s[18:19], 0x48
	v_mov_b64_e32 v[14:15], v[10:11]
	v_mov_b64_e32 v[16:17], v[6:7]
	v_mov_b32_e32 v4, 0
	v_mov_b32_e32 v5, v1
.LBB110_16:                             ; =>This Inner Loop Header: Depth=1
	global_load_dword v3, v[12:13], off
	global_load_dwordx4 v[18:21], v[14:15], off
	global_load_ushort v28, v[14:15], off offset:16
	v_lshl_add_u64 v[16:17], v[16:17], 0, 4
	v_cmp_ge_i64_e32 vcc, v[16:17], v[8:9]
	v_lshl_add_u64 v[14:15], v[14:15], 0, s[18:19]
	v_lshl_add_u64 v[12:13], v[12:13], 0, 16
	s_or_b64 s[10:11], vcc, s[10:11]
	s_waitcnt vmcnt(2)
	v_subrev_u32_e32 v3, s16, v3
	v_lshl_add_u32 v22, v3, 1, v3
	v_ashrrev_i32_e32 v23, 31, v22
	s_waitcnt lgkmcnt(0)
	v_lshl_add_u64 v[22:23], v[22:23], 1, s[4:5]
	global_load_dword v3, v[22:23], off
	global_load_ushort v29, v[22:23], off offset:4
	s_waitcnt vmcnt(3)
	v_and_b32_e32 v23, 0xffff0000, v19
	v_lshlrev_b32_e32 v22, 16, v18
	v_and_b32_e32 v24, 0xffff0000, v18
	v_lshlrev_b32_e32 v26, 16, v19
	v_lshlrev_b32_e32 v19, 16, v21
	;; [unrolled: 1-line block ×3, first 2 shown]
	v_and_b32_e32 v27, 0xffff0000, v20
	v_and_b32_e32 v21, 0xffff0000, v21
	s_waitcnt vmcnt(2)
	v_lshlrev_b32_e32 v30, 16, v28
	s_waitcnt vmcnt(1)
	v_lshlrev_b32_e32 v18, 16, v3
	v_and_b32_e32 v20, 0xffff0000, v3
	v_pk_fma_f32 v[4:5], v[22:23], v[18:19], v[4:5] op_sel_hi:[1,0,1]
	v_fmac_f32_e32 v1, v19, v18
	s_waitcnt vmcnt(0)
	v_lshlrev_b32_e32 v28, 16, v29
	v_pk_fma_f32 v[4:5], v[24:25], v[20:21], v[4:5] op_sel_hi:[1,0,1]
	v_fmac_f32_e32 v1, v21, v20
	v_pk_fma_f32 v[4:5], v[26:27], v[28:29], v[4:5] op_sel_hi:[1,0,1]
	v_fmac_f32_e32 v1, v30, v28
	s_andn2_b64 exec, exec, s[10:11]
	s_cbranch_execnz .LBB110_16
; %bb.17:
	s_or_b64 exec, exec, s[10:11]
.LBB110_18:
	s_or_b64 exec, exec, s[6:7]
	s_cbranch_execz .LBB110_20
	s_branch .LBB110_25
.LBB110_19:
                                        ; implicit-def: $vgpr5
                                        ; implicit-def: $vgpr1
.LBB110_20:
	v_mov_b32_e32 v5, 0
	v_mov_b32_e32 v4, v5
	;; [unrolled: 1-line block ×3, first 2 shown]
	s_and_saveexec_b64 s[6:7], s[2:3]
	s_cbranch_execz .LBB110_24
; %bb.21:
	v_mov_b32_e32 v1, 0
	v_lshl_add_u64 v[12:13], v[6:7], 2, s[8:9]
	s_mov_b64 s[2:3], 0
	s_mov_b64 s[8:9], 0x48
	v_mov_b32_e32 v4, 0
	v_mov_b32_e32 v5, v1
.LBB110_22:                             ; =>This Inner Loop Header: Depth=1
	global_load_dword v3, v[12:13], off
	global_load_dwordx4 v[14:17], v[10:11], off
	global_load_ushort v22, v[10:11], off offset:16
	v_lshl_add_u64 v[6:7], v[6:7], 0, 4
	v_cmp_ge_i64_e32 vcc, v[6:7], v[8:9]
	v_lshl_add_u64 v[10:11], v[10:11], 0, s[8:9]
	v_lshl_add_u64 v[12:13], v[12:13], 0, 16
	s_or_b64 s[2:3], vcc, s[2:3]
	s_waitcnt vmcnt(2)
	v_subrev_u32_e32 v3, s16, v3
	v_lshl_add_u32 v18, v3, 1, v3
	v_ashrrev_i32_e32 v19, 31, v18
	s_waitcnt lgkmcnt(0)
	v_lshl_add_u64 v[18:19], v[18:19], 1, s[4:5]
	global_load_dword v3, v[18:19], off
	global_load_ushort v23, v[18:19], off offset:4
	s_waitcnt vmcnt(3)
	v_lshlrev_b32_e32 v25, 16, v15
	v_and_b32_e32 v26, 0xffff0000, v16
	v_and_b32_e32 v19, 0xffff0000, v14
	v_lshlrev_b32_e32 v18, 16, v14
	v_lshlrev_b32_e32 v21, 16, v16
	v_and_b32_e32 v20, 0xffff0000, v15
	v_and_b32_e32 v15, 0xffff0000, v17
	v_lshlrev_b32_e32 v14, 16, v17
	s_waitcnt vmcnt(2)
	v_lshlrev_b32_e32 v17, 16, v22
	s_waitcnt vmcnt(1)
	v_lshlrev_b32_e32 v16, 16, v3
	v_and_b32_e32 v22, 0xffff0000, v3
	v_fmac_f32_e32 v1, v25, v16
	v_pk_fma_f32 v[4:5], v[18:19], v[16:17], v[4:5] op_sel_hi:[1,0,1]
	s_waitcnt vmcnt(0)
	v_lshlrev_b32_e32 v24, 16, v23
	v_fmac_f32_e32 v1, v26, v22
	v_pk_fma_f32 v[4:5], v[20:21], v[22:23], v[4:5] op_sel_hi:[1,0,1]
	v_fmac_f32_e32 v1, v17, v24
	v_pk_fma_f32 v[4:5], v[14:15], v[24:25], v[4:5] op_sel_hi:[1,0,1]
	s_andn2_b64 exec, exec, s[2:3]
	s_cbranch_execnz .LBB110_22
; %bb.23:
	s_or_b64 exec, exec, s[2:3]
.LBB110_24:
	s_or_b64 exec, exec, s[6:7]
.LBB110_25:
	v_mov_b32_dpp v6, v4 row_shr:1 row_mask:0xf bank_mask:0xf
	v_mov_b32_dpp v7, v5 row_shr:1 row_mask:0xf bank_mask:0xf
	;; [unrolled: 1-line block ×3, first 2 shown]
	v_pk_add_f32 v[4:5], v[4:5], v[6:7]
	v_add_f32_e32 v1, v1, v3
	v_cmp_eq_u32_e32 vcc, 3, v0
	v_mov_b32_dpp v6, v4 row_shr:2 row_mask:0xf bank_mask:0xf
	v_mov_b32_dpp v7, v5 row_shr:2 row_mask:0xf bank_mask:0xf
	;; [unrolled: 1-line block ×3, first 2 shown]
	s_and_b64 exec, exec, vcc
	s_cbranch_execz .LBB110_10
; %bb.26:
	s_load_dwordx2 s[0:1], s[0:1], 0x50
	v_pk_add_f32 v[4:5], v[4:5], v[6:7]
	v_add_f32_e32 v0, v1, v3
	v_cmp_eq_f32_e64 s[2:3], s14, 0
	v_lshl_add_u32 v6, v2, 1, v2
	s_and_b64 vcc, exec, s[2:3]
	v_mul_f32_e32 v2, s12, v0
	v_ashrrev_i32_e32 v7, 31, v6
	s_cbranch_vccz .LBB110_28
; %bb.27:
	s_waitcnt lgkmcnt(0)
	v_lshl_add_u64 v[8:9], v[6:7], 2, s[0:1]
	v_pk_mul_f32 v[0:1], s[12:13], v[4:5] op_sel_hi:[0,1]
	global_store_dwordx3 v[8:9], v[0:2], off
	s_cbranch_execnz .LBB110_10
	s_branch .LBB110_29
.LBB110_28:
.LBB110_29:
	s_waitcnt lgkmcnt(0)
	v_lshl_add_u64 v[10:11], v[6:7], 2, s[0:1]
	global_load_dwordx3 v[6:8], v[10:11], off
	v_pk_mul_f32 v[0:1], s[12:13], v[4:5] op_sel_hi:[0,1]
	s_waitcnt vmcnt(0)
	v_pk_fma_f32 v[0:1], s[14:15], v[6:7], v[0:1] op_sel_hi:[0,1,1]
	v_fmac_f32_e32 v2, s14, v8
	global_store_dwordx3 v[10:11], v[0:2], off
	s_endpgm
	.section	.rodata,"a",@progbits
	.p2align	6, 0x0
	.amdhsa_kernel _ZN9rocsparseL18bsrxmvn_3x3_kernelILj256ELj4Efli18rocsparse_bfloat16S1_fEEvT3_20rocsparse_direction_NS_24const_host_device_scalarIT1_EES2_PKS2_PKT2_SB_S8_PKT4_PKT5_S6_PT6_21rocsparse_index_base_b
		.amdhsa_group_segment_fixed_size 0
		.amdhsa_private_segment_fixed_size 0
		.amdhsa_kernarg_size 96
		.amdhsa_user_sgpr_count 2
		.amdhsa_user_sgpr_dispatch_ptr 0
		.amdhsa_user_sgpr_queue_ptr 0
		.amdhsa_user_sgpr_kernarg_segment_ptr 1
		.amdhsa_user_sgpr_dispatch_id 0
		.amdhsa_user_sgpr_kernarg_preload_length 0
		.amdhsa_user_sgpr_kernarg_preload_offset 0
		.amdhsa_user_sgpr_private_segment_size 0
		.amdhsa_uses_dynamic_stack 0
		.amdhsa_enable_private_segment 0
		.amdhsa_system_sgpr_workgroup_id_x 1
		.amdhsa_system_sgpr_workgroup_id_y 0
		.amdhsa_system_sgpr_workgroup_id_z 0
		.amdhsa_system_sgpr_workgroup_info 0
		.amdhsa_system_vgpr_workitem_id 0
		.amdhsa_next_free_vgpr 31
		.amdhsa_next_free_sgpr 20
		.amdhsa_accum_offset 32
		.amdhsa_reserve_vcc 1
		.amdhsa_float_round_mode_32 0
		.amdhsa_float_round_mode_16_64 0
		.amdhsa_float_denorm_mode_32 3
		.amdhsa_float_denorm_mode_16_64 3
		.amdhsa_dx10_clamp 1
		.amdhsa_ieee_mode 1
		.amdhsa_fp16_overflow 0
		.amdhsa_tg_split 0
		.amdhsa_exception_fp_ieee_invalid_op 0
		.amdhsa_exception_fp_denorm_src 0
		.amdhsa_exception_fp_ieee_div_zero 0
		.amdhsa_exception_fp_ieee_overflow 0
		.amdhsa_exception_fp_ieee_underflow 0
		.amdhsa_exception_fp_ieee_inexact 0
		.amdhsa_exception_int_div_zero 0
	.end_amdhsa_kernel
	.section	.text._ZN9rocsparseL18bsrxmvn_3x3_kernelILj256ELj4Efli18rocsparse_bfloat16S1_fEEvT3_20rocsparse_direction_NS_24const_host_device_scalarIT1_EES2_PKS2_PKT2_SB_S8_PKT4_PKT5_S6_PT6_21rocsparse_index_base_b,"axG",@progbits,_ZN9rocsparseL18bsrxmvn_3x3_kernelILj256ELj4Efli18rocsparse_bfloat16S1_fEEvT3_20rocsparse_direction_NS_24const_host_device_scalarIT1_EES2_PKS2_PKT2_SB_S8_PKT4_PKT5_S6_PT6_21rocsparse_index_base_b,comdat
.Lfunc_end110:
	.size	_ZN9rocsparseL18bsrxmvn_3x3_kernelILj256ELj4Efli18rocsparse_bfloat16S1_fEEvT3_20rocsparse_direction_NS_24const_host_device_scalarIT1_EES2_PKS2_PKT2_SB_S8_PKT4_PKT5_S6_PT6_21rocsparse_index_base_b, .Lfunc_end110-_ZN9rocsparseL18bsrxmvn_3x3_kernelILj256ELj4Efli18rocsparse_bfloat16S1_fEEvT3_20rocsparse_direction_NS_24const_host_device_scalarIT1_EES2_PKS2_PKT2_SB_S8_PKT4_PKT5_S6_PT6_21rocsparse_index_base_b
                                        ; -- End function
	.section	.AMDGPU.csdata,"",@progbits
; Kernel info:
; codeLenInByte = 1252
; NumSgprs: 26
; NumVgprs: 31
; NumAgprs: 0
; TotalNumVgprs: 31
; ScratchSize: 0
; MemoryBound: 0
; FloatMode: 240
; IeeeMode: 1
; LDSByteSize: 0 bytes/workgroup (compile time only)
; SGPRBlocks: 3
; VGPRBlocks: 3
; NumSGPRsForWavesPerEU: 26
; NumVGPRsForWavesPerEU: 31
; AccumOffset: 32
; Occupancy: 8
; WaveLimiterHint : 1
; COMPUTE_PGM_RSRC2:SCRATCH_EN: 0
; COMPUTE_PGM_RSRC2:USER_SGPR: 2
; COMPUTE_PGM_RSRC2:TRAP_HANDLER: 0
; COMPUTE_PGM_RSRC2:TGID_X_EN: 1
; COMPUTE_PGM_RSRC2:TGID_Y_EN: 0
; COMPUTE_PGM_RSRC2:TGID_Z_EN: 0
; COMPUTE_PGM_RSRC2:TIDIG_COMP_CNT: 0
; COMPUTE_PGM_RSRC3_GFX90A:ACCUM_OFFSET: 7
; COMPUTE_PGM_RSRC3_GFX90A:TG_SPLIT: 0
	.section	.text._ZN9rocsparseL18bsrxmvn_3x3_kernelILj256ELj8Efli18rocsparse_bfloat16S1_fEEvT3_20rocsparse_direction_NS_24const_host_device_scalarIT1_EES2_PKS2_PKT2_SB_S8_PKT4_PKT5_S6_PT6_21rocsparse_index_base_b,"axG",@progbits,_ZN9rocsparseL18bsrxmvn_3x3_kernelILj256ELj8Efli18rocsparse_bfloat16S1_fEEvT3_20rocsparse_direction_NS_24const_host_device_scalarIT1_EES2_PKS2_PKT2_SB_S8_PKT4_PKT5_S6_PT6_21rocsparse_index_base_b,comdat
	.globl	_ZN9rocsparseL18bsrxmvn_3x3_kernelILj256ELj8Efli18rocsparse_bfloat16S1_fEEvT3_20rocsparse_direction_NS_24const_host_device_scalarIT1_EES2_PKS2_PKT2_SB_S8_PKT4_PKT5_S6_PT6_21rocsparse_index_base_b ; -- Begin function _ZN9rocsparseL18bsrxmvn_3x3_kernelILj256ELj8Efli18rocsparse_bfloat16S1_fEEvT3_20rocsparse_direction_NS_24const_host_device_scalarIT1_EES2_PKS2_PKT2_SB_S8_PKT4_PKT5_S6_PT6_21rocsparse_index_base_b
	.p2align	8
	.type	_ZN9rocsparseL18bsrxmvn_3x3_kernelILj256ELj8Efli18rocsparse_bfloat16S1_fEEvT3_20rocsparse_direction_NS_24const_host_device_scalarIT1_EES2_PKS2_PKT2_SB_S8_PKT4_PKT5_S6_PT6_21rocsparse_index_base_b,@function
_ZN9rocsparseL18bsrxmvn_3x3_kernelILj256ELj8Efli18rocsparse_bfloat16S1_fEEvT3_20rocsparse_direction_NS_24const_host_device_scalarIT1_EES2_PKS2_PKT2_SB_S8_PKT4_PKT5_S6_PT6_21rocsparse_index_base_b: ; @_ZN9rocsparseL18bsrxmvn_3x3_kernelILj256ELj8Efli18rocsparse_bfloat16S1_fEEvT3_20rocsparse_direction_NS_24const_host_device_scalarIT1_EES2_PKS2_PKT2_SB_S8_PKT4_PKT5_S6_PT6_21rocsparse_index_base_b
; %bb.0:
	s_load_dwordx2 s[16:17], s[0:1], 0x58
	s_load_dwordx2 s[12:13], s[0:1], 0x8
	;; [unrolled: 1-line block ×3, first 2 shown]
	s_waitcnt lgkmcnt(0)
	s_bitcmp1_b32 s17, 0
	s_cselect_b64 s[6:7], -1, 0
	s_xor_b64 s[4:5], s[6:7], -1
	s_and_b64 vcc, exec, s[6:7]
	s_cbranch_vccnz .LBB111_2
; %bb.1:
	s_load_dword s12, s[12:13], 0x0
.LBB111_2:
	s_andn2_b64 vcc, exec, s[4:5]
	s_cbranch_vccnz .LBB111_4
; %bb.3:
	s_load_dword s14, s[14:15], 0x0
.LBB111_4:
	s_waitcnt lgkmcnt(0)
	v_cmp_neq_f32_e64 s[4:5], s12, 0
	v_cmp_neq_f32_e64 s[6:7], s14, 1.0
	s_or_b64 s[4:5], s[4:5], s[6:7]
	s_andn2_b64 vcc, exec, s[4:5]
	s_cbranch_vccnz .LBB111_10
; %bb.5:
	s_load_dwordx2 s[4:5], s[0:1], 0x18
	s_load_dwordx2 s[18:19], s[0:1], 0x0
	v_lshrrev_b32_e32 v1, 3, v0
	v_lshl_or_b32 v2, s2, 5, v1
	s_mov_b64 s[2:3], 0
	s_waitcnt lgkmcnt(0)
	s_cmp_lg_u64 s[4:5], 0
	s_cbranch_scc0 .LBB111_11
; %bb.6:
	s_load_dword s6, s[0:1], 0x10
                                        ; implicit-def: $vgpr1
	s_waitcnt lgkmcnt(0)
	v_cmp_gt_i32_e32 vcc, s6, v2
	s_and_saveexec_b64 s[6:7], vcc
	s_xor_b64 s[6:7], exec, s[6:7]
	s_cbranch_execz .LBB111_8
; %bb.7:
	v_ashrrev_i32_e32 v3, 31, v2
	v_lshl_add_u64 v[4:5], v[2:3], 2, s[4:5]
	global_load_dword v1, v[4:5], off
	s_mov_b64 s[2:3], exec
	s_waitcnt vmcnt(0)
	v_subrev_u32_e32 v1, s16, v1
.LBB111_8:
	s_or_b64 exec, exec, s[6:7]
	s_branch .LBB111_12
.LBB111_9:
	v_cmp_gt_i32_e32 vcc, s18, v2
	s_andn2_b64 s[2:3], s[2:3], exec
	s_and_b64 s[4:5], vcc, exec
	s_or_b64 s[2:3], s[2:3], s[4:5]
	s_and_saveexec_b64 s[4:5], s[2:3]
	s_cbranch_execnz .LBB111_13
.LBB111_10:
	s_endpgm
.LBB111_11:
                                        ; implicit-def: $vgpr1
	s_cbranch_execnz .LBB111_9
.LBB111_12:
	v_mov_b32_e32 v2, v1
	s_and_saveexec_b64 s[4:5], s[2:3]
	s_cbranch_execz .LBB111_10
.LBB111_13:
	s_load_dwordx8 s[4:11], s[0:1], 0x20
	v_ashrrev_i32_e32 v3, 31, v2
	v_lshlrev_b64 v[4:5], 3, v[2:3]
	v_and_b32_e32 v0, 7, v0
	s_waitcnt lgkmcnt(0)
	v_lshl_add_u64 v[6:7], s[4:5], 0, v[4:5]
	s_cmp_eq_u64 s[6:7], 0
	v_lshl_add_u64 v[4:5], s[6:7], 0, v[4:5]
	global_load_dwordx2 v[8:9], v[6:7], off
	v_lshl_add_u64 v[6:7], v[6:7], 0, 8
	s_cselect_b64 vcc, -1, 0
	v_cndmask_b32_e32 v5, v5, v7, vcc
	v_cndmask_b32_e32 v4, v4, v6, vcc
	global_load_dwordx2 v[10:11], v[4:5], off
	v_mov_b32_e32 v5, 0
	v_mov_b32_e32 v1, v5
	s_load_dwordx2 s[4:5], s[0:1], 0x40
	s_cmp_eq_u32 s19, 1
	s_waitcnt vmcnt(1)
	v_subrev_co_u32_e32 v6, vcc, s16, v8
	s_nop 1
	v_subbrev_co_u32_e32 v7, vcc, 0, v9, vcc
	v_lshl_add_u64 v[6:7], v[6:7], 0, v[0:1]
	s_waitcnt vmcnt(0)
	v_subrev_co_u32_e32 v8, vcc, s16, v10
	s_nop 1
	v_subbrev_co_u32_e32 v9, vcc, 0, v11, vcc
	v_mad_u64_u32 v[10:11], s[2:3], v6, 18, s[10:11]
	v_mov_b32_e32 v4, v11
	v_mad_u64_u32 v[12:13], s[2:3], v7, 18, v[4:5]
	v_mov_b32_e32 v11, v12
	v_cmp_lt_i64_e64 s[2:3], v[6:7], v[8:9]
	s_cbranch_scc1 .LBB111_19
; %bb.14:
	v_mov_b32_e32 v4, 0
	v_mov_b32_e32 v1, 0
	s_and_saveexec_b64 s[6:7], s[2:3]
	s_cbranch_execz .LBB111_18
; %bb.15:
	v_mov_b32_e32 v1, 0
	v_lshl_add_u64 v[12:13], v[6:7], 2, s[8:9]
	s_mov_b64 s[10:11], 0
	s_mov_b64 s[18:19], 0x90
	v_mov_b64_e32 v[14:15], v[10:11]
	v_mov_b64_e32 v[16:17], v[6:7]
	v_mov_b32_e32 v4, 0
	v_mov_b32_e32 v5, v1
.LBB111_16:                             ; =>This Inner Loop Header: Depth=1
	global_load_dword v3, v[12:13], off
	global_load_dwordx4 v[18:21], v[14:15], off
	global_load_ushort v28, v[14:15], off offset:16
	v_lshl_add_u64 v[16:17], v[16:17], 0, 8
	v_cmp_ge_i64_e32 vcc, v[16:17], v[8:9]
	v_lshl_add_u64 v[14:15], v[14:15], 0, s[18:19]
	v_lshl_add_u64 v[12:13], v[12:13], 0, 32
	s_or_b64 s[10:11], vcc, s[10:11]
	s_waitcnt vmcnt(2)
	v_subrev_u32_e32 v3, s16, v3
	v_lshl_add_u32 v22, v3, 1, v3
	v_ashrrev_i32_e32 v23, 31, v22
	s_waitcnt lgkmcnt(0)
	v_lshl_add_u64 v[22:23], v[22:23], 1, s[4:5]
	global_load_dword v3, v[22:23], off
	global_load_ushort v29, v[22:23], off offset:4
	s_waitcnt vmcnt(3)
	v_and_b32_e32 v23, 0xffff0000, v19
	v_lshlrev_b32_e32 v22, 16, v18
	v_and_b32_e32 v24, 0xffff0000, v18
	v_lshlrev_b32_e32 v26, 16, v19
	v_lshlrev_b32_e32 v19, 16, v21
	;; [unrolled: 1-line block ×3, first 2 shown]
	v_and_b32_e32 v27, 0xffff0000, v20
	v_and_b32_e32 v21, 0xffff0000, v21
	s_waitcnt vmcnt(2)
	v_lshlrev_b32_e32 v30, 16, v28
	s_waitcnt vmcnt(1)
	v_lshlrev_b32_e32 v18, 16, v3
	v_and_b32_e32 v20, 0xffff0000, v3
	v_pk_fma_f32 v[4:5], v[22:23], v[18:19], v[4:5] op_sel_hi:[1,0,1]
	v_fmac_f32_e32 v1, v19, v18
	s_waitcnt vmcnt(0)
	v_lshlrev_b32_e32 v28, 16, v29
	v_pk_fma_f32 v[4:5], v[24:25], v[20:21], v[4:5] op_sel_hi:[1,0,1]
	v_fmac_f32_e32 v1, v21, v20
	v_pk_fma_f32 v[4:5], v[26:27], v[28:29], v[4:5] op_sel_hi:[1,0,1]
	v_fmac_f32_e32 v1, v30, v28
	s_andn2_b64 exec, exec, s[10:11]
	s_cbranch_execnz .LBB111_16
; %bb.17:
	s_or_b64 exec, exec, s[10:11]
.LBB111_18:
	s_or_b64 exec, exec, s[6:7]
	s_cbranch_execz .LBB111_20
	s_branch .LBB111_25
.LBB111_19:
                                        ; implicit-def: $vgpr5
                                        ; implicit-def: $vgpr1
.LBB111_20:
	v_mov_b32_e32 v5, 0
	v_mov_b32_e32 v4, v5
	;; [unrolled: 1-line block ×3, first 2 shown]
	s_and_saveexec_b64 s[6:7], s[2:3]
	s_cbranch_execz .LBB111_24
; %bb.21:
	v_mov_b32_e32 v1, 0
	v_lshl_add_u64 v[12:13], v[6:7], 2, s[8:9]
	s_mov_b64 s[2:3], 0
	s_mov_b64 s[8:9], 0x90
	v_mov_b32_e32 v4, 0
	v_mov_b32_e32 v5, v1
.LBB111_22:                             ; =>This Inner Loop Header: Depth=1
	global_load_dword v3, v[12:13], off
	global_load_dwordx4 v[14:17], v[10:11], off
	global_load_ushort v22, v[10:11], off offset:16
	v_lshl_add_u64 v[6:7], v[6:7], 0, 8
	v_cmp_ge_i64_e32 vcc, v[6:7], v[8:9]
	v_lshl_add_u64 v[10:11], v[10:11], 0, s[8:9]
	v_lshl_add_u64 v[12:13], v[12:13], 0, 32
	s_or_b64 s[2:3], vcc, s[2:3]
	s_waitcnt vmcnt(2)
	v_subrev_u32_e32 v3, s16, v3
	v_lshl_add_u32 v18, v3, 1, v3
	v_ashrrev_i32_e32 v19, 31, v18
	s_waitcnt lgkmcnt(0)
	v_lshl_add_u64 v[18:19], v[18:19], 1, s[4:5]
	global_load_dword v3, v[18:19], off
	global_load_ushort v23, v[18:19], off offset:4
	s_waitcnt vmcnt(3)
	v_lshlrev_b32_e32 v25, 16, v15
	v_and_b32_e32 v26, 0xffff0000, v16
	v_and_b32_e32 v19, 0xffff0000, v14
	v_lshlrev_b32_e32 v18, 16, v14
	v_lshlrev_b32_e32 v21, 16, v16
	v_and_b32_e32 v20, 0xffff0000, v15
	v_and_b32_e32 v15, 0xffff0000, v17
	v_lshlrev_b32_e32 v14, 16, v17
	s_waitcnt vmcnt(2)
	v_lshlrev_b32_e32 v17, 16, v22
	s_waitcnt vmcnt(1)
	v_lshlrev_b32_e32 v16, 16, v3
	v_and_b32_e32 v22, 0xffff0000, v3
	v_fmac_f32_e32 v1, v25, v16
	v_pk_fma_f32 v[4:5], v[18:19], v[16:17], v[4:5] op_sel_hi:[1,0,1]
	s_waitcnt vmcnt(0)
	v_lshlrev_b32_e32 v24, 16, v23
	v_fmac_f32_e32 v1, v26, v22
	v_pk_fma_f32 v[4:5], v[20:21], v[22:23], v[4:5] op_sel_hi:[1,0,1]
	v_fmac_f32_e32 v1, v17, v24
	v_pk_fma_f32 v[4:5], v[14:15], v[24:25], v[4:5] op_sel_hi:[1,0,1]
	s_andn2_b64 exec, exec, s[2:3]
	s_cbranch_execnz .LBB111_22
; %bb.23:
	s_or_b64 exec, exec, s[2:3]
.LBB111_24:
	s_or_b64 exec, exec, s[6:7]
.LBB111_25:
	v_mov_b32_dpp v6, v4 row_shr:1 row_mask:0xf bank_mask:0xf
	v_mov_b32_dpp v7, v5 row_shr:1 row_mask:0xf bank_mask:0xf
	;; [unrolled: 1-line block ×3, first 2 shown]
	v_pk_add_f32 v[4:5], v[4:5], v[6:7]
	v_add_f32_e32 v1, v1, v3
	v_cmp_eq_u32_e32 vcc, 7, v0
	v_mov_b32_dpp v6, v4 row_shr:2 row_mask:0xf bank_mask:0xf
	v_mov_b32_dpp v7, v5 row_shr:2 row_mask:0xf bank_mask:0xf
	;; [unrolled: 1-line block ×3, first 2 shown]
	v_pk_add_f32 v[4:5], v[4:5], v[6:7]
	v_add_f32_e32 v1, v1, v3
	s_nop 0
	v_mov_b32_dpp v6, v4 row_shr:4 row_mask:0xf bank_mask:0xe
	v_mov_b32_dpp v7, v5 row_shr:4 row_mask:0xf bank_mask:0xe
	;; [unrolled: 1-line block ×3, first 2 shown]
	s_and_b64 exec, exec, vcc
	s_cbranch_execz .LBB111_10
; %bb.26:
	s_load_dwordx2 s[0:1], s[0:1], 0x50
	v_pk_add_f32 v[4:5], v[4:5], v[6:7]
	v_add_f32_e32 v0, v1, v3
	v_cmp_eq_f32_e64 s[2:3], s14, 0
	v_lshl_add_u32 v6, v2, 1, v2
	s_and_b64 vcc, exec, s[2:3]
	v_mul_f32_e32 v2, s12, v0
	v_ashrrev_i32_e32 v7, 31, v6
	s_cbranch_vccz .LBB111_28
; %bb.27:
	s_waitcnt lgkmcnt(0)
	v_lshl_add_u64 v[8:9], v[6:7], 2, s[0:1]
	v_pk_mul_f32 v[0:1], s[12:13], v[4:5] op_sel_hi:[0,1]
	global_store_dwordx3 v[8:9], v[0:2], off
	s_cbranch_execnz .LBB111_10
	s_branch .LBB111_29
.LBB111_28:
.LBB111_29:
	s_waitcnt lgkmcnt(0)
	v_lshl_add_u64 v[10:11], v[6:7], 2, s[0:1]
	global_load_dwordx3 v[6:8], v[10:11], off
	v_pk_mul_f32 v[0:1], s[12:13], v[4:5] op_sel_hi:[0,1]
	s_waitcnt vmcnt(0)
	v_pk_fma_f32 v[0:1], s[14:15], v[6:7], v[0:1] op_sel_hi:[0,1,1]
	v_fmac_f32_e32 v2, s14, v8
	global_store_dwordx3 v[10:11], v[0:2], off
	s_endpgm
	.section	.rodata,"a",@progbits
	.p2align	6, 0x0
	.amdhsa_kernel _ZN9rocsparseL18bsrxmvn_3x3_kernelILj256ELj8Efli18rocsparse_bfloat16S1_fEEvT3_20rocsparse_direction_NS_24const_host_device_scalarIT1_EES2_PKS2_PKT2_SB_S8_PKT4_PKT5_S6_PT6_21rocsparse_index_base_b
		.amdhsa_group_segment_fixed_size 0
		.amdhsa_private_segment_fixed_size 0
		.amdhsa_kernarg_size 96
		.amdhsa_user_sgpr_count 2
		.amdhsa_user_sgpr_dispatch_ptr 0
		.amdhsa_user_sgpr_queue_ptr 0
		.amdhsa_user_sgpr_kernarg_segment_ptr 1
		.amdhsa_user_sgpr_dispatch_id 0
		.amdhsa_user_sgpr_kernarg_preload_length 0
		.amdhsa_user_sgpr_kernarg_preload_offset 0
		.amdhsa_user_sgpr_private_segment_size 0
		.amdhsa_uses_dynamic_stack 0
		.amdhsa_enable_private_segment 0
		.amdhsa_system_sgpr_workgroup_id_x 1
		.amdhsa_system_sgpr_workgroup_id_y 0
		.amdhsa_system_sgpr_workgroup_id_z 0
		.amdhsa_system_sgpr_workgroup_info 0
		.amdhsa_system_vgpr_workitem_id 0
		.amdhsa_next_free_vgpr 31
		.amdhsa_next_free_sgpr 20
		.amdhsa_accum_offset 32
		.amdhsa_reserve_vcc 1
		.amdhsa_float_round_mode_32 0
		.amdhsa_float_round_mode_16_64 0
		.amdhsa_float_denorm_mode_32 3
		.amdhsa_float_denorm_mode_16_64 3
		.amdhsa_dx10_clamp 1
		.amdhsa_ieee_mode 1
		.amdhsa_fp16_overflow 0
		.amdhsa_tg_split 0
		.amdhsa_exception_fp_ieee_invalid_op 0
		.amdhsa_exception_fp_denorm_src 0
		.amdhsa_exception_fp_ieee_div_zero 0
		.amdhsa_exception_fp_ieee_overflow 0
		.amdhsa_exception_fp_ieee_underflow 0
		.amdhsa_exception_fp_ieee_inexact 0
		.amdhsa_exception_int_div_zero 0
	.end_amdhsa_kernel
	.section	.text._ZN9rocsparseL18bsrxmvn_3x3_kernelILj256ELj8Efli18rocsparse_bfloat16S1_fEEvT3_20rocsparse_direction_NS_24const_host_device_scalarIT1_EES2_PKS2_PKT2_SB_S8_PKT4_PKT5_S6_PT6_21rocsparse_index_base_b,"axG",@progbits,_ZN9rocsparseL18bsrxmvn_3x3_kernelILj256ELj8Efli18rocsparse_bfloat16S1_fEEvT3_20rocsparse_direction_NS_24const_host_device_scalarIT1_EES2_PKS2_PKT2_SB_S8_PKT4_PKT5_S6_PT6_21rocsparse_index_base_b,comdat
.Lfunc_end111:
	.size	_ZN9rocsparseL18bsrxmvn_3x3_kernelILj256ELj8Efli18rocsparse_bfloat16S1_fEEvT3_20rocsparse_direction_NS_24const_host_device_scalarIT1_EES2_PKS2_PKT2_SB_S8_PKT4_PKT5_S6_PT6_21rocsparse_index_base_b, .Lfunc_end111-_ZN9rocsparseL18bsrxmvn_3x3_kernelILj256ELj8Efli18rocsparse_bfloat16S1_fEEvT3_20rocsparse_direction_NS_24const_host_device_scalarIT1_EES2_PKS2_PKT2_SB_S8_PKT4_PKT5_S6_PT6_21rocsparse_index_base_b
                                        ; -- End function
	.section	.AMDGPU.csdata,"",@progbits
; Kernel info:
; codeLenInByte = 1292
; NumSgprs: 26
; NumVgprs: 31
; NumAgprs: 0
; TotalNumVgprs: 31
; ScratchSize: 0
; MemoryBound: 0
; FloatMode: 240
; IeeeMode: 1
; LDSByteSize: 0 bytes/workgroup (compile time only)
; SGPRBlocks: 3
; VGPRBlocks: 3
; NumSGPRsForWavesPerEU: 26
; NumVGPRsForWavesPerEU: 31
; AccumOffset: 32
; Occupancy: 8
; WaveLimiterHint : 1
; COMPUTE_PGM_RSRC2:SCRATCH_EN: 0
; COMPUTE_PGM_RSRC2:USER_SGPR: 2
; COMPUTE_PGM_RSRC2:TRAP_HANDLER: 0
; COMPUTE_PGM_RSRC2:TGID_X_EN: 1
; COMPUTE_PGM_RSRC2:TGID_Y_EN: 0
; COMPUTE_PGM_RSRC2:TGID_Z_EN: 0
; COMPUTE_PGM_RSRC2:TIDIG_COMP_CNT: 0
; COMPUTE_PGM_RSRC3_GFX90A:ACCUM_OFFSET: 7
; COMPUTE_PGM_RSRC3_GFX90A:TG_SPLIT: 0
	.section	.text._ZN9rocsparseL18bsrxmvn_3x3_kernelILj256ELj16Efli18rocsparse_bfloat16S1_fEEvT3_20rocsparse_direction_NS_24const_host_device_scalarIT1_EES2_PKS2_PKT2_SB_S8_PKT4_PKT5_S6_PT6_21rocsparse_index_base_b,"axG",@progbits,_ZN9rocsparseL18bsrxmvn_3x3_kernelILj256ELj16Efli18rocsparse_bfloat16S1_fEEvT3_20rocsparse_direction_NS_24const_host_device_scalarIT1_EES2_PKS2_PKT2_SB_S8_PKT4_PKT5_S6_PT6_21rocsparse_index_base_b,comdat
	.globl	_ZN9rocsparseL18bsrxmvn_3x3_kernelILj256ELj16Efli18rocsparse_bfloat16S1_fEEvT3_20rocsparse_direction_NS_24const_host_device_scalarIT1_EES2_PKS2_PKT2_SB_S8_PKT4_PKT5_S6_PT6_21rocsparse_index_base_b ; -- Begin function _ZN9rocsparseL18bsrxmvn_3x3_kernelILj256ELj16Efli18rocsparse_bfloat16S1_fEEvT3_20rocsparse_direction_NS_24const_host_device_scalarIT1_EES2_PKS2_PKT2_SB_S8_PKT4_PKT5_S6_PT6_21rocsparse_index_base_b
	.p2align	8
	.type	_ZN9rocsparseL18bsrxmvn_3x3_kernelILj256ELj16Efli18rocsparse_bfloat16S1_fEEvT3_20rocsparse_direction_NS_24const_host_device_scalarIT1_EES2_PKS2_PKT2_SB_S8_PKT4_PKT5_S6_PT6_21rocsparse_index_base_b,@function
_ZN9rocsparseL18bsrxmvn_3x3_kernelILj256ELj16Efli18rocsparse_bfloat16S1_fEEvT3_20rocsparse_direction_NS_24const_host_device_scalarIT1_EES2_PKS2_PKT2_SB_S8_PKT4_PKT5_S6_PT6_21rocsparse_index_base_b: ; @_ZN9rocsparseL18bsrxmvn_3x3_kernelILj256ELj16Efli18rocsparse_bfloat16S1_fEEvT3_20rocsparse_direction_NS_24const_host_device_scalarIT1_EES2_PKS2_PKT2_SB_S8_PKT4_PKT5_S6_PT6_21rocsparse_index_base_b
; %bb.0:
	s_load_dwordx2 s[16:17], s[0:1], 0x58
	s_load_dwordx2 s[12:13], s[0:1], 0x8
	;; [unrolled: 1-line block ×3, first 2 shown]
	s_waitcnt lgkmcnt(0)
	s_bitcmp1_b32 s17, 0
	s_cselect_b64 s[6:7], -1, 0
	s_xor_b64 s[4:5], s[6:7], -1
	s_and_b64 vcc, exec, s[6:7]
	s_cbranch_vccnz .LBB112_2
; %bb.1:
	s_load_dword s12, s[12:13], 0x0
.LBB112_2:
	s_andn2_b64 vcc, exec, s[4:5]
	s_cbranch_vccnz .LBB112_4
; %bb.3:
	s_load_dword s14, s[14:15], 0x0
.LBB112_4:
	s_waitcnt lgkmcnt(0)
	v_cmp_neq_f32_e64 s[4:5], s12, 0
	v_cmp_neq_f32_e64 s[6:7], s14, 1.0
	s_or_b64 s[4:5], s[4:5], s[6:7]
	s_andn2_b64 vcc, exec, s[4:5]
	s_cbranch_vccnz .LBB112_10
; %bb.5:
	s_load_dwordx2 s[4:5], s[0:1], 0x18
	s_load_dwordx2 s[18:19], s[0:1], 0x0
	v_lshrrev_b32_e32 v1, 4, v0
	v_lshl_or_b32 v2, s2, 4, v1
	s_mov_b64 s[2:3], 0
	s_waitcnt lgkmcnt(0)
	s_cmp_lg_u64 s[4:5], 0
	s_cbranch_scc0 .LBB112_11
; %bb.6:
	s_load_dword s6, s[0:1], 0x10
                                        ; implicit-def: $vgpr1
	s_waitcnt lgkmcnt(0)
	v_cmp_gt_i32_e32 vcc, s6, v2
	s_and_saveexec_b64 s[6:7], vcc
	s_xor_b64 s[6:7], exec, s[6:7]
	s_cbranch_execz .LBB112_8
; %bb.7:
	v_ashrrev_i32_e32 v3, 31, v2
	v_lshl_add_u64 v[4:5], v[2:3], 2, s[4:5]
	global_load_dword v1, v[4:5], off
	s_mov_b64 s[2:3], exec
	s_waitcnt vmcnt(0)
	v_subrev_u32_e32 v1, s16, v1
.LBB112_8:
	s_or_b64 exec, exec, s[6:7]
	s_branch .LBB112_12
.LBB112_9:
	v_cmp_gt_i32_e32 vcc, s18, v2
	s_andn2_b64 s[2:3], s[2:3], exec
	s_and_b64 s[4:5], vcc, exec
	s_or_b64 s[2:3], s[2:3], s[4:5]
	s_and_saveexec_b64 s[4:5], s[2:3]
	s_cbranch_execnz .LBB112_13
.LBB112_10:
	s_endpgm
.LBB112_11:
                                        ; implicit-def: $vgpr1
	s_cbranch_execnz .LBB112_9
.LBB112_12:
	v_mov_b32_e32 v2, v1
	s_and_saveexec_b64 s[4:5], s[2:3]
	s_cbranch_execz .LBB112_10
.LBB112_13:
	s_load_dwordx8 s[4:11], s[0:1], 0x20
	v_ashrrev_i32_e32 v3, 31, v2
	v_lshlrev_b64 v[4:5], 3, v[2:3]
	v_and_b32_e32 v0, 15, v0
	s_waitcnt lgkmcnt(0)
	v_lshl_add_u64 v[6:7], s[4:5], 0, v[4:5]
	s_cmp_eq_u64 s[6:7], 0
	v_lshl_add_u64 v[4:5], s[6:7], 0, v[4:5]
	global_load_dwordx2 v[8:9], v[6:7], off
	v_lshl_add_u64 v[6:7], v[6:7], 0, 8
	s_cselect_b64 vcc, -1, 0
	v_cndmask_b32_e32 v5, v5, v7, vcc
	v_cndmask_b32_e32 v4, v4, v6, vcc
	global_load_dwordx2 v[10:11], v[4:5], off
	v_mov_b32_e32 v5, 0
	v_mov_b32_e32 v1, v5
	s_load_dwordx2 s[4:5], s[0:1], 0x40
	s_cmp_eq_u32 s19, 1
	s_waitcnt vmcnt(1)
	v_subrev_co_u32_e32 v6, vcc, s16, v8
	s_nop 1
	v_subbrev_co_u32_e32 v7, vcc, 0, v9, vcc
	v_lshl_add_u64 v[6:7], v[6:7], 0, v[0:1]
	s_waitcnt vmcnt(0)
	v_subrev_co_u32_e32 v8, vcc, s16, v10
	s_nop 1
	v_subbrev_co_u32_e32 v9, vcc, 0, v11, vcc
	v_mad_u64_u32 v[10:11], s[2:3], v6, 18, s[10:11]
	v_mov_b32_e32 v4, v11
	v_mad_u64_u32 v[12:13], s[2:3], v7, 18, v[4:5]
	v_mov_b32_e32 v11, v12
	v_cmp_lt_i64_e64 s[2:3], v[6:7], v[8:9]
	s_cbranch_scc1 .LBB112_19
; %bb.14:
	v_mov_b32_e32 v4, 0
	v_mov_b32_e32 v1, 0
	s_and_saveexec_b64 s[6:7], s[2:3]
	s_cbranch_execz .LBB112_18
; %bb.15:
	v_mov_b32_e32 v1, 0
	v_lshl_add_u64 v[12:13], v[6:7], 2, s[8:9]
	s_mov_b64 s[10:11], 0
	s_mov_b64 s[18:19], 0x120
	v_mov_b64_e32 v[14:15], v[10:11]
	v_mov_b64_e32 v[16:17], v[6:7]
	v_mov_b32_e32 v4, 0
	v_mov_b32_e32 v5, v1
.LBB112_16:                             ; =>This Inner Loop Header: Depth=1
	global_load_dword v3, v[12:13], off
	global_load_dwordx4 v[18:21], v[14:15], off
	global_load_ushort v28, v[14:15], off offset:16
	v_lshl_add_u64 v[16:17], v[16:17], 0, 16
	v_cmp_ge_i64_e32 vcc, v[16:17], v[8:9]
	v_lshl_add_u64 v[14:15], v[14:15], 0, s[18:19]
	v_lshl_add_u64 v[12:13], v[12:13], 0, 64
	s_or_b64 s[10:11], vcc, s[10:11]
	s_waitcnt vmcnt(2)
	v_subrev_u32_e32 v3, s16, v3
	v_lshl_add_u32 v22, v3, 1, v3
	v_ashrrev_i32_e32 v23, 31, v22
	s_waitcnt lgkmcnt(0)
	v_lshl_add_u64 v[22:23], v[22:23], 1, s[4:5]
	global_load_dword v3, v[22:23], off
	global_load_ushort v29, v[22:23], off offset:4
	s_waitcnt vmcnt(3)
	v_lshlrev_b32_e32 v22, 16, v18
	v_and_b32_e32 v23, 0xffff0000, v19
	v_and_b32_e32 v24, 0xffff0000, v18
	v_lshlrev_b32_e32 v26, 16, v19
	v_lshlrev_b32_e32 v19, 16, v21
	;; [unrolled: 1-line block ×3, first 2 shown]
	v_and_b32_e32 v27, 0xffff0000, v20
	v_and_b32_e32 v21, 0xffff0000, v21
	s_waitcnt vmcnt(2)
	v_lshlrev_b32_e32 v30, 16, v28
	s_waitcnt vmcnt(1)
	v_lshlrev_b32_e32 v18, 16, v3
	v_and_b32_e32 v20, 0xffff0000, v3
	v_pk_fma_f32 v[4:5], v[22:23], v[18:19], v[4:5] op_sel_hi:[1,0,1]
	v_fmac_f32_e32 v1, v19, v18
	s_waitcnt vmcnt(0)
	v_lshlrev_b32_e32 v28, 16, v29
	v_pk_fma_f32 v[4:5], v[24:25], v[20:21], v[4:5] op_sel_hi:[1,0,1]
	v_fmac_f32_e32 v1, v21, v20
	v_pk_fma_f32 v[4:5], v[26:27], v[28:29], v[4:5] op_sel_hi:[1,0,1]
	v_fmac_f32_e32 v1, v30, v28
	s_andn2_b64 exec, exec, s[10:11]
	s_cbranch_execnz .LBB112_16
; %bb.17:
	s_or_b64 exec, exec, s[10:11]
.LBB112_18:
	s_or_b64 exec, exec, s[6:7]
	s_cbranch_execz .LBB112_20
	s_branch .LBB112_25
.LBB112_19:
                                        ; implicit-def: $vgpr5
                                        ; implicit-def: $vgpr1
.LBB112_20:
	v_mov_b32_e32 v5, 0
	v_mov_b32_e32 v4, v5
	;; [unrolled: 1-line block ×3, first 2 shown]
	s_and_saveexec_b64 s[6:7], s[2:3]
	s_cbranch_execz .LBB112_24
; %bb.21:
	v_mov_b32_e32 v1, 0
	v_lshl_add_u64 v[12:13], v[6:7], 2, s[8:9]
	s_mov_b64 s[2:3], 0
	s_mov_b64 s[8:9], 0x120
	v_mov_b32_e32 v4, 0
	v_mov_b32_e32 v5, v1
.LBB112_22:                             ; =>This Inner Loop Header: Depth=1
	global_load_dword v3, v[12:13], off
	global_load_dwordx4 v[14:17], v[10:11], off
	global_load_ushort v22, v[10:11], off offset:16
	v_lshl_add_u64 v[6:7], v[6:7], 0, 16
	v_cmp_ge_i64_e32 vcc, v[6:7], v[8:9]
	v_lshl_add_u64 v[10:11], v[10:11], 0, s[8:9]
	v_lshl_add_u64 v[12:13], v[12:13], 0, 64
	s_or_b64 s[2:3], vcc, s[2:3]
	s_waitcnt vmcnt(2)
	v_subrev_u32_e32 v3, s16, v3
	v_lshl_add_u32 v18, v3, 1, v3
	v_ashrrev_i32_e32 v19, 31, v18
	s_waitcnt lgkmcnt(0)
	v_lshl_add_u64 v[18:19], v[18:19], 1, s[4:5]
	global_load_dword v3, v[18:19], off
	global_load_ushort v23, v[18:19], off offset:4
	s_waitcnt vmcnt(3)
	v_and_b32_e32 v19, 0xffff0000, v14
	v_lshlrev_b32_e32 v18, 16, v14
	v_lshlrev_b32_e32 v25, 16, v15
	v_and_b32_e32 v26, 0xffff0000, v16
	v_lshlrev_b32_e32 v21, 16, v16
	v_and_b32_e32 v20, 0xffff0000, v15
	v_and_b32_e32 v15, 0xffff0000, v17
	v_lshlrev_b32_e32 v14, 16, v17
	s_waitcnt vmcnt(2)
	v_lshlrev_b32_e32 v17, 16, v22
	s_waitcnt vmcnt(1)
	v_lshlrev_b32_e32 v16, 16, v3
	v_and_b32_e32 v22, 0xffff0000, v3
	v_fmac_f32_e32 v1, v25, v16
	v_pk_fma_f32 v[4:5], v[18:19], v[16:17], v[4:5] op_sel_hi:[1,0,1]
	s_waitcnt vmcnt(0)
	v_lshlrev_b32_e32 v24, 16, v23
	v_fmac_f32_e32 v1, v26, v22
	v_pk_fma_f32 v[4:5], v[20:21], v[22:23], v[4:5] op_sel_hi:[1,0,1]
	v_fmac_f32_e32 v1, v17, v24
	v_pk_fma_f32 v[4:5], v[14:15], v[24:25], v[4:5] op_sel_hi:[1,0,1]
	s_andn2_b64 exec, exec, s[2:3]
	s_cbranch_execnz .LBB112_22
; %bb.23:
	s_or_b64 exec, exec, s[2:3]
.LBB112_24:
	s_or_b64 exec, exec, s[6:7]
.LBB112_25:
	v_mov_b32_dpp v6, v4 row_shr:1 row_mask:0xf bank_mask:0xf
	v_mov_b32_dpp v7, v5 row_shr:1 row_mask:0xf bank_mask:0xf
	;; [unrolled: 1-line block ×3, first 2 shown]
	v_pk_add_f32 v[4:5], v[4:5], v[6:7]
	v_add_f32_e32 v1, v1, v3
	v_cmp_eq_u32_e32 vcc, 15, v0
	v_mov_b32_dpp v6, v4 row_shr:2 row_mask:0xf bank_mask:0xf
	v_mov_b32_dpp v7, v5 row_shr:2 row_mask:0xf bank_mask:0xf
	;; [unrolled: 1-line block ×3, first 2 shown]
	v_pk_add_f32 v[4:5], v[4:5], v[6:7]
	v_add_f32_e32 v1, v1, v3
	s_nop 0
	v_mov_b32_dpp v6, v4 row_shr:4 row_mask:0xf bank_mask:0xe
	v_mov_b32_dpp v7, v5 row_shr:4 row_mask:0xf bank_mask:0xe
	;; [unrolled: 1-line block ×3, first 2 shown]
	v_pk_add_f32 v[4:5], v[4:5], v[6:7]
	v_add_f32_e32 v1, v1, v3
	s_nop 0
	v_mov_b32_dpp v6, v4 row_shr:8 row_mask:0xf bank_mask:0xc
	v_mov_b32_dpp v7, v5 row_shr:8 row_mask:0xf bank_mask:0xc
	;; [unrolled: 1-line block ×3, first 2 shown]
	s_and_b64 exec, exec, vcc
	s_cbranch_execz .LBB112_10
; %bb.26:
	s_load_dwordx2 s[0:1], s[0:1], 0x50
	v_pk_add_f32 v[4:5], v[4:5], v[6:7]
	v_add_f32_e32 v0, v1, v3
	v_cmp_eq_f32_e64 s[2:3], s14, 0
	v_lshl_add_u32 v6, v2, 1, v2
	s_and_b64 vcc, exec, s[2:3]
	v_mul_f32_e32 v2, s12, v0
	v_ashrrev_i32_e32 v7, 31, v6
	s_cbranch_vccz .LBB112_28
; %bb.27:
	s_waitcnt lgkmcnt(0)
	v_lshl_add_u64 v[8:9], v[6:7], 2, s[0:1]
	v_pk_mul_f32 v[0:1], s[12:13], v[4:5] op_sel_hi:[0,1]
	global_store_dwordx3 v[8:9], v[0:2], off
	s_cbranch_execnz .LBB112_10
	s_branch .LBB112_29
.LBB112_28:
.LBB112_29:
	s_waitcnt lgkmcnt(0)
	v_lshl_add_u64 v[10:11], v[6:7], 2, s[0:1]
	global_load_dwordx3 v[6:8], v[10:11], off
	v_pk_mul_f32 v[0:1], s[12:13], v[4:5] op_sel_hi:[0,1]
	s_waitcnt vmcnt(0)
	v_pk_fma_f32 v[0:1], s[14:15], v[6:7], v[0:1] op_sel_hi:[0,1,1]
	v_fmac_f32_e32 v2, s14, v8
	global_store_dwordx3 v[10:11], v[0:2], off
	s_endpgm
	.section	.rodata,"a",@progbits
	.p2align	6, 0x0
	.amdhsa_kernel _ZN9rocsparseL18bsrxmvn_3x3_kernelILj256ELj16Efli18rocsparse_bfloat16S1_fEEvT3_20rocsparse_direction_NS_24const_host_device_scalarIT1_EES2_PKS2_PKT2_SB_S8_PKT4_PKT5_S6_PT6_21rocsparse_index_base_b
		.amdhsa_group_segment_fixed_size 0
		.amdhsa_private_segment_fixed_size 0
		.amdhsa_kernarg_size 96
		.amdhsa_user_sgpr_count 2
		.amdhsa_user_sgpr_dispatch_ptr 0
		.amdhsa_user_sgpr_queue_ptr 0
		.amdhsa_user_sgpr_kernarg_segment_ptr 1
		.amdhsa_user_sgpr_dispatch_id 0
		.amdhsa_user_sgpr_kernarg_preload_length 0
		.amdhsa_user_sgpr_kernarg_preload_offset 0
		.amdhsa_user_sgpr_private_segment_size 0
		.amdhsa_uses_dynamic_stack 0
		.amdhsa_enable_private_segment 0
		.amdhsa_system_sgpr_workgroup_id_x 1
		.amdhsa_system_sgpr_workgroup_id_y 0
		.amdhsa_system_sgpr_workgroup_id_z 0
		.amdhsa_system_sgpr_workgroup_info 0
		.amdhsa_system_vgpr_workitem_id 0
		.amdhsa_next_free_vgpr 31
		.amdhsa_next_free_sgpr 20
		.amdhsa_accum_offset 32
		.amdhsa_reserve_vcc 1
		.amdhsa_float_round_mode_32 0
		.amdhsa_float_round_mode_16_64 0
		.amdhsa_float_denorm_mode_32 3
		.amdhsa_float_denorm_mode_16_64 3
		.amdhsa_dx10_clamp 1
		.amdhsa_ieee_mode 1
		.amdhsa_fp16_overflow 0
		.amdhsa_tg_split 0
		.amdhsa_exception_fp_ieee_invalid_op 0
		.amdhsa_exception_fp_denorm_src 0
		.amdhsa_exception_fp_ieee_div_zero 0
		.amdhsa_exception_fp_ieee_overflow 0
		.amdhsa_exception_fp_ieee_underflow 0
		.amdhsa_exception_fp_ieee_inexact 0
		.amdhsa_exception_int_div_zero 0
	.end_amdhsa_kernel
	.section	.text._ZN9rocsparseL18bsrxmvn_3x3_kernelILj256ELj16Efli18rocsparse_bfloat16S1_fEEvT3_20rocsparse_direction_NS_24const_host_device_scalarIT1_EES2_PKS2_PKT2_SB_S8_PKT4_PKT5_S6_PT6_21rocsparse_index_base_b,"axG",@progbits,_ZN9rocsparseL18bsrxmvn_3x3_kernelILj256ELj16Efli18rocsparse_bfloat16S1_fEEvT3_20rocsparse_direction_NS_24const_host_device_scalarIT1_EES2_PKS2_PKT2_SB_S8_PKT4_PKT5_S6_PT6_21rocsparse_index_base_b,comdat
.Lfunc_end112:
	.size	_ZN9rocsparseL18bsrxmvn_3x3_kernelILj256ELj16Efli18rocsparse_bfloat16S1_fEEvT3_20rocsparse_direction_NS_24const_host_device_scalarIT1_EES2_PKS2_PKT2_SB_S8_PKT4_PKT5_S6_PT6_21rocsparse_index_base_b, .Lfunc_end112-_ZN9rocsparseL18bsrxmvn_3x3_kernelILj256ELj16Efli18rocsparse_bfloat16S1_fEEvT3_20rocsparse_direction_NS_24const_host_device_scalarIT1_EES2_PKS2_PKT2_SB_S8_PKT4_PKT5_S6_PT6_21rocsparse_index_base_b
                                        ; -- End function
	.section	.AMDGPU.csdata,"",@progbits
; Kernel info:
; codeLenInByte = 1332
; NumSgprs: 26
; NumVgprs: 31
; NumAgprs: 0
; TotalNumVgprs: 31
; ScratchSize: 0
; MemoryBound: 0
; FloatMode: 240
; IeeeMode: 1
; LDSByteSize: 0 bytes/workgroup (compile time only)
; SGPRBlocks: 3
; VGPRBlocks: 3
; NumSGPRsForWavesPerEU: 26
; NumVGPRsForWavesPerEU: 31
; AccumOffset: 32
; Occupancy: 8
; WaveLimiterHint : 1
; COMPUTE_PGM_RSRC2:SCRATCH_EN: 0
; COMPUTE_PGM_RSRC2:USER_SGPR: 2
; COMPUTE_PGM_RSRC2:TRAP_HANDLER: 0
; COMPUTE_PGM_RSRC2:TGID_X_EN: 1
; COMPUTE_PGM_RSRC2:TGID_Y_EN: 0
; COMPUTE_PGM_RSRC2:TGID_Z_EN: 0
; COMPUTE_PGM_RSRC2:TIDIG_COMP_CNT: 0
; COMPUTE_PGM_RSRC3_GFX90A:ACCUM_OFFSET: 7
; COMPUTE_PGM_RSRC3_GFX90A:TG_SPLIT: 0
	.section	.text._ZN9rocsparseL18bsrxmvn_3x3_kernelILj256ELj32Efli18rocsparse_bfloat16S1_fEEvT3_20rocsparse_direction_NS_24const_host_device_scalarIT1_EES2_PKS2_PKT2_SB_S8_PKT4_PKT5_S6_PT6_21rocsparse_index_base_b,"axG",@progbits,_ZN9rocsparseL18bsrxmvn_3x3_kernelILj256ELj32Efli18rocsparse_bfloat16S1_fEEvT3_20rocsparse_direction_NS_24const_host_device_scalarIT1_EES2_PKS2_PKT2_SB_S8_PKT4_PKT5_S6_PT6_21rocsparse_index_base_b,comdat
	.globl	_ZN9rocsparseL18bsrxmvn_3x3_kernelILj256ELj32Efli18rocsparse_bfloat16S1_fEEvT3_20rocsparse_direction_NS_24const_host_device_scalarIT1_EES2_PKS2_PKT2_SB_S8_PKT4_PKT5_S6_PT6_21rocsparse_index_base_b ; -- Begin function _ZN9rocsparseL18bsrxmvn_3x3_kernelILj256ELj32Efli18rocsparse_bfloat16S1_fEEvT3_20rocsparse_direction_NS_24const_host_device_scalarIT1_EES2_PKS2_PKT2_SB_S8_PKT4_PKT5_S6_PT6_21rocsparse_index_base_b
	.p2align	8
	.type	_ZN9rocsparseL18bsrxmvn_3x3_kernelILj256ELj32Efli18rocsparse_bfloat16S1_fEEvT3_20rocsparse_direction_NS_24const_host_device_scalarIT1_EES2_PKS2_PKT2_SB_S8_PKT4_PKT5_S6_PT6_21rocsparse_index_base_b,@function
_ZN9rocsparseL18bsrxmvn_3x3_kernelILj256ELj32Efli18rocsparse_bfloat16S1_fEEvT3_20rocsparse_direction_NS_24const_host_device_scalarIT1_EES2_PKS2_PKT2_SB_S8_PKT4_PKT5_S6_PT6_21rocsparse_index_base_b: ; @_ZN9rocsparseL18bsrxmvn_3x3_kernelILj256ELj32Efli18rocsparse_bfloat16S1_fEEvT3_20rocsparse_direction_NS_24const_host_device_scalarIT1_EES2_PKS2_PKT2_SB_S8_PKT4_PKT5_S6_PT6_21rocsparse_index_base_b
; %bb.0:
	s_load_dwordx2 s[16:17], s[0:1], 0x58
	s_load_dwordx2 s[12:13], s[0:1], 0x8
	;; [unrolled: 1-line block ×3, first 2 shown]
	s_waitcnt lgkmcnt(0)
	s_bitcmp1_b32 s17, 0
	s_cselect_b64 s[6:7], -1, 0
	s_xor_b64 s[4:5], s[6:7], -1
	s_and_b64 vcc, exec, s[6:7]
	s_cbranch_vccnz .LBB113_2
; %bb.1:
	s_load_dword s12, s[12:13], 0x0
.LBB113_2:
	s_andn2_b64 vcc, exec, s[4:5]
	s_cbranch_vccnz .LBB113_4
; %bb.3:
	s_load_dword s14, s[14:15], 0x0
.LBB113_4:
	s_waitcnt lgkmcnt(0)
	v_cmp_neq_f32_e64 s[4:5], s12, 0
	v_cmp_neq_f32_e64 s[6:7], s14, 1.0
	s_or_b64 s[4:5], s[4:5], s[6:7]
	s_andn2_b64 vcc, exec, s[4:5]
	s_cbranch_vccnz .LBB113_10
; %bb.5:
	s_load_dwordx2 s[4:5], s[0:1], 0x18
	s_load_dwordx2 s[18:19], s[0:1], 0x0
	v_lshrrev_b32_e32 v1, 5, v0
	v_lshl_or_b32 v2, s2, 3, v1
	s_mov_b64 s[2:3], 0
	s_waitcnt lgkmcnt(0)
	s_cmp_lg_u64 s[4:5], 0
	s_cbranch_scc0 .LBB113_11
; %bb.6:
	s_load_dword s6, s[0:1], 0x10
                                        ; implicit-def: $vgpr1
	s_waitcnt lgkmcnt(0)
	v_cmp_gt_i32_e32 vcc, s6, v2
	s_and_saveexec_b64 s[6:7], vcc
	s_xor_b64 s[6:7], exec, s[6:7]
	s_cbranch_execz .LBB113_8
; %bb.7:
	v_ashrrev_i32_e32 v3, 31, v2
	v_lshl_add_u64 v[4:5], v[2:3], 2, s[4:5]
	global_load_dword v1, v[4:5], off
	s_mov_b64 s[2:3], exec
	s_waitcnt vmcnt(0)
	v_subrev_u32_e32 v1, s16, v1
.LBB113_8:
	s_or_b64 exec, exec, s[6:7]
	s_branch .LBB113_12
.LBB113_9:
	v_cmp_gt_i32_e32 vcc, s18, v2
	s_andn2_b64 s[2:3], s[2:3], exec
	s_and_b64 s[4:5], vcc, exec
	s_or_b64 s[2:3], s[2:3], s[4:5]
	s_and_saveexec_b64 s[4:5], s[2:3]
	s_cbranch_execnz .LBB113_13
.LBB113_10:
	s_endpgm
.LBB113_11:
                                        ; implicit-def: $vgpr1
	s_cbranch_execnz .LBB113_9
.LBB113_12:
	v_mov_b32_e32 v2, v1
	s_and_saveexec_b64 s[4:5], s[2:3]
	s_cbranch_execz .LBB113_10
.LBB113_13:
	s_load_dwordx8 s[4:11], s[0:1], 0x20
	v_ashrrev_i32_e32 v3, 31, v2
	v_lshlrev_b64 v[4:5], 3, v[2:3]
	v_and_b32_e32 v0, 31, v0
	s_waitcnt lgkmcnt(0)
	v_lshl_add_u64 v[6:7], s[4:5], 0, v[4:5]
	s_cmp_eq_u64 s[6:7], 0
	v_lshl_add_u64 v[4:5], s[6:7], 0, v[4:5]
	global_load_dwordx2 v[8:9], v[6:7], off
	v_lshl_add_u64 v[6:7], v[6:7], 0, 8
	s_cselect_b64 vcc, -1, 0
	v_cndmask_b32_e32 v5, v5, v7, vcc
	v_cndmask_b32_e32 v4, v4, v6, vcc
	global_load_dwordx2 v[10:11], v[4:5], off
	v_mov_b32_e32 v5, 0
	v_mov_b32_e32 v1, v5
	s_load_dwordx2 s[4:5], s[0:1], 0x40
	s_cmp_eq_u32 s19, 1
	s_waitcnt vmcnt(1)
	v_subrev_co_u32_e32 v6, vcc, s16, v8
	s_nop 1
	v_subbrev_co_u32_e32 v7, vcc, 0, v9, vcc
	v_lshl_add_u64 v[6:7], v[6:7], 0, v[0:1]
	s_waitcnt vmcnt(0)
	v_subrev_co_u32_e32 v8, vcc, s16, v10
	s_nop 1
	v_subbrev_co_u32_e32 v9, vcc, 0, v11, vcc
	v_mad_u64_u32 v[10:11], s[2:3], v6, 18, s[10:11]
	v_mov_b32_e32 v4, v11
	v_mad_u64_u32 v[12:13], s[2:3], v7, 18, v[4:5]
	v_mov_b32_e32 v11, v12
	v_cmp_lt_i64_e64 s[2:3], v[6:7], v[8:9]
	s_cbranch_scc1 .LBB113_19
; %bb.14:
	v_mov_b32_e32 v4, 0
	v_mov_b32_e32 v1, 0
	s_and_saveexec_b64 s[6:7], s[2:3]
	s_cbranch_execz .LBB113_18
; %bb.15:
	v_mov_b32_e32 v1, 0
	v_lshl_add_u64 v[12:13], v[6:7], 2, s[8:9]
	s_mov_b64 s[10:11], 0
	s_mov_b64 s[18:19], 0x240
	;; [unrolled: 1-line block ×3, first 2 shown]
	v_mov_b64_e32 v[14:15], v[10:11]
	v_mov_b64_e32 v[16:17], v[6:7]
	v_mov_b32_e32 v5, 0
	v_mov_b32_e32 v4, v1
.LBB113_16:                             ; =>This Inner Loop Header: Depth=1
	global_load_dword v3, v[12:13], off
	global_load_dwordx4 v[18:21], v[14:15], off
	global_load_ushort v28, v[14:15], off offset:16
	v_lshl_add_u64 v[16:17], v[16:17], 0, 32
	v_cmp_ge_i64_e32 vcc, v[16:17], v[8:9]
	v_lshl_add_u64 v[14:15], v[14:15], 0, s[18:19]
	v_lshl_add_u64 v[12:13], v[12:13], 0, s[20:21]
	s_or_b64 s[10:11], vcc, s[10:11]
	s_waitcnt vmcnt(2)
	v_subrev_u32_e32 v3, s16, v3
	v_lshl_add_u32 v22, v3, 1, v3
	v_ashrrev_i32_e32 v23, 31, v22
	s_waitcnt lgkmcnt(0)
	v_lshl_add_u64 v[22:23], v[22:23], 1, s[4:5]
	global_load_dword v3, v[22:23], off
	global_load_ushort v29, v[22:23], off offset:4
	s_waitcnt vmcnt(3)
	v_and_b32_e32 v22, 0xffff0000, v18
	v_and_b32_e32 v25, 0xffff0000, v19
	v_lshlrev_b32_e32 v24, 16, v18
	v_lshlrev_b32_e32 v26, 16, v19
	;; [unrolled: 1-line block ×4, first 2 shown]
	v_and_b32_e32 v27, 0xffff0000, v20
	v_and_b32_e32 v21, 0xffff0000, v21
	s_waitcnt vmcnt(2)
	v_lshlrev_b32_e32 v30, 16, v28
	s_waitcnt vmcnt(1)
	v_lshlrev_b32_e32 v18, 16, v3
	v_and_b32_e32 v20, 0xffff0000, v3
	v_pk_fma_f32 v[4:5], v[24:25], v[18:19], v[4:5] op_sel_hi:[1,0,1]
	v_fmac_f32_e32 v1, v19, v18
	s_waitcnt vmcnt(0)
	v_lshlrev_b32_e32 v28, 16, v29
	v_pk_fma_f32 v[4:5], v[22:23], v[20:21], v[4:5] op_sel_hi:[1,0,1]
	v_fmac_f32_e32 v1, v21, v20
	v_pk_fma_f32 v[4:5], v[26:27], v[28:29], v[4:5] op_sel_hi:[1,0,1]
	v_fmac_f32_e32 v1, v30, v28
	s_andn2_b64 exec, exec, s[10:11]
	s_cbranch_execnz .LBB113_16
; %bb.17:
	s_or_b64 exec, exec, s[10:11]
.LBB113_18:
	s_or_b64 exec, exec, s[6:7]
	s_cbranch_execz .LBB113_20
	s_branch .LBB113_25
.LBB113_19:
                                        ; implicit-def: $vgpr5
                                        ; implicit-def: $vgpr1
.LBB113_20:
	v_mov_b32_e32 v5, 0
	v_mov_b32_e32 v4, v5
	;; [unrolled: 1-line block ×3, first 2 shown]
	s_and_saveexec_b64 s[6:7], s[2:3]
	s_cbranch_execz .LBB113_24
; %bb.21:
	v_mov_b32_e32 v1, 0
	v_lshl_add_u64 v[12:13], v[6:7], 2, s[8:9]
	s_mov_b64 s[2:3], 0
	s_mov_b64 s[8:9], 0x240
	;; [unrolled: 1-line block ×3, first 2 shown]
	v_mov_b32_e32 v5, 0
	v_mov_b32_e32 v4, v1
.LBB113_22:                             ; =>This Inner Loop Header: Depth=1
	global_load_dword v3, v[12:13], off
	global_load_dwordx4 v[14:17], v[10:11], off
	global_load_ushort v22, v[10:11], off offset:16
	v_lshl_add_u64 v[6:7], v[6:7], 0, 32
	v_cmp_ge_i64_e32 vcc, v[6:7], v[8:9]
	v_lshl_add_u64 v[10:11], v[10:11], 0, s[8:9]
	v_lshl_add_u64 v[12:13], v[12:13], 0, s[10:11]
	s_or_b64 s[2:3], vcc, s[2:3]
	s_waitcnt vmcnt(2)
	v_subrev_u32_e32 v3, s16, v3
	v_lshl_add_u32 v18, v3, 1, v3
	v_ashrrev_i32_e32 v19, 31, v18
	s_waitcnt lgkmcnt(0)
	v_lshl_add_u64 v[18:19], v[18:19], 1, s[4:5]
	global_load_dword v3, v[18:19], off
	global_load_ushort v23, v[18:19], off offset:4
	s_waitcnt vmcnt(3)
	v_and_b32_e32 v19, 0xffff0000, v14
	v_lshlrev_b32_e32 v18, 16, v14
	v_lshlrev_b32_e32 v25, 16, v15
	;; [unrolled: 1-line block ×3, first 2 shown]
	v_and_b32_e32 v20, 0xffff0000, v15
	v_and_b32_e32 v26, 0xffff0000, v16
	;; [unrolled: 1-line block ×3, first 2 shown]
	v_lshlrev_b32_e32 v14, 16, v17
	s_waitcnt vmcnt(2)
	v_lshlrev_b32_e32 v17, 16, v22
	s_waitcnt vmcnt(1)
	v_lshlrev_b32_e32 v16, 16, v3
	v_and_b32_e32 v22, 0xffff0000, v3
	v_fmac_f32_e32 v1, v25, v16
	v_pk_fma_f32 v[4:5], v[18:19], v[16:17], v[4:5] op_sel_hi:[1,0,1]
	s_waitcnt vmcnt(0)
	v_lshlrev_b32_e32 v24, 16, v23
	v_fmac_f32_e32 v1, v26, v22
	v_pk_fma_f32 v[4:5], v[20:21], v[22:23], v[4:5] op_sel_hi:[1,0,1]
	v_fmac_f32_e32 v1, v17, v24
	v_pk_fma_f32 v[4:5], v[14:15], v[24:25], v[4:5] op_sel_hi:[1,0,1]
	s_andn2_b64 exec, exec, s[2:3]
	s_cbranch_execnz .LBB113_22
; %bb.23:
	s_or_b64 exec, exec, s[2:3]
.LBB113_24:
	s_or_b64 exec, exec, s[6:7]
.LBB113_25:
	v_mov_b32_dpp v6, v4 row_shr:1 row_mask:0xf bank_mask:0xf
	v_mov_b32_dpp v7, v5 row_shr:1 row_mask:0xf bank_mask:0xf
	;; [unrolled: 1-line block ×3, first 2 shown]
	v_pk_add_f32 v[4:5], v[4:5], v[6:7]
	v_add_f32_e32 v1, v1, v3
	v_cmp_eq_u32_e32 vcc, 31, v0
	v_mov_b32_dpp v6, v4 row_shr:2 row_mask:0xf bank_mask:0xf
	v_mov_b32_dpp v7, v5 row_shr:2 row_mask:0xf bank_mask:0xf
	v_mov_b32_dpp v3, v1 row_shr:2 row_mask:0xf bank_mask:0xf
	v_pk_add_f32 v[4:5], v[4:5], v[6:7]
	v_add_f32_e32 v1, v1, v3
	s_nop 0
	v_mov_b32_dpp v6, v4 row_shr:4 row_mask:0xf bank_mask:0xe
	v_mov_b32_dpp v7, v5 row_shr:4 row_mask:0xf bank_mask:0xe
	v_mov_b32_dpp v3, v1 row_shr:4 row_mask:0xf bank_mask:0xe
	v_pk_add_f32 v[4:5], v[4:5], v[6:7]
	v_add_f32_e32 v1, v1, v3
	s_nop 0
	;; [unrolled: 6-line block ×3, first 2 shown]
	v_mov_b32_dpp v6, v4 row_bcast:15 row_mask:0xa bank_mask:0xf
	v_mov_b32_dpp v7, v5 row_bcast:15 row_mask:0xa bank_mask:0xf
	;; [unrolled: 1-line block ×3, first 2 shown]
	s_and_b64 exec, exec, vcc
	s_cbranch_execz .LBB113_10
; %bb.26:
	s_load_dwordx2 s[0:1], s[0:1], 0x50
	v_pk_add_f32 v[4:5], v[4:5], v[6:7]
	v_add_f32_e32 v0, v1, v3
	v_cmp_eq_f32_e64 s[2:3], s14, 0
	v_lshl_add_u32 v6, v2, 1, v2
	s_and_b64 vcc, exec, s[2:3]
	v_mul_f32_e32 v2, s12, v0
	v_ashrrev_i32_e32 v7, 31, v6
	s_cbranch_vccz .LBB113_28
; %bb.27:
	s_waitcnt lgkmcnt(0)
	v_lshl_add_u64 v[8:9], v[6:7], 2, s[0:1]
	v_pk_mul_f32 v[0:1], s[12:13], v[4:5] op_sel_hi:[0,1]
	global_store_dwordx3 v[8:9], v[0:2], off
	s_cbranch_execnz .LBB113_10
	s_branch .LBB113_29
.LBB113_28:
.LBB113_29:
	s_waitcnt lgkmcnt(0)
	v_lshl_add_u64 v[10:11], v[6:7], 2, s[0:1]
	global_load_dwordx3 v[6:8], v[10:11], off
	v_pk_mul_f32 v[0:1], s[12:13], v[4:5] op_sel_hi:[0,1]
	s_waitcnt vmcnt(0)
	v_pk_fma_f32 v[0:1], s[14:15], v[6:7], v[0:1] op_sel_hi:[0,1,1]
	v_fmac_f32_e32 v2, s14, v8
	global_store_dwordx3 v[10:11], v[0:2], off
	s_endpgm
	.section	.rodata,"a",@progbits
	.p2align	6, 0x0
	.amdhsa_kernel _ZN9rocsparseL18bsrxmvn_3x3_kernelILj256ELj32Efli18rocsparse_bfloat16S1_fEEvT3_20rocsparse_direction_NS_24const_host_device_scalarIT1_EES2_PKS2_PKT2_SB_S8_PKT4_PKT5_S6_PT6_21rocsparse_index_base_b
		.amdhsa_group_segment_fixed_size 0
		.amdhsa_private_segment_fixed_size 0
		.amdhsa_kernarg_size 96
		.amdhsa_user_sgpr_count 2
		.amdhsa_user_sgpr_dispatch_ptr 0
		.amdhsa_user_sgpr_queue_ptr 0
		.amdhsa_user_sgpr_kernarg_segment_ptr 1
		.amdhsa_user_sgpr_dispatch_id 0
		.amdhsa_user_sgpr_kernarg_preload_length 0
		.amdhsa_user_sgpr_kernarg_preload_offset 0
		.amdhsa_user_sgpr_private_segment_size 0
		.amdhsa_uses_dynamic_stack 0
		.amdhsa_enable_private_segment 0
		.amdhsa_system_sgpr_workgroup_id_x 1
		.amdhsa_system_sgpr_workgroup_id_y 0
		.amdhsa_system_sgpr_workgroup_id_z 0
		.amdhsa_system_sgpr_workgroup_info 0
		.amdhsa_system_vgpr_workitem_id 0
		.amdhsa_next_free_vgpr 31
		.amdhsa_next_free_sgpr 22
		.amdhsa_accum_offset 32
		.amdhsa_reserve_vcc 1
		.amdhsa_float_round_mode_32 0
		.amdhsa_float_round_mode_16_64 0
		.amdhsa_float_denorm_mode_32 3
		.amdhsa_float_denorm_mode_16_64 3
		.amdhsa_dx10_clamp 1
		.amdhsa_ieee_mode 1
		.amdhsa_fp16_overflow 0
		.amdhsa_tg_split 0
		.amdhsa_exception_fp_ieee_invalid_op 0
		.amdhsa_exception_fp_denorm_src 0
		.amdhsa_exception_fp_ieee_div_zero 0
		.amdhsa_exception_fp_ieee_overflow 0
		.amdhsa_exception_fp_ieee_underflow 0
		.amdhsa_exception_fp_ieee_inexact 0
		.amdhsa_exception_int_div_zero 0
	.end_amdhsa_kernel
	.section	.text._ZN9rocsparseL18bsrxmvn_3x3_kernelILj256ELj32Efli18rocsparse_bfloat16S1_fEEvT3_20rocsparse_direction_NS_24const_host_device_scalarIT1_EES2_PKS2_PKT2_SB_S8_PKT4_PKT5_S6_PT6_21rocsparse_index_base_b,"axG",@progbits,_ZN9rocsparseL18bsrxmvn_3x3_kernelILj256ELj32Efli18rocsparse_bfloat16S1_fEEvT3_20rocsparse_direction_NS_24const_host_device_scalarIT1_EES2_PKS2_PKT2_SB_S8_PKT4_PKT5_S6_PT6_21rocsparse_index_base_b,comdat
.Lfunc_end113:
	.size	_ZN9rocsparseL18bsrxmvn_3x3_kernelILj256ELj32Efli18rocsparse_bfloat16S1_fEEvT3_20rocsparse_direction_NS_24const_host_device_scalarIT1_EES2_PKS2_PKT2_SB_S8_PKT4_PKT5_S6_PT6_21rocsparse_index_base_b, .Lfunc_end113-_ZN9rocsparseL18bsrxmvn_3x3_kernelILj256ELj32Efli18rocsparse_bfloat16S1_fEEvT3_20rocsparse_direction_NS_24const_host_device_scalarIT1_EES2_PKS2_PKT2_SB_S8_PKT4_PKT5_S6_PT6_21rocsparse_index_base_b
                                        ; -- End function
	.section	.AMDGPU.csdata,"",@progbits
; Kernel info:
; codeLenInByte = 1388
; NumSgprs: 28
; NumVgprs: 31
; NumAgprs: 0
; TotalNumVgprs: 31
; ScratchSize: 0
; MemoryBound: 0
; FloatMode: 240
; IeeeMode: 1
; LDSByteSize: 0 bytes/workgroup (compile time only)
; SGPRBlocks: 3
; VGPRBlocks: 3
; NumSGPRsForWavesPerEU: 28
; NumVGPRsForWavesPerEU: 31
; AccumOffset: 32
; Occupancy: 8
; WaveLimiterHint : 1
; COMPUTE_PGM_RSRC2:SCRATCH_EN: 0
; COMPUTE_PGM_RSRC2:USER_SGPR: 2
; COMPUTE_PGM_RSRC2:TRAP_HANDLER: 0
; COMPUTE_PGM_RSRC2:TGID_X_EN: 1
; COMPUTE_PGM_RSRC2:TGID_Y_EN: 0
; COMPUTE_PGM_RSRC2:TGID_Z_EN: 0
; COMPUTE_PGM_RSRC2:TIDIG_COMP_CNT: 0
; COMPUTE_PGM_RSRC3_GFX90A:ACCUM_OFFSET: 7
; COMPUTE_PGM_RSRC3_GFX90A:TG_SPLIT: 0
	.section	.text._ZN9rocsparseL18bsrxmvn_3x3_kernelILj256ELj64Efli18rocsparse_bfloat16S1_fEEvT3_20rocsparse_direction_NS_24const_host_device_scalarIT1_EES2_PKS2_PKT2_SB_S8_PKT4_PKT5_S6_PT6_21rocsparse_index_base_b,"axG",@progbits,_ZN9rocsparseL18bsrxmvn_3x3_kernelILj256ELj64Efli18rocsparse_bfloat16S1_fEEvT3_20rocsparse_direction_NS_24const_host_device_scalarIT1_EES2_PKS2_PKT2_SB_S8_PKT4_PKT5_S6_PT6_21rocsparse_index_base_b,comdat
	.globl	_ZN9rocsparseL18bsrxmvn_3x3_kernelILj256ELj64Efli18rocsparse_bfloat16S1_fEEvT3_20rocsparse_direction_NS_24const_host_device_scalarIT1_EES2_PKS2_PKT2_SB_S8_PKT4_PKT5_S6_PT6_21rocsparse_index_base_b ; -- Begin function _ZN9rocsparseL18bsrxmvn_3x3_kernelILj256ELj64Efli18rocsparse_bfloat16S1_fEEvT3_20rocsparse_direction_NS_24const_host_device_scalarIT1_EES2_PKS2_PKT2_SB_S8_PKT4_PKT5_S6_PT6_21rocsparse_index_base_b
	.p2align	8
	.type	_ZN9rocsparseL18bsrxmvn_3x3_kernelILj256ELj64Efli18rocsparse_bfloat16S1_fEEvT3_20rocsparse_direction_NS_24const_host_device_scalarIT1_EES2_PKS2_PKT2_SB_S8_PKT4_PKT5_S6_PT6_21rocsparse_index_base_b,@function
_ZN9rocsparseL18bsrxmvn_3x3_kernelILj256ELj64Efli18rocsparse_bfloat16S1_fEEvT3_20rocsparse_direction_NS_24const_host_device_scalarIT1_EES2_PKS2_PKT2_SB_S8_PKT4_PKT5_S6_PT6_21rocsparse_index_base_b: ; @_ZN9rocsparseL18bsrxmvn_3x3_kernelILj256ELj64Efli18rocsparse_bfloat16S1_fEEvT3_20rocsparse_direction_NS_24const_host_device_scalarIT1_EES2_PKS2_PKT2_SB_S8_PKT4_PKT5_S6_PT6_21rocsparse_index_base_b
; %bb.0:
	s_load_dwordx2 s[16:17], s[0:1], 0x58
	s_load_dwordx2 s[12:13], s[0:1], 0x8
	;; [unrolled: 1-line block ×3, first 2 shown]
	s_waitcnt lgkmcnt(0)
	s_bitcmp1_b32 s17, 0
	s_cselect_b64 s[6:7], -1, 0
	s_xor_b64 s[4:5], s[6:7], -1
	s_and_b64 vcc, exec, s[6:7]
	s_cbranch_vccnz .LBB114_2
; %bb.1:
	s_load_dword s12, s[12:13], 0x0
.LBB114_2:
	s_andn2_b64 vcc, exec, s[4:5]
	s_cbranch_vccnz .LBB114_4
; %bb.3:
	s_load_dword s14, s[14:15], 0x0
.LBB114_4:
	s_waitcnt lgkmcnt(0)
	v_cmp_neq_f32_e64 s[4:5], s12, 0
	v_cmp_neq_f32_e64 s[6:7], s14, 1.0
	s_or_b64 s[4:5], s[4:5], s[6:7]
	s_andn2_b64 vcc, exec, s[4:5]
	s_cbranch_vccnz .LBB114_10
; %bb.5:
	s_load_dwordx2 s[4:5], s[0:1], 0x18
	s_load_dwordx2 s[18:19], s[0:1], 0x0
	v_lshrrev_b32_e32 v1, 6, v0
	v_lshl_or_b32 v2, s2, 2, v1
	s_mov_b64 s[2:3], 0
	s_waitcnt lgkmcnt(0)
	s_cmp_lg_u64 s[4:5], 0
	s_cbranch_scc0 .LBB114_11
; %bb.6:
	s_load_dword s6, s[0:1], 0x10
                                        ; implicit-def: $vgpr1
	s_waitcnt lgkmcnt(0)
	v_cmp_gt_i32_e32 vcc, s6, v2
	s_and_saveexec_b64 s[6:7], vcc
	s_xor_b64 s[6:7], exec, s[6:7]
	s_cbranch_execz .LBB114_8
; %bb.7:
	v_ashrrev_i32_e32 v3, 31, v2
	v_lshl_add_u64 v[4:5], v[2:3], 2, s[4:5]
	global_load_dword v1, v[4:5], off
	s_mov_b64 s[2:3], exec
	s_waitcnt vmcnt(0)
	v_subrev_u32_e32 v1, s16, v1
.LBB114_8:
	s_or_b64 exec, exec, s[6:7]
	s_branch .LBB114_12
.LBB114_9:
	v_cmp_gt_i32_e32 vcc, s18, v2
	s_andn2_b64 s[2:3], s[2:3], exec
	s_and_b64 s[4:5], vcc, exec
	s_or_b64 s[2:3], s[2:3], s[4:5]
	s_and_saveexec_b64 s[4:5], s[2:3]
	s_cbranch_execnz .LBB114_13
.LBB114_10:
	s_endpgm
.LBB114_11:
                                        ; implicit-def: $vgpr1
	s_cbranch_execnz .LBB114_9
.LBB114_12:
	v_mov_b32_e32 v2, v1
	s_and_saveexec_b64 s[4:5], s[2:3]
	s_cbranch_execz .LBB114_10
.LBB114_13:
	s_load_dwordx8 s[4:11], s[0:1], 0x20
	v_ashrrev_i32_e32 v3, 31, v2
	v_lshlrev_b64 v[4:5], 3, v[2:3]
	v_and_b32_e32 v0, 63, v0
	s_waitcnt lgkmcnt(0)
	v_lshl_add_u64 v[6:7], s[4:5], 0, v[4:5]
	s_cmp_eq_u64 s[6:7], 0
	v_lshl_add_u64 v[4:5], s[6:7], 0, v[4:5]
	global_load_dwordx2 v[8:9], v[6:7], off
	v_lshl_add_u64 v[6:7], v[6:7], 0, 8
	s_cselect_b64 vcc, -1, 0
	v_cndmask_b32_e32 v5, v5, v7, vcc
	v_cndmask_b32_e32 v4, v4, v6, vcc
	global_load_dwordx2 v[10:11], v[4:5], off
	v_mov_b32_e32 v5, 0
	v_mov_b32_e32 v1, v5
	s_load_dwordx2 s[4:5], s[0:1], 0x40
	s_cmp_eq_u32 s19, 1
	s_waitcnt vmcnt(1)
	v_subrev_co_u32_e32 v6, vcc, s16, v8
	s_nop 1
	v_subbrev_co_u32_e32 v7, vcc, 0, v9, vcc
	v_lshl_add_u64 v[6:7], v[6:7], 0, v[0:1]
	s_waitcnt vmcnt(0)
	v_subrev_co_u32_e32 v8, vcc, s16, v10
	s_nop 1
	v_subbrev_co_u32_e32 v9, vcc, 0, v11, vcc
	v_mad_u64_u32 v[10:11], s[2:3], v6, 18, s[10:11]
	v_mov_b32_e32 v4, v11
	v_mad_u64_u32 v[12:13], s[2:3], v7, 18, v[4:5]
	v_mov_b32_e32 v11, v12
	v_cmp_lt_i64_e64 s[2:3], v[6:7], v[8:9]
	s_cbranch_scc1 .LBB114_19
; %bb.14:
	v_mov_b32_e32 v4, 0
	v_mov_b32_e32 v1, 0
	s_and_saveexec_b64 s[6:7], s[2:3]
	s_cbranch_execz .LBB114_18
; %bb.15:
	v_mov_b32_e32 v1, 0
	v_lshl_add_u64 v[12:13], v[6:7], 2, s[8:9]
	s_mov_b64 s[10:11], 0
	s_mov_b64 s[18:19], 0x480
	;; [unrolled: 1-line block ×3, first 2 shown]
	v_mov_b64_e32 v[14:15], v[10:11]
	v_mov_b64_e32 v[16:17], v[6:7]
	v_mov_b32_e32 v4, 0
	v_mov_b32_e32 v5, v1
.LBB114_16:                             ; =>This Inner Loop Header: Depth=1
	global_load_dword v3, v[12:13], off
	global_load_dwordx4 v[18:21], v[14:15], off
	global_load_ushort v26, v[14:15], off offset:16
	v_lshl_add_u64 v[16:17], v[16:17], 0, 64
	v_cmp_ge_i64_e32 vcc, v[16:17], v[8:9]
	v_lshl_add_u64 v[14:15], v[14:15], 0, s[18:19]
	v_lshl_add_u64 v[12:13], v[12:13], 0, s[20:21]
	s_or_b64 s[10:11], vcc, s[10:11]
	s_waitcnt vmcnt(2)
	v_subrev_u32_e32 v3, s16, v3
	v_lshl_add_u32 v22, v3, 1, v3
	v_ashrrev_i32_e32 v23, 31, v22
	s_waitcnt lgkmcnt(0)
	v_lshl_add_u64 v[22:23], v[22:23], 1, s[4:5]
	global_load_dword v3, v[22:23], off
	global_load_ushort v27, v[22:23], off offset:4
	s_waitcnt vmcnt(3)
	v_lshlrev_b32_e32 v22, 16, v19
	v_and_b32_e32 v25, 0xffff0000, v19
	v_lshlrev_b32_e32 v24, 16, v18
	v_lshlrev_b32_e32 v19, 16, v20
	v_and_b32_e32 v23, 0xffff0000, v20
	v_lshlrev_b32_e32 v29, 16, v21
	v_and_b32_e32 v21, 0xffff0000, v21
	v_and_b32_e32 v18, 0xffff0000, v18
	s_waitcnt vmcnt(2)
	v_lshlrev_b32_e32 v30, 16, v26
	s_waitcnt vmcnt(1)
	v_lshlrev_b32_e32 v20, 16, v3
	v_and_b32_e32 v26, 0xffff0000, v3
	v_pk_fma_f32 v[4:5], v[24:25], v[20:21], v[4:5] op_sel_hi:[1,0,1]
	v_fmac_f32_e32 v1, v29, v20
	s_waitcnt vmcnt(0)
	v_lshlrev_b32_e32 v28, 16, v27
	v_pk_fma_f32 v[4:5], v[18:19], v[26:27], v[4:5] op_sel_hi:[1,0,1]
	v_fmac_f32_e32 v1, v21, v26
	v_pk_fma_f32 v[4:5], v[22:23], v[28:29], v[4:5] op_sel_hi:[1,0,1]
	v_fmac_f32_e32 v1, v30, v28
	s_andn2_b64 exec, exec, s[10:11]
	s_cbranch_execnz .LBB114_16
; %bb.17:
	s_or_b64 exec, exec, s[10:11]
.LBB114_18:
	s_or_b64 exec, exec, s[6:7]
	s_cbranch_execz .LBB114_20
	s_branch .LBB114_25
.LBB114_19:
                                        ; implicit-def: $vgpr5
                                        ; implicit-def: $vgpr1
.LBB114_20:
	v_mov_b32_e32 v5, 0
	v_mov_b32_e32 v4, v5
	;; [unrolled: 1-line block ×3, first 2 shown]
	s_and_saveexec_b64 s[6:7], s[2:3]
	s_cbranch_execz .LBB114_24
; %bb.21:
	v_mov_b32_e32 v1, 0
	v_lshl_add_u64 v[12:13], v[6:7], 2, s[8:9]
	s_mov_b64 s[2:3], 0
	s_mov_b64 s[8:9], 0x480
	;; [unrolled: 1-line block ×3, first 2 shown]
	v_mov_b32_e32 v4, 0
	v_mov_b32_e32 v5, v1
.LBB114_22:                             ; =>This Inner Loop Header: Depth=1
	global_load_dword v3, v[12:13], off
	global_load_dwordx4 v[14:17], v[10:11], off
	global_load_ushort v22, v[10:11], off offset:16
	v_lshl_add_u64 v[6:7], v[6:7], 0, 64
	v_cmp_ge_i64_e32 vcc, v[6:7], v[8:9]
	v_lshl_add_u64 v[10:11], v[10:11], 0, s[8:9]
	v_lshl_add_u64 v[12:13], v[12:13], 0, s[10:11]
	s_or_b64 s[2:3], vcc, s[2:3]
	s_waitcnt vmcnt(2)
	v_subrev_u32_e32 v3, s16, v3
	v_lshl_add_u32 v18, v3, 1, v3
	v_ashrrev_i32_e32 v19, 31, v18
	s_waitcnt lgkmcnt(0)
	v_lshl_add_u64 v[18:19], v[18:19], 1, s[4:5]
	global_load_dword v3, v[18:19], off
	global_load_ushort v23, v[18:19], off offset:4
	s_waitcnt vmcnt(3)
	v_and_b32_e32 v19, 0xffff0000, v14
	v_lshlrev_b32_e32 v18, 16, v14
	v_lshlrev_b32_e32 v25, 16, v15
	v_lshlrev_b32_e32 v21, 16, v16
	v_and_b32_e32 v20, 0xffff0000, v15
	v_and_b32_e32 v26, 0xffff0000, v16
	;; [unrolled: 1-line block ×3, first 2 shown]
	v_lshlrev_b32_e32 v14, 16, v17
	s_waitcnt vmcnt(2)
	v_lshlrev_b32_e32 v17, 16, v22
	s_waitcnt vmcnt(1)
	v_lshlrev_b32_e32 v16, 16, v3
	v_and_b32_e32 v22, 0xffff0000, v3
	v_pk_fma_f32 v[4:5], v[18:19], v[16:17], v[4:5] op_sel_hi:[1,0,1]
	v_fmac_f32_e32 v1, v25, v16
	s_waitcnt vmcnt(0)
	v_lshlrev_b32_e32 v24, 16, v23
	v_fmac_f32_e32 v1, v26, v22
	v_pk_fma_f32 v[4:5], v[20:21], v[22:23], v[4:5] op_sel_hi:[1,0,1]
	v_fmac_f32_e32 v1, v17, v24
	v_pk_fma_f32 v[4:5], v[14:15], v[24:25], v[4:5] op_sel_hi:[1,0,1]
	s_andn2_b64 exec, exec, s[2:3]
	s_cbranch_execnz .LBB114_22
; %bb.23:
	s_or_b64 exec, exec, s[2:3]
.LBB114_24:
	s_or_b64 exec, exec, s[6:7]
.LBB114_25:
	v_mov_b32_dpp v6, v4 row_shr:1 row_mask:0xf bank_mask:0xf
	v_mov_b32_dpp v7, v5 row_shr:1 row_mask:0xf bank_mask:0xf
	;; [unrolled: 1-line block ×3, first 2 shown]
	v_pk_add_f32 v[4:5], v[4:5], v[6:7]
	v_add_f32_e32 v1, v1, v3
	v_cmp_eq_u32_e32 vcc, 63, v0
	v_mov_b32_dpp v6, v4 row_shr:2 row_mask:0xf bank_mask:0xf
	v_mov_b32_dpp v7, v5 row_shr:2 row_mask:0xf bank_mask:0xf
	v_mov_b32_dpp v3, v1 row_shr:2 row_mask:0xf bank_mask:0xf
	v_pk_add_f32 v[4:5], v[4:5], v[6:7]
	v_add_f32_e32 v1, v1, v3
	s_nop 0
	v_mov_b32_dpp v6, v4 row_shr:4 row_mask:0xf bank_mask:0xe
	v_mov_b32_dpp v7, v5 row_shr:4 row_mask:0xf bank_mask:0xe
	v_mov_b32_dpp v3, v1 row_shr:4 row_mask:0xf bank_mask:0xe
	v_pk_add_f32 v[4:5], v[4:5], v[6:7]
	v_add_f32_e32 v1, v1, v3
	s_nop 0
	;; [unrolled: 6-line block ×3, first 2 shown]
	v_mov_b32_dpp v6, v4 row_bcast:15 row_mask:0xa bank_mask:0xf
	v_mov_b32_dpp v7, v5 row_bcast:15 row_mask:0xa bank_mask:0xf
	;; [unrolled: 1-line block ×3, first 2 shown]
	v_pk_add_f32 v[4:5], v[4:5], v[6:7]
	v_add_f32_e32 v1, v1, v3
	s_nop 0
	v_mov_b32_dpp v6, v4 row_bcast:31 row_mask:0xc bank_mask:0xf
	v_mov_b32_dpp v7, v5 row_bcast:31 row_mask:0xc bank_mask:0xf
	;; [unrolled: 1-line block ×3, first 2 shown]
	s_and_b64 exec, exec, vcc
	s_cbranch_execz .LBB114_10
; %bb.26:
	s_load_dwordx2 s[0:1], s[0:1], 0x50
	v_pk_add_f32 v[4:5], v[4:5], v[6:7]
	v_add_f32_e32 v0, v1, v3
	v_cmp_eq_f32_e64 s[2:3], s14, 0
	v_lshl_add_u32 v6, v2, 1, v2
	s_and_b64 vcc, exec, s[2:3]
	v_mul_f32_e32 v2, s12, v0
	v_ashrrev_i32_e32 v7, 31, v6
	s_cbranch_vccz .LBB114_28
; %bb.27:
	s_waitcnt lgkmcnt(0)
	v_lshl_add_u64 v[8:9], v[6:7], 2, s[0:1]
	v_pk_mul_f32 v[0:1], s[12:13], v[4:5] op_sel_hi:[0,1]
	global_store_dwordx3 v[8:9], v[0:2], off
	s_cbranch_execnz .LBB114_10
	s_branch .LBB114_29
.LBB114_28:
.LBB114_29:
	s_waitcnt lgkmcnt(0)
	v_lshl_add_u64 v[10:11], v[6:7], 2, s[0:1]
	global_load_dwordx3 v[6:8], v[10:11], off
	v_pk_mul_f32 v[0:1], s[12:13], v[4:5] op_sel_hi:[0,1]
	s_waitcnt vmcnt(0)
	v_pk_fma_f32 v[0:1], s[14:15], v[6:7], v[0:1] op_sel_hi:[0,1,1]
	v_fmac_f32_e32 v2, s14, v8
	global_store_dwordx3 v[10:11], v[0:2], off
	s_endpgm
	.section	.rodata,"a",@progbits
	.p2align	6, 0x0
	.amdhsa_kernel _ZN9rocsparseL18bsrxmvn_3x3_kernelILj256ELj64Efli18rocsparse_bfloat16S1_fEEvT3_20rocsparse_direction_NS_24const_host_device_scalarIT1_EES2_PKS2_PKT2_SB_S8_PKT4_PKT5_S6_PT6_21rocsparse_index_base_b
		.amdhsa_group_segment_fixed_size 0
		.amdhsa_private_segment_fixed_size 0
		.amdhsa_kernarg_size 96
		.amdhsa_user_sgpr_count 2
		.amdhsa_user_sgpr_dispatch_ptr 0
		.amdhsa_user_sgpr_queue_ptr 0
		.amdhsa_user_sgpr_kernarg_segment_ptr 1
		.amdhsa_user_sgpr_dispatch_id 0
		.amdhsa_user_sgpr_kernarg_preload_length 0
		.amdhsa_user_sgpr_kernarg_preload_offset 0
		.amdhsa_user_sgpr_private_segment_size 0
		.amdhsa_uses_dynamic_stack 0
		.amdhsa_enable_private_segment 0
		.amdhsa_system_sgpr_workgroup_id_x 1
		.amdhsa_system_sgpr_workgroup_id_y 0
		.amdhsa_system_sgpr_workgroup_id_z 0
		.amdhsa_system_sgpr_workgroup_info 0
		.amdhsa_system_vgpr_workitem_id 0
		.amdhsa_next_free_vgpr 31
		.amdhsa_next_free_sgpr 22
		.amdhsa_accum_offset 32
		.amdhsa_reserve_vcc 1
		.amdhsa_float_round_mode_32 0
		.amdhsa_float_round_mode_16_64 0
		.amdhsa_float_denorm_mode_32 3
		.amdhsa_float_denorm_mode_16_64 3
		.amdhsa_dx10_clamp 1
		.amdhsa_ieee_mode 1
		.amdhsa_fp16_overflow 0
		.amdhsa_tg_split 0
		.amdhsa_exception_fp_ieee_invalid_op 0
		.amdhsa_exception_fp_denorm_src 0
		.amdhsa_exception_fp_ieee_div_zero 0
		.amdhsa_exception_fp_ieee_overflow 0
		.amdhsa_exception_fp_ieee_underflow 0
		.amdhsa_exception_fp_ieee_inexact 0
		.amdhsa_exception_int_div_zero 0
	.end_amdhsa_kernel
	.section	.text._ZN9rocsparseL18bsrxmvn_3x3_kernelILj256ELj64Efli18rocsparse_bfloat16S1_fEEvT3_20rocsparse_direction_NS_24const_host_device_scalarIT1_EES2_PKS2_PKT2_SB_S8_PKT4_PKT5_S6_PT6_21rocsparse_index_base_b,"axG",@progbits,_ZN9rocsparseL18bsrxmvn_3x3_kernelILj256ELj64Efli18rocsparse_bfloat16S1_fEEvT3_20rocsparse_direction_NS_24const_host_device_scalarIT1_EES2_PKS2_PKT2_SB_S8_PKT4_PKT5_S6_PT6_21rocsparse_index_base_b,comdat
.Lfunc_end114:
	.size	_ZN9rocsparseL18bsrxmvn_3x3_kernelILj256ELj64Efli18rocsparse_bfloat16S1_fEEvT3_20rocsparse_direction_NS_24const_host_device_scalarIT1_EES2_PKS2_PKT2_SB_S8_PKT4_PKT5_S6_PT6_21rocsparse_index_base_b, .Lfunc_end114-_ZN9rocsparseL18bsrxmvn_3x3_kernelILj256ELj64Efli18rocsparse_bfloat16S1_fEEvT3_20rocsparse_direction_NS_24const_host_device_scalarIT1_EES2_PKS2_PKT2_SB_S8_PKT4_PKT5_S6_PT6_21rocsparse_index_base_b
                                        ; -- End function
	.section	.AMDGPU.csdata,"",@progbits
; Kernel info:
; codeLenInByte = 1428
; NumSgprs: 28
; NumVgprs: 31
; NumAgprs: 0
; TotalNumVgprs: 31
; ScratchSize: 0
; MemoryBound: 0
; FloatMode: 240
; IeeeMode: 1
; LDSByteSize: 0 bytes/workgroup (compile time only)
; SGPRBlocks: 3
; VGPRBlocks: 3
; NumSGPRsForWavesPerEU: 28
; NumVGPRsForWavesPerEU: 31
; AccumOffset: 32
; Occupancy: 8
; WaveLimiterHint : 1
; COMPUTE_PGM_RSRC2:SCRATCH_EN: 0
; COMPUTE_PGM_RSRC2:USER_SGPR: 2
; COMPUTE_PGM_RSRC2:TRAP_HANDLER: 0
; COMPUTE_PGM_RSRC2:TGID_X_EN: 1
; COMPUTE_PGM_RSRC2:TGID_Y_EN: 0
; COMPUTE_PGM_RSRC2:TGID_Z_EN: 0
; COMPUTE_PGM_RSRC2:TIDIG_COMP_CNT: 0
; COMPUTE_PGM_RSRC3_GFX90A:ACCUM_OFFSET: 7
; COMPUTE_PGM_RSRC3_GFX90A:TG_SPLIT: 0
	.section	.text._ZN9rocsparseL18bsrxmvn_3x3_kernelILj256ELj4Efll18rocsparse_bfloat16S1_fEEvT3_20rocsparse_direction_NS_24const_host_device_scalarIT1_EES2_PKS2_PKT2_SB_S8_PKT4_PKT5_S6_PT6_21rocsparse_index_base_b,"axG",@progbits,_ZN9rocsparseL18bsrxmvn_3x3_kernelILj256ELj4Efll18rocsparse_bfloat16S1_fEEvT3_20rocsparse_direction_NS_24const_host_device_scalarIT1_EES2_PKS2_PKT2_SB_S8_PKT4_PKT5_S6_PT6_21rocsparse_index_base_b,comdat
	.globl	_ZN9rocsparseL18bsrxmvn_3x3_kernelILj256ELj4Efll18rocsparse_bfloat16S1_fEEvT3_20rocsparse_direction_NS_24const_host_device_scalarIT1_EES2_PKS2_PKT2_SB_S8_PKT4_PKT5_S6_PT6_21rocsparse_index_base_b ; -- Begin function _ZN9rocsparseL18bsrxmvn_3x3_kernelILj256ELj4Efll18rocsparse_bfloat16S1_fEEvT3_20rocsparse_direction_NS_24const_host_device_scalarIT1_EES2_PKS2_PKT2_SB_S8_PKT4_PKT5_S6_PT6_21rocsparse_index_base_b
	.p2align	8
	.type	_ZN9rocsparseL18bsrxmvn_3x3_kernelILj256ELj4Efll18rocsparse_bfloat16S1_fEEvT3_20rocsparse_direction_NS_24const_host_device_scalarIT1_EES2_PKS2_PKT2_SB_S8_PKT4_PKT5_S6_PT6_21rocsparse_index_base_b,@function
_ZN9rocsparseL18bsrxmvn_3x3_kernelILj256ELj4Efll18rocsparse_bfloat16S1_fEEvT3_20rocsparse_direction_NS_24const_host_device_scalarIT1_EES2_PKS2_PKT2_SB_S8_PKT4_PKT5_S6_PT6_21rocsparse_index_base_b: ; @_ZN9rocsparseL18bsrxmvn_3x3_kernelILj256ELj4Efll18rocsparse_bfloat16S1_fEEvT3_20rocsparse_direction_NS_24const_host_device_scalarIT1_EES2_PKS2_PKT2_SB_S8_PKT4_PKT5_S6_PT6_21rocsparse_index_base_b
; %bb.0:
	s_load_dwordx2 s[18:19], s[0:1], 0x60
	s_load_dwordx4 s[12:15], s[0:1], 0x10
	s_load_dwordx2 s[16:17], s[0:1], 0x50
	s_waitcnt lgkmcnt(0)
	s_bitcmp1_b32 s19, 0
	s_cselect_b64 s[6:7], -1, 0
	s_xor_b64 s[4:5], s[6:7], -1
	s_and_b64 vcc, exec, s[6:7]
	s_cbranch_vccnz .LBB115_2
; %bb.1:
	s_load_dword s12, s[12:13], 0x0
.LBB115_2:
	s_andn2_b64 vcc, exec, s[4:5]
	s_cbranch_vccnz .LBB115_4
; %bb.3:
	s_load_dword s16, s[16:17], 0x0
.LBB115_4:
	s_waitcnt lgkmcnt(0)
	v_cmp_neq_f32_e64 s[4:5], s12, 0
	v_cmp_neq_f32_e64 s[6:7], s16, 1.0
	s_or_b64 s[4:5], s[4:5], s[6:7]
	s_andn2_b64 vcc, exec, s[4:5]
	s_cbranch_vccnz .LBB115_10
; %bb.5:
	s_load_dwordx2 s[4:5], s[0:1], 0x20
	v_lshrrev_b32_e32 v1, 2, v0
	v_lshl_or_b32 v2, s2, 6, v1
	v_mov_b32_e32 v3, 0
	s_mov_b64 s[2:3], 0
	s_waitcnt lgkmcnt(0)
	s_cmp_lg_u64 s[4:5], 0
	s_cbranch_scc0 .LBB115_11
; %bb.6:
	v_cmp_gt_i64_e32 vcc, s[14:15], v[2:3]
                                        ; implicit-def: $vgpr4_vgpr5
	s_and_saveexec_b64 s[6:7], vcc
	s_xor_b64 s[6:7], exec, s[6:7]
                                        ; implicit-def: $sgpr14_sgpr15
	s_cbranch_execz .LBB115_8
; %bb.7:
	v_lshl_add_u64 v[4:5], v[2:3], 3, s[4:5]
	global_load_dwordx2 v[4:5], v[4:5], off
	s_mov_b64 s[2:3], exec
	s_mov_b32 s15, 0
	s_waitcnt vmcnt(0)
	v_subrev_co_u32_e32 v4, vcc, s18, v4
	s_nop 1
	v_subbrev_co_u32_e32 v5, vcc, 0, v5, vcc
.LBB115_8:
	s_or_b64 exec, exec, s[6:7]
.LBB115_9:
	s_and_saveexec_b64 s[4:5], s[2:3]
	s_cbranch_execnz .LBB115_15
.LBB115_10:
	s_endpgm
.LBB115_11:
                                        ; implicit-def: $vgpr4_vgpr5
                                        ; implicit-def: $sgpr14_sgpr15
	s_cbranch_execz .LBB115_9
; %bb.12:
	s_load_dwordx2 s[4:5], s[0:1], 0x0
                                        ; implicit-def: $vgpr4_vgpr5
	s_waitcnt lgkmcnt(0)
	v_cmp_gt_i64_e32 vcc, s[4:5], v[2:3]
	s_and_saveexec_b64 s[4:5], vcc
                                        ; implicit-def: $sgpr14_sgpr15
; %bb.13:
	s_mov_b32 s15, 0
	s_or_b64 s[2:3], s[2:3], exec
	v_mov_b64_e32 v[4:5], v[2:3]
; %bb.14:
	s_or_b64 exec, exec, s[4:5]
	s_and_saveexec_b64 s[4:5], s[2:3]
	s_cbranch_execz .LBB115_10
.LBB115_15:
	s_load_dwordx8 s[4:11], s[0:1], 0x28
	v_lshlrev_b64 v[2:3], 3, v[4:5]
	v_mov_b32_e32 v10, s15
	v_and_b32_e32 v0, 3, v0
	v_mov_b32_e32 v1, 0
	s_waitcnt lgkmcnt(0)
	v_lshl_add_u64 v[6:7], s[4:5], 0, v[2:3]
	s_cmp_eq_u64 s[6:7], 0
	global_load_dwordx2 v[8:9], v[6:7], off
	v_lshl_add_u64 v[2:3], s[6:7], 0, v[2:3]
	v_lshl_add_u64 v[6:7], v[6:7], 0, 8
	s_cselect_b64 vcc, -1, 0
	v_cndmask_b32_e32 v3, v3, v7, vcc
	v_cndmask_b32_e32 v2, v2, v6, vcc
	global_load_dwordx2 v[6:7], v[2:3], off
	s_load_dword s2, s[0:1], 0x8
	s_load_dwordx2 s[4:5], s[0:1], 0x48
	s_waitcnt lgkmcnt(0)
	s_cmp_eq_u32 s2, 1
	s_waitcnt vmcnt(1)
	v_subrev_co_u32_e32 v2, vcc, s18, v8
	s_nop 1
	v_subb_co_u32_e32 v3, vcc, v9, v10, vcc
	v_lshl_add_u64 v[2:3], v[2:3], 0, v[0:1]
	v_mad_u64_u32 v[8:9], s[2:3], v2, 18, s[10:11]
	s_waitcnt vmcnt(0)
	v_subrev_co_u32_e32 v6, vcc, s18, v6
	s_nop 1
	v_subb_co_u32_e32 v7, vcc, v7, v10, vcc
	v_mov_b32_e32 v10, v9
	v_mad_u64_u32 v[10:11], s[2:3], v3, 18, v[10:11]
	v_mov_b32_e32 v9, v10
	v_cmp_lt_i64_e64 s[2:3], v[2:3], v[6:7]
	s_cbranch_scc1 .LBB115_21
; %bb.16:
	v_mov_b32_e32 v10, v1
	v_mov_b32_e32 v18, v1
	s_and_saveexec_b64 s[6:7], s[2:3]
	s_cbranch_execz .LBB115_20
; %bb.17:
	v_mov_b32_e32 v18, 0
	v_lshl_add_u64 v[12:13], v[2:3], 3, s[8:9]
	s_mov_b64 s[10:11], 0
	v_mov_b32_e32 v1, s15
	s_mov_b64 s[20:21], 0x48
	v_mov_b64_e32 v[14:15], v[8:9]
	v_mov_b64_e32 v[16:17], v[2:3]
	v_mov_b32_e32 v10, 0
	v_mov_b32_e32 v11, v18
.LBB115_18:                             ; =>This Inner Loop Header: Depth=1
	global_load_dwordx2 v[24:25], v[12:13], off
	global_load_dwordx4 v[20:23], v[14:15], off
	global_load_ushort v19, v[14:15], off offset:16
	v_lshl_add_u64 v[16:17], v[16:17], 0, 4
	v_lshl_add_u64 v[14:15], v[14:15], 0, s[20:21]
	;; [unrolled: 1-line block ×3, first 2 shown]
	s_waitcnt vmcnt(2)
	v_subrev_co_u32_e32 v24, vcc, s18, v24
	s_nop 1
	v_subb_co_u32_e32 v27, vcc, v25, v1, vcc
	v_mad_u64_u32 v[24:25], s[22:23], v24, 6, s[4:5]
	v_mov_b32_e32 v26, v25
	v_mad_u64_u32 v[26:27], s[22:23], v27, 6, v[26:27]
	v_mov_b32_e32 v25, v26
	global_load_dword v30, v[24:25], off
	global_load_ushort v31, v[24:25], off offset:4
	s_waitcnt vmcnt(3)
	v_and_b32_e32 v25, 0xffff0000, v21
	v_lshlrev_b32_e32 v24, 16, v20
	v_and_b32_e32 v26, 0xffff0000, v20
	v_lshlrev_b32_e32 v28, 16, v21
	v_lshlrev_b32_e32 v21, 16, v23
	;; [unrolled: 1-line block ×3, first 2 shown]
	v_and_b32_e32 v29, 0xffff0000, v22
	v_and_b32_e32 v23, 0xffff0000, v23
	v_cmp_ge_i64_e32 vcc, v[16:17], v[6:7]
	s_waitcnt vmcnt(2)
	v_lshlrev_b32_e32 v19, 16, v19
	s_or_b64 s[10:11], vcc, s[10:11]
	s_waitcnt vmcnt(1)
	v_lshlrev_b32_e32 v20, 16, v30
	v_and_b32_e32 v22, 0xffff0000, v30
	v_pk_fma_f32 v[10:11], v[24:25], v[20:21], v[10:11] op_sel_hi:[1,0,1]
	v_fmac_f32_e32 v18, v21, v20
	s_waitcnt vmcnt(0)
	v_lshlrev_b32_e32 v30, 16, v31
	v_pk_fma_f32 v[10:11], v[26:27], v[22:23], v[10:11] op_sel_hi:[1,0,1]
	v_fmac_f32_e32 v18, v23, v22
	v_pk_fma_f32 v[10:11], v[28:29], v[30:31], v[10:11] op_sel_hi:[1,0,1]
	v_fmac_f32_e32 v18, v19, v30
	s_andn2_b64 exec, exec, s[10:11]
	s_cbranch_execnz .LBB115_18
; %bb.19:
	s_or_b64 exec, exec, s[10:11]
	v_mov_b32_e32 v1, v11
.LBB115_20:
	s_or_b64 exec, exec, s[6:7]
	v_mov_b32_e32 v11, v1
	s_cbranch_execz .LBB115_22
	s_branch .LBB115_27
.LBB115_21:
                                        ; implicit-def: $vgpr11
                                        ; implicit-def: $vgpr18
.LBB115_22:
	v_mov_b32_e32 v11, 0
	v_mov_b32_e32 v10, v11
	v_mov_b32_e32 v18, v11
	s_and_saveexec_b64 s[6:7], s[2:3]
	s_cbranch_execz .LBB115_26
; %bb.23:
	v_mov_b32_e32 v18, 0
	v_lshl_add_u64 v[12:13], v[2:3], 3, s[8:9]
	s_mov_b64 s[2:3], 0
	v_mov_b32_e32 v1, s15
	s_mov_b64 s[8:9], 0x48
	v_mov_b32_e32 v10, 0
	v_mov_b32_e32 v11, v18
.LBB115_24:                             ; =>This Inner Loop Header: Depth=1
	global_load_dwordx2 v[20:21], v[12:13], off
	global_load_dwordx4 v[14:17], v[8:9], off
	global_load_ushort v19, v[8:9], off offset:16
	v_lshl_add_u64 v[2:3], v[2:3], 0, 4
	v_lshl_add_u64 v[8:9], v[8:9], 0, s[8:9]
	;; [unrolled: 1-line block ×3, first 2 shown]
	s_waitcnt vmcnt(2)
	v_subrev_co_u32_e32 v20, vcc, s18, v20
	s_nop 1
	v_subb_co_u32_e32 v23, vcc, v21, v1, vcc
	v_mad_u64_u32 v[20:21], s[10:11], v20, 6, s[4:5]
	v_mov_b32_e32 v22, v21
	v_mad_u64_u32 v[22:23], s[10:11], v23, 6, v[22:23]
	v_mov_b32_e32 v21, v22
	global_load_dword v24, v[20:21], off
	global_load_ushort v25, v[20:21], off offset:4
	s_waitcnt vmcnt(3)
	v_lshlrev_b32_e32 v27, 16, v15
	v_and_b32_e32 v28, 0xffff0000, v16
	v_and_b32_e32 v21, 0xffff0000, v14
	v_lshlrev_b32_e32 v20, 16, v14
	v_lshlrev_b32_e32 v23, 16, v16
	v_and_b32_e32 v22, 0xffff0000, v15
	v_and_b32_e32 v15, 0xffff0000, v17
	v_lshlrev_b32_e32 v14, 16, v17
	s_waitcnt vmcnt(2)
	v_lshlrev_b32_e32 v17, 16, v19
	v_cmp_ge_i64_e32 vcc, v[2:3], v[6:7]
	s_or_b64 s[2:3], vcc, s[2:3]
	s_waitcnt vmcnt(1)
	v_lshlrev_b32_e32 v16, 16, v24
	v_and_b32_e32 v24, 0xffff0000, v24
	v_fmac_f32_e32 v18, v27, v16
	v_pk_fma_f32 v[10:11], v[20:21], v[16:17], v[10:11] op_sel_hi:[1,0,1]
	s_waitcnt vmcnt(0)
	v_lshlrev_b32_e32 v26, 16, v25
	v_fmac_f32_e32 v18, v28, v24
	v_pk_fma_f32 v[10:11], v[22:23], v[24:25], v[10:11] op_sel_hi:[1,0,1]
	v_fmac_f32_e32 v18, v17, v26
	v_pk_fma_f32 v[10:11], v[14:15], v[26:27], v[10:11] op_sel_hi:[1,0,1]
	s_andn2_b64 exec, exec, s[2:3]
	s_cbranch_execnz .LBB115_24
; %bb.25:
	s_or_b64 exec, exec, s[2:3]
.LBB115_26:
	s_or_b64 exec, exec, s[6:7]
.LBB115_27:
	v_mov_b32_dpp v2, v10 row_shr:1 row_mask:0xf bank_mask:0xf
	v_mov_b32_dpp v3, v11 row_shr:1 row_mask:0xf bank_mask:0xf
	;; [unrolled: 1-line block ×3, first 2 shown]
	v_pk_add_f32 v[2:3], v[10:11], v[2:3]
	v_add_f32_e32 v1, v18, v1
	v_cmp_eq_u32_e32 vcc, 3, v0
	v_mov_b32_dpp v6, v2 row_shr:2 row_mask:0xf bank_mask:0xf
	v_mov_b32_dpp v7, v3 row_shr:2 row_mask:0xf bank_mask:0xf
	;; [unrolled: 1-line block ×3, first 2 shown]
	s_and_b64 exec, exec, vcc
	s_cbranch_execz .LBB115_10
; %bb.28:
	s_load_dwordx2 s[0:1], s[0:1], 0x58
	v_add_f32_e32 v0, v1, v8
	v_cmp_eq_f32_e64 s[2:3], s16, 0
	v_pk_add_f32 v[6:7], v[2:3], v[6:7]
	s_and_b64 vcc, exec, s[2:3]
	v_mul_f32_e32 v2, s12, v0
	s_cbranch_vccz .LBB115_30
; %bb.29:
	s_waitcnt lgkmcnt(0)
	v_mad_u64_u32 v[8:9], s[2:3], v4, 12, s[0:1]
	v_mov_b32_e32 v0, v9
	v_mad_u64_u32 v[0:1], s[2:3], v5, 12, v[0:1]
	v_mov_b32_e32 v9, v0
	v_pk_mul_f32 v[0:1], s[12:13], v[6:7] op_sel_hi:[0,1]
	global_store_dwordx3 v[8:9], v[0:2], off
	s_cbranch_execnz .LBB115_10
	s_branch .LBB115_31
.LBB115_30:
.LBB115_31:
	s_waitcnt lgkmcnt(0)
	v_mad_u64_u32 v[12:13], s[0:1], v4, 12, s[0:1]
	v_mov_b32_e32 v0, v13
	v_mad_u64_u32 v[0:1], s[0:1], v5, 12, v[0:1]
	v_mov_b32_e32 v13, v0
	global_load_dwordx3 v[8:10], v[12:13], off
	v_pk_mul_f32 v[0:1], s[12:13], v[6:7] op_sel_hi:[0,1]
	s_waitcnt vmcnt(0)
	v_pk_fma_f32 v[0:1], s[16:17], v[8:9], v[0:1] op_sel_hi:[0,1,1]
	v_fmac_f32_e32 v2, s16, v10
	global_store_dwordx3 v[12:13], v[0:2], off
	s_endpgm
	.section	.rodata,"a",@progbits
	.p2align	6, 0x0
	.amdhsa_kernel _ZN9rocsparseL18bsrxmvn_3x3_kernelILj256ELj4Efll18rocsparse_bfloat16S1_fEEvT3_20rocsparse_direction_NS_24const_host_device_scalarIT1_EES2_PKS2_PKT2_SB_S8_PKT4_PKT5_S6_PT6_21rocsparse_index_base_b
		.amdhsa_group_segment_fixed_size 0
		.amdhsa_private_segment_fixed_size 0
		.amdhsa_kernarg_size 104
		.amdhsa_user_sgpr_count 2
		.amdhsa_user_sgpr_dispatch_ptr 0
		.amdhsa_user_sgpr_queue_ptr 0
		.amdhsa_user_sgpr_kernarg_segment_ptr 1
		.amdhsa_user_sgpr_dispatch_id 0
		.amdhsa_user_sgpr_kernarg_preload_length 0
		.amdhsa_user_sgpr_kernarg_preload_offset 0
		.amdhsa_user_sgpr_private_segment_size 0
		.amdhsa_uses_dynamic_stack 0
		.amdhsa_enable_private_segment 0
		.amdhsa_system_sgpr_workgroup_id_x 1
		.amdhsa_system_sgpr_workgroup_id_y 0
		.amdhsa_system_sgpr_workgroup_id_z 0
		.amdhsa_system_sgpr_workgroup_info 0
		.amdhsa_system_vgpr_workitem_id 0
		.amdhsa_next_free_vgpr 32
		.amdhsa_next_free_sgpr 24
		.amdhsa_accum_offset 32
		.amdhsa_reserve_vcc 1
		.amdhsa_float_round_mode_32 0
		.amdhsa_float_round_mode_16_64 0
		.amdhsa_float_denorm_mode_32 3
		.amdhsa_float_denorm_mode_16_64 3
		.amdhsa_dx10_clamp 1
		.amdhsa_ieee_mode 1
		.amdhsa_fp16_overflow 0
		.amdhsa_tg_split 0
		.amdhsa_exception_fp_ieee_invalid_op 0
		.amdhsa_exception_fp_denorm_src 0
		.amdhsa_exception_fp_ieee_div_zero 0
		.amdhsa_exception_fp_ieee_overflow 0
		.amdhsa_exception_fp_ieee_underflow 0
		.amdhsa_exception_fp_ieee_inexact 0
		.amdhsa_exception_int_div_zero 0
	.end_amdhsa_kernel
	.section	.text._ZN9rocsparseL18bsrxmvn_3x3_kernelILj256ELj4Efll18rocsparse_bfloat16S1_fEEvT3_20rocsparse_direction_NS_24const_host_device_scalarIT1_EES2_PKS2_PKT2_SB_S8_PKT4_PKT5_S6_PT6_21rocsparse_index_base_b,"axG",@progbits,_ZN9rocsparseL18bsrxmvn_3x3_kernelILj256ELj4Efll18rocsparse_bfloat16S1_fEEvT3_20rocsparse_direction_NS_24const_host_device_scalarIT1_EES2_PKS2_PKT2_SB_S8_PKT4_PKT5_S6_PT6_21rocsparse_index_base_b,comdat
.Lfunc_end115:
	.size	_ZN9rocsparseL18bsrxmvn_3x3_kernelILj256ELj4Efll18rocsparse_bfloat16S1_fEEvT3_20rocsparse_direction_NS_24const_host_device_scalarIT1_EES2_PKS2_PKT2_SB_S8_PKT4_PKT5_S6_PT6_21rocsparse_index_base_b, .Lfunc_end115-_ZN9rocsparseL18bsrxmvn_3x3_kernelILj256ELj4Efll18rocsparse_bfloat16S1_fEEvT3_20rocsparse_direction_NS_24const_host_device_scalarIT1_EES2_PKS2_PKT2_SB_S8_PKT4_PKT5_S6_PT6_21rocsparse_index_base_b
                                        ; -- End function
	.section	.AMDGPU.csdata,"",@progbits
; Kernel info:
; codeLenInByte = 1316
; NumSgprs: 30
; NumVgprs: 32
; NumAgprs: 0
; TotalNumVgprs: 32
; ScratchSize: 0
; MemoryBound: 0
; FloatMode: 240
; IeeeMode: 1
; LDSByteSize: 0 bytes/workgroup (compile time only)
; SGPRBlocks: 3
; VGPRBlocks: 3
; NumSGPRsForWavesPerEU: 30
; NumVGPRsForWavesPerEU: 32
; AccumOffset: 32
; Occupancy: 8
; WaveLimiterHint : 1
; COMPUTE_PGM_RSRC2:SCRATCH_EN: 0
; COMPUTE_PGM_RSRC2:USER_SGPR: 2
; COMPUTE_PGM_RSRC2:TRAP_HANDLER: 0
; COMPUTE_PGM_RSRC2:TGID_X_EN: 1
; COMPUTE_PGM_RSRC2:TGID_Y_EN: 0
; COMPUTE_PGM_RSRC2:TGID_Z_EN: 0
; COMPUTE_PGM_RSRC2:TIDIG_COMP_CNT: 0
; COMPUTE_PGM_RSRC3_GFX90A:ACCUM_OFFSET: 7
; COMPUTE_PGM_RSRC3_GFX90A:TG_SPLIT: 0
	.section	.text._ZN9rocsparseL18bsrxmvn_3x3_kernelILj256ELj8Efll18rocsparse_bfloat16S1_fEEvT3_20rocsparse_direction_NS_24const_host_device_scalarIT1_EES2_PKS2_PKT2_SB_S8_PKT4_PKT5_S6_PT6_21rocsparse_index_base_b,"axG",@progbits,_ZN9rocsparseL18bsrxmvn_3x3_kernelILj256ELj8Efll18rocsparse_bfloat16S1_fEEvT3_20rocsparse_direction_NS_24const_host_device_scalarIT1_EES2_PKS2_PKT2_SB_S8_PKT4_PKT5_S6_PT6_21rocsparse_index_base_b,comdat
	.globl	_ZN9rocsparseL18bsrxmvn_3x3_kernelILj256ELj8Efll18rocsparse_bfloat16S1_fEEvT3_20rocsparse_direction_NS_24const_host_device_scalarIT1_EES2_PKS2_PKT2_SB_S8_PKT4_PKT5_S6_PT6_21rocsparse_index_base_b ; -- Begin function _ZN9rocsparseL18bsrxmvn_3x3_kernelILj256ELj8Efll18rocsparse_bfloat16S1_fEEvT3_20rocsparse_direction_NS_24const_host_device_scalarIT1_EES2_PKS2_PKT2_SB_S8_PKT4_PKT5_S6_PT6_21rocsparse_index_base_b
	.p2align	8
	.type	_ZN9rocsparseL18bsrxmvn_3x3_kernelILj256ELj8Efll18rocsparse_bfloat16S1_fEEvT3_20rocsparse_direction_NS_24const_host_device_scalarIT1_EES2_PKS2_PKT2_SB_S8_PKT4_PKT5_S6_PT6_21rocsparse_index_base_b,@function
_ZN9rocsparseL18bsrxmvn_3x3_kernelILj256ELj8Efll18rocsparse_bfloat16S1_fEEvT3_20rocsparse_direction_NS_24const_host_device_scalarIT1_EES2_PKS2_PKT2_SB_S8_PKT4_PKT5_S6_PT6_21rocsparse_index_base_b: ; @_ZN9rocsparseL18bsrxmvn_3x3_kernelILj256ELj8Efll18rocsparse_bfloat16S1_fEEvT3_20rocsparse_direction_NS_24const_host_device_scalarIT1_EES2_PKS2_PKT2_SB_S8_PKT4_PKT5_S6_PT6_21rocsparse_index_base_b
; %bb.0:
	s_load_dwordx2 s[18:19], s[0:1], 0x60
	s_load_dwordx4 s[12:15], s[0:1], 0x10
	s_load_dwordx2 s[16:17], s[0:1], 0x50
	s_waitcnt lgkmcnt(0)
	s_bitcmp1_b32 s19, 0
	s_cselect_b64 s[6:7], -1, 0
	s_xor_b64 s[4:5], s[6:7], -1
	s_and_b64 vcc, exec, s[6:7]
	s_cbranch_vccnz .LBB116_2
; %bb.1:
	s_load_dword s12, s[12:13], 0x0
.LBB116_2:
	s_andn2_b64 vcc, exec, s[4:5]
	s_cbranch_vccnz .LBB116_4
; %bb.3:
	s_load_dword s16, s[16:17], 0x0
.LBB116_4:
	s_waitcnt lgkmcnt(0)
	v_cmp_neq_f32_e64 s[4:5], s12, 0
	v_cmp_neq_f32_e64 s[6:7], s16, 1.0
	s_or_b64 s[4:5], s[4:5], s[6:7]
	s_andn2_b64 vcc, exec, s[4:5]
	s_cbranch_vccnz .LBB116_10
; %bb.5:
	s_load_dwordx2 s[4:5], s[0:1], 0x20
	v_lshrrev_b32_e32 v1, 3, v0
	v_lshl_or_b32 v2, s2, 5, v1
	v_mov_b32_e32 v3, 0
	s_mov_b64 s[2:3], 0
	s_waitcnt lgkmcnt(0)
	s_cmp_lg_u64 s[4:5], 0
	s_cbranch_scc0 .LBB116_11
; %bb.6:
	v_cmp_gt_i64_e32 vcc, s[14:15], v[2:3]
                                        ; implicit-def: $vgpr4_vgpr5
	s_and_saveexec_b64 s[6:7], vcc
	s_xor_b64 s[6:7], exec, s[6:7]
                                        ; implicit-def: $sgpr14_sgpr15
	s_cbranch_execz .LBB116_8
; %bb.7:
	v_lshl_add_u64 v[4:5], v[2:3], 3, s[4:5]
	global_load_dwordx2 v[4:5], v[4:5], off
	s_mov_b64 s[2:3], exec
	s_mov_b32 s15, 0
	s_waitcnt vmcnt(0)
	v_subrev_co_u32_e32 v4, vcc, s18, v4
	s_nop 1
	v_subbrev_co_u32_e32 v5, vcc, 0, v5, vcc
.LBB116_8:
	s_or_b64 exec, exec, s[6:7]
.LBB116_9:
	s_and_saveexec_b64 s[4:5], s[2:3]
	s_cbranch_execnz .LBB116_15
.LBB116_10:
	s_endpgm
.LBB116_11:
                                        ; implicit-def: $vgpr4_vgpr5
                                        ; implicit-def: $sgpr14_sgpr15
	s_cbranch_execz .LBB116_9
; %bb.12:
	s_load_dwordx2 s[4:5], s[0:1], 0x0
                                        ; implicit-def: $vgpr4_vgpr5
	s_waitcnt lgkmcnt(0)
	v_cmp_gt_i64_e32 vcc, s[4:5], v[2:3]
	s_and_saveexec_b64 s[4:5], vcc
                                        ; implicit-def: $sgpr14_sgpr15
; %bb.13:
	s_mov_b32 s15, 0
	s_or_b64 s[2:3], s[2:3], exec
	v_mov_b64_e32 v[4:5], v[2:3]
; %bb.14:
	s_or_b64 exec, exec, s[4:5]
	s_and_saveexec_b64 s[4:5], s[2:3]
	s_cbranch_execz .LBB116_10
.LBB116_15:
	s_load_dwordx8 s[4:11], s[0:1], 0x28
	v_lshlrev_b64 v[2:3], 3, v[4:5]
	v_mov_b32_e32 v10, s15
	v_and_b32_e32 v0, 7, v0
	v_mov_b32_e32 v1, 0
	s_waitcnt lgkmcnt(0)
	v_lshl_add_u64 v[6:7], s[4:5], 0, v[2:3]
	s_cmp_eq_u64 s[6:7], 0
	global_load_dwordx2 v[8:9], v[6:7], off
	v_lshl_add_u64 v[2:3], s[6:7], 0, v[2:3]
	v_lshl_add_u64 v[6:7], v[6:7], 0, 8
	s_cselect_b64 vcc, -1, 0
	v_cndmask_b32_e32 v3, v3, v7, vcc
	v_cndmask_b32_e32 v2, v2, v6, vcc
	global_load_dwordx2 v[6:7], v[2:3], off
	s_load_dword s2, s[0:1], 0x8
	s_load_dwordx2 s[4:5], s[0:1], 0x48
	s_waitcnt lgkmcnt(0)
	s_cmp_eq_u32 s2, 1
	s_waitcnt vmcnt(1)
	v_subrev_co_u32_e32 v2, vcc, s18, v8
	s_nop 1
	v_subb_co_u32_e32 v3, vcc, v9, v10, vcc
	v_lshl_add_u64 v[2:3], v[2:3], 0, v[0:1]
	v_mad_u64_u32 v[8:9], s[2:3], v2, 18, s[10:11]
	s_waitcnt vmcnt(0)
	v_subrev_co_u32_e32 v6, vcc, s18, v6
	s_nop 1
	v_subb_co_u32_e32 v7, vcc, v7, v10, vcc
	v_mov_b32_e32 v10, v9
	v_mad_u64_u32 v[10:11], s[2:3], v3, 18, v[10:11]
	v_mov_b32_e32 v9, v10
	v_cmp_lt_i64_e64 s[2:3], v[2:3], v[6:7]
	s_cbranch_scc1 .LBB116_21
; %bb.16:
	v_mov_b32_e32 v10, v1
	v_mov_b32_e32 v18, v1
	s_and_saveexec_b64 s[6:7], s[2:3]
	s_cbranch_execz .LBB116_20
; %bb.17:
	v_mov_b32_e32 v18, 0
	v_lshl_add_u64 v[12:13], v[2:3], 3, s[8:9]
	s_mov_b64 s[10:11], 0
	v_mov_b32_e32 v1, s15
	s_mov_b64 s[20:21], 0x90
	v_mov_b64_e32 v[14:15], v[8:9]
	v_mov_b64_e32 v[16:17], v[2:3]
	v_mov_b32_e32 v10, 0
	v_mov_b32_e32 v11, v18
.LBB116_18:                             ; =>This Inner Loop Header: Depth=1
	global_load_dwordx2 v[24:25], v[12:13], off
	global_load_dwordx4 v[20:23], v[14:15], off
	global_load_ushort v19, v[14:15], off offset:16
	v_lshl_add_u64 v[16:17], v[16:17], 0, 8
	v_lshl_add_u64 v[14:15], v[14:15], 0, s[20:21]
	;; [unrolled: 1-line block ×3, first 2 shown]
	s_waitcnt vmcnt(2)
	v_subrev_co_u32_e32 v24, vcc, s18, v24
	s_nop 1
	v_subb_co_u32_e32 v27, vcc, v25, v1, vcc
	v_mad_u64_u32 v[24:25], s[22:23], v24, 6, s[4:5]
	v_mov_b32_e32 v26, v25
	v_mad_u64_u32 v[26:27], s[22:23], v27, 6, v[26:27]
	v_mov_b32_e32 v25, v26
	global_load_dword v30, v[24:25], off
	global_load_ushort v31, v[24:25], off offset:4
	s_waitcnt vmcnt(3)
	v_and_b32_e32 v25, 0xffff0000, v21
	v_lshlrev_b32_e32 v24, 16, v20
	v_and_b32_e32 v26, 0xffff0000, v20
	v_lshlrev_b32_e32 v28, 16, v21
	v_lshlrev_b32_e32 v21, 16, v23
	;; [unrolled: 1-line block ×3, first 2 shown]
	v_and_b32_e32 v29, 0xffff0000, v22
	v_and_b32_e32 v23, 0xffff0000, v23
	v_cmp_ge_i64_e32 vcc, v[16:17], v[6:7]
	s_waitcnt vmcnt(2)
	v_lshlrev_b32_e32 v19, 16, v19
	s_or_b64 s[10:11], vcc, s[10:11]
	s_waitcnt vmcnt(1)
	v_lshlrev_b32_e32 v20, 16, v30
	v_and_b32_e32 v22, 0xffff0000, v30
	v_pk_fma_f32 v[10:11], v[24:25], v[20:21], v[10:11] op_sel_hi:[1,0,1]
	v_fmac_f32_e32 v18, v21, v20
	s_waitcnt vmcnt(0)
	v_lshlrev_b32_e32 v30, 16, v31
	v_pk_fma_f32 v[10:11], v[26:27], v[22:23], v[10:11] op_sel_hi:[1,0,1]
	v_fmac_f32_e32 v18, v23, v22
	v_pk_fma_f32 v[10:11], v[28:29], v[30:31], v[10:11] op_sel_hi:[1,0,1]
	v_fmac_f32_e32 v18, v19, v30
	s_andn2_b64 exec, exec, s[10:11]
	s_cbranch_execnz .LBB116_18
; %bb.19:
	s_or_b64 exec, exec, s[10:11]
	v_mov_b32_e32 v1, v11
.LBB116_20:
	s_or_b64 exec, exec, s[6:7]
	v_mov_b32_e32 v11, v1
	s_cbranch_execz .LBB116_22
	s_branch .LBB116_27
.LBB116_21:
                                        ; implicit-def: $vgpr11
                                        ; implicit-def: $vgpr18
.LBB116_22:
	v_mov_b32_e32 v11, 0
	v_mov_b32_e32 v10, v11
	;; [unrolled: 1-line block ×3, first 2 shown]
	s_and_saveexec_b64 s[6:7], s[2:3]
	s_cbranch_execz .LBB116_26
; %bb.23:
	v_mov_b32_e32 v18, 0
	v_lshl_add_u64 v[12:13], v[2:3], 3, s[8:9]
	s_mov_b64 s[2:3], 0
	v_mov_b32_e32 v1, s15
	s_mov_b64 s[8:9], 0x90
	v_mov_b32_e32 v10, 0
	v_mov_b32_e32 v11, v18
.LBB116_24:                             ; =>This Inner Loop Header: Depth=1
	global_load_dwordx2 v[20:21], v[12:13], off
	global_load_dwordx4 v[14:17], v[8:9], off
	global_load_ushort v19, v[8:9], off offset:16
	v_lshl_add_u64 v[2:3], v[2:3], 0, 8
	v_lshl_add_u64 v[8:9], v[8:9], 0, s[8:9]
	v_lshl_add_u64 v[12:13], v[12:13], 0, 64
	s_waitcnt vmcnt(2)
	v_subrev_co_u32_e32 v20, vcc, s18, v20
	s_nop 1
	v_subb_co_u32_e32 v23, vcc, v21, v1, vcc
	v_mad_u64_u32 v[20:21], s[10:11], v20, 6, s[4:5]
	v_mov_b32_e32 v22, v21
	v_mad_u64_u32 v[22:23], s[10:11], v23, 6, v[22:23]
	v_mov_b32_e32 v21, v22
	global_load_dword v24, v[20:21], off
	global_load_ushort v25, v[20:21], off offset:4
	s_waitcnt vmcnt(3)
	v_lshlrev_b32_e32 v27, 16, v15
	v_and_b32_e32 v28, 0xffff0000, v16
	v_and_b32_e32 v21, 0xffff0000, v14
	v_lshlrev_b32_e32 v20, 16, v14
	v_lshlrev_b32_e32 v23, 16, v16
	v_and_b32_e32 v22, 0xffff0000, v15
	v_and_b32_e32 v15, 0xffff0000, v17
	v_lshlrev_b32_e32 v14, 16, v17
	s_waitcnt vmcnt(2)
	v_lshlrev_b32_e32 v17, 16, v19
	v_cmp_ge_i64_e32 vcc, v[2:3], v[6:7]
	s_or_b64 s[2:3], vcc, s[2:3]
	s_waitcnt vmcnt(1)
	v_lshlrev_b32_e32 v16, 16, v24
	v_and_b32_e32 v24, 0xffff0000, v24
	v_fmac_f32_e32 v18, v27, v16
	v_pk_fma_f32 v[10:11], v[20:21], v[16:17], v[10:11] op_sel_hi:[1,0,1]
	s_waitcnt vmcnt(0)
	v_lshlrev_b32_e32 v26, 16, v25
	v_fmac_f32_e32 v18, v28, v24
	v_pk_fma_f32 v[10:11], v[22:23], v[24:25], v[10:11] op_sel_hi:[1,0,1]
	v_fmac_f32_e32 v18, v17, v26
	v_pk_fma_f32 v[10:11], v[14:15], v[26:27], v[10:11] op_sel_hi:[1,0,1]
	s_andn2_b64 exec, exec, s[2:3]
	s_cbranch_execnz .LBB116_24
; %bb.25:
	s_or_b64 exec, exec, s[2:3]
.LBB116_26:
	s_or_b64 exec, exec, s[6:7]
.LBB116_27:
	v_mov_b32_dpp v2, v10 row_shr:1 row_mask:0xf bank_mask:0xf
	v_mov_b32_dpp v3, v11 row_shr:1 row_mask:0xf bank_mask:0xf
	;; [unrolled: 1-line block ×3, first 2 shown]
	v_pk_add_f32 v[2:3], v[10:11], v[2:3]
	v_add_f32_e32 v1, v18, v1
	v_cmp_eq_u32_e32 vcc, 7, v0
	v_mov_b32_dpp v6, v2 row_shr:2 row_mask:0xf bank_mask:0xf
	v_mov_b32_dpp v7, v3 row_shr:2 row_mask:0xf bank_mask:0xf
	v_mov_b32_dpp v8, v1 row_shr:2 row_mask:0xf bank_mask:0xf
	v_pk_add_f32 v[2:3], v[2:3], v[6:7]
	v_add_f32_e32 v1, v1, v8
	s_nop 0
	v_mov_b32_dpp v6, v2 row_shr:4 row_mask:0xf bank_mask:0xe
	v_mov_b32_dpp v7, v3 row_shr:4 row_mask:0xf bank_mask:0xe
	;; [unrolled: 1-line block ×3, first 2 shown]
	s_and_b64 exec, exec, vcc
	s_cbranch_execz .LBB116_10
; %bb.28:
	s_load_dwordx2 s[0:1], s[0:1], 0x58
	v_add_f32_e32 v0, v1, v8
	v_cmp_eq_f32_e64 s[2:3], s16, 0
	v_pk_add_f32 v[6:7], v[2:3], v[6:7]
	s_and_b64 vcc, exec, s[2:3]
	v_mul_f32_e32 v2, s12, v0
	s_cbranch_vccz .LBB116_30
; %bb.29:
	s_waitcnt lgkmcnt(0)
	v_mad_u64_u32 v[8:9], s[2:3], v4, 12, s[0:1]
	v_mov_b32_e32 v0, v9
	v_mad_u64_u32 v[0:1], s[2:3], v5, 12, v[0:1]
	v_mov_b32_e32 v9, v0
	v_pk_mul_f32 v[0:1], s[12:13], v[6:7] op_sel_hi:[0,1]
	global_store_dwordx3 v[8:9], v[0:2], off
	s_cbranch_execnz .LBB116_10
	s_branch .LBB116_31
.LBB116_30:
.LBB116_31:
	s_waitcnt lgkmcnt(0)
	v_mad_u64_u32 v[12:13], s[0:1], v4, 12, s[0:1]
	v_mov_b32_e32 v0, v13
	v_mad_u64_u32 v[0:1], s[0:1], v5, 12, v[0:1]
	v_mov_b32_e32 v13, v0
	global_load_dwordx3 v[8:10], v[12:13], off
	v_pk_mul_f32 v[0:1], s[12:13], v[6:7] op_sel_hi:[0,1]
	s_waitcnt vmcnt(0)
	v_pk_fma_f32 v[0:1], s[16:17], v[8:9], v[0:1] op_sel_hi:[0,1,1]
	v_fmac_f32_e32 v2, s16, v10
	global_store_dwordx3 v[12:13], v[0:2], off
	s_endpgm
	.section	.rodata,"a",@progbits
	.p2align	6, 0x0
	.amdhsa_kernel _ZN9rocsparseL18bsrxmvn_3x3_kernelILj256ELj8Efll18rocsparse_bfloat16S1_fEEvT3_20rocsparse_direction_NS_24const_host_device_scalarIT1_EES2_PKS2_PKT2_SB_S8_PKT4_PKT5_S6_PT6_21rocsparse_index_base_b
		.amdhsa_group_segment_fixed_size 0
		.amdhsa_private_segment_fixed_size 0
		.amdhsa_kernarg_size 104
		.amdhsa_user_sgpr_count 2
		.amdhsa_user_sgpr_dispatch_ptr 0
		.amdhsa_user_sgpr_queue_ptr 0
		.amdhsa_user_sgpr_kernarg_segment_ptr 1
		.amdhsa_user_sgpr_dispatch_id 0
		.amdhsa_user_sgpr_kernarg_preload_length 0
		.amdhsa_user_sgpr_kernarg_preload_offset 0
		.amdhsa_user_sgpr_private_segment_size 0
		.amdhsa_uses_dynamic_stack 0
		.amdhsa_enable_private_segment 0
		.amdhsa_system_sgpr_workgroup_id_x 1
		.amdhsa_system_sgpr_workgroup_id_y 0
		.amdhsa_system_sgpr_workgroup_id_z 0
		.amdhsa_system_sgpr_workgroup_info 0
		.amdhsa_system_vgpr_workitem_id 0
		.amdhsa_next_free_vgpr 32
		.amdhsa_next_free_sgpr 24
		.amdhsa_accum_offset 32
		.amdhsa_reserve_vcc 1
		.amdhsa_float_round_mode_32 0
		.amdhsa_float_round_mode_16_64 0
		.amdhsa_float_denorm_mode_32 3
		.amdhsa_float_denorm_mode_16_64 3
		.amdhsa_dx10_clamp 1
		.amdhsa_ieee_mode 1
		.amdhsa_fp16_overflow 0
		.amdhsa_tg_split 0
		.amdhsa_exception_fp_ieee_invalid_op 0
		.amdhsa_exception_fp_denorm_src 0
		.amdhsa_exception_fp_ieee_div_zero 0
		.amdhsa_exception_fp_ieee_overflow 0
		.amdhsa_exception_fp_ieee_underflow 0
		.amdhsa_exception_fp_ieee_inexact 0
		.amdhsa_exception_int_div_zero 0
	.end_amdhsa_kernel
	.section	.text._ZN9rocsparseL18bsrxmvn_3x3_kernelILj256ELj8Efll18rocsparse_bfloat16S1_fEEvT3_20rocsparse_direction_NS_24const_host_device_scalarIT1_EES2_PKS2_PKT2_SB_S8_PKT4_PKT5_S6_PT6_21rocsparse_index_base_b,"axG",@progbits,_ZN9rocsparseL18bsrxmvn_3x3_kernelILj256ELj8Efll18rocsparse_bfloat16S1_fEEvT3_20rocsparse_direction_NS_24const_host_device_scalarIT1_EES2_PKS2_PKT2_SB_S8_PKT4_PKT5_S6_PT6_21rocsparse_index_base_b,comdat
.Lfunc_end116:
	.size	_ZN9rocsparseL18bsrxmvn_3x3_kernelILj256ELj8Efll18rocsparse_bfloat16S1_fEEvT3_20rocsparse_direction_NS_24const_host_device_scalarIT1_EES2_PKS2_PKT2_SB_S8_PKT4_PKT5_S6_PT6_21rocsparse_index_base_b, .Lfunc_end116-_ZN9rocsparseL18bsrxmvn_3x3_kernelILj256ELj8Efll18rocsparse_bfloat16S1_fEEvT3_20rocsparse_direction_NS_24const_host_device_scalarIT1_EES2_PKS2_PKT2_SB_S8_PKT4_PKT5_S6_PT6_21rocsparse_index_base_b
                                        ; -- End function
	.section	.AMDGPU.csdata,"",@progbits
; Kernel info:
; codeLenInByte = 1356
; NumSgprs: 30
; NumVgprs: 32
; NumAgprs: 0
; TotalNumVgprs: 32
; ScratchSize: 0
; MemoryBound: 0
; FloatMode: 240
; IeeeMode: 1
; LDSByteSize: 0 bytes/workgroup (compile time only)
; SGPRBlocks: 3
; VGPRBlocks: 3
; NumSGPRsForWavesPerEU: 30
; NumVGPRsForWavesPerEU: 32
; AccumOffset: 32
; Occupancy: 8
; WaveLimiterHint : 1
; COMPUTE_PGM_RSRC2:SCRATCH_EN: 0
; COMPUTE_PGM_RSRC2:USER_SGPR: 2
; COMPUTE_PGM_RSRC2:TRAP_HANDLER: 0
; COMPUTE_PGM_RSRC2:TGID_X_EN: 1
; COMPUTE_PGM_RSRC2:TGID_Y_EN: 0
; COMPUTE_PGM_RSRC2:TGID_Z_EN: 0
; COMPUTE_PGM_RSRC2:TIDIG_COMP_CNT: 0
; COMPUTE_PGM_RSRC3_GFX90A:ACCUM_OFFSET: 7
; COMPUTE_PGM_RSRC3_GFX90A:TG_SPLIT: 0
	.section	.text._ZN9rocsparseL18bsrxmvn_3x3_kernelILj256ELj16Efll18rocsparse_bfloat16S1_fEEvT3_20rocsparse_direction_NS_24const_host_device_scalarIT1_EES2_PKS2_PKT2_SB_S8_PKT4_PKT5_S6_PT6_21rocsparse_index_base_b,"axG",@progbits,_ZN9rocsparseL18bsrxmvn_3x3_kernelILj256ELj16Efll18rocsparse_bfloat16S1_fEEvT3_20rocsparse_direction_NS_24const_host_device_scalarIT1_EES2_PKS2_PKT2_SB_S8_PKT4_PKT5_S6_PT6_21rocsparse_index_base_b,comdat
	.globl	_ZN9rocsparseL18bsrxmvn_3x3_kernelILj256ELj16Efll18rocsparse_bfloat16S1_fEEvT3_20rocsparse_direction_NS_24const_host_device_scalarIT1_EES2_PKS2_PKT2_SB_S8_PKT4_PKT5_S6_PT6_21rocsparse_index_base_b ; -- Begin function _ZN9rocsparseL18bsrxmvn_3x3_kernelILj256ELj16Efll18rocsparse_bfloat16S1_fEEvT3_20rocsparse_direction_NS_24const_host_device_scalarIT1_EES2_PKS2_PKT2_SB_S8_PKT4_PKT5_S6_PT6_21rocsparse_index_base_b
	.p2align	8
	.type	_ZN9rocsparseL18bsrxmvn_3x3_kernelILj256ELj16Efll18rocsparse_bfloat16S1_fEEvT3_20rocsparse_direction_NS_24const_host_device_scalarIT1_EES2_PKS2_PKT2_SB_S8_PKT4_PKT5_S6_PT6_21rocsparse_index_base_b,@function
_ZN9rocsparseL18bsrxmvn_3x3_kernelILj256ELj16Efll18rocsparse_bfloat16S1_fEEvT3_20rocsparse_direction_NS_24const_host_device_scalarIT1_EES2_PKS2_PKT2_SB_S8_PKT4_PKT5_S6_PT6_21rocsparse_index_base_b: ; @_ZN9rocsparseL18bsrxmvn_3x3_kernelILj256ELj16Efll18rocsparse_bfloat16S1_fEEvT3_20rocsparse_direction_NS_24const_host_device_scalarIT1_EES2_PKS2_PKT2_SB_S8_PKT4_PKT5_S6_PT6_21rocsparse_index_base_b
; %bb.0:
	s_load_dwordx2 s[18:19], s[0:1], 0x60
	s_load_dwordx4 s[12:15], s[0:1], 0x10
	s_load_dwordx2 s[16:17], s[0:1], 0x50
	s_waitcnt lgkmcnt(0)
	s_bitcmp1_b32 s19, 0
	s_cselect_b64 s[6:7], -1, 0
	s_xor_b64 s[4:5], s[6:7], -1
	s_and_b64 vcc, exec, s[6:7]
	s_cbranch_vccnz .LBB117_2
; %bb.1:
	s_load_dword s12, s[12:13], 0x0
.LBB117_2:
	s_andn2_b64 vcc, exec, s[4:5]
	s_cbranch_vccnz .LBB117_4
; %bb.3:
	s_load_dword s16, s[16:17], 0x0
.LBB117_4:
	s_waitcnt lgkmcnt(0)
	v_cmp_neq_f32_e64 s[4:5], s12, 0
	v_cmp_neq_f32_e64 s[6:7], s16, 1.0
	s_or_b64 s[4:5], s[4:5], s[6:7]
	s_andn2_b64 vcc, exec, s[4:5]
	s_cbranch_vccnz .LBB117_10
; %bb.5:
	s_load_dwordx2 s[4:5], s[0:1], 0x20
	v_lshrrev_b32_e32 v1, 4, v0
	v_lshl_or_b32 v2, s2, 4, v1
	v_mov_b32_e32 v3, 0
	s_mov_b64 s[2:3], 0
	s_waitcnt lgkmcnt(0)
	s_cmp_lg_u64 s[4:5], 0
	s_cbranch_scc0 .LBB117_11
; %bb.6:
	v_cmp_gt_i64_e32 vcc, s[14:15], v[2:3]
                                        ; implicit-def: $vgpr4_vgpr5
	s_and_saveexec_b64 s[6:7], vcc
	s_xor_b64 s[6:7], exec, s[6:7]
                                        ; implicit-def: $sgpr14_sgpr15
	s_cbranch_execz .LBB117_8
; %bb.7:
	v_lshl_add_u64 v[4:5], v[2:3], 3, s[4:5]
	global_load_dwordx2 v[4:5], v[4:5], off
	s_mov_b64 s[2:3], exec
	s_mov_b32 s15, 0
	s_waitcnt vmcnt(0)
	v_subrev_co_u32_e32 v4, vcc, s18, v4
	s_nop 1
	v_subbrev_co_u32_e32 v5, vcc, 0, v5, vcc
.LBB117_8:
	s_or_b64 exec, exec, s[6:7]
.LBB117_9:
	s_and_saveexec_b64 s[4:5], s[2:3]
	s_cbranch_execnz .LBB117_15
.LBB117_10:
	s_endpgm
.LBB117_11:
                                        ; implicit-def: $vgpr4_vgpr5
                                        ; implicit-def: $sgpr14_sgpr15
	s_cbranch_execz .LBB117_9
; %bb.12:
	s_load_dwordx2 s[4:5], s[0:1], 0x0
                                        ; implicit-def: $vgpr4_vgpr5
	s_waitcnt lgkmcnt(0)
	v_cmp_gt_i64_e32 vcc, s[4:5], v[2:3]
	s_and_saveexec_b64 s[4:5], vcc
                                        ; implicit-def: $sgpr14_sgpr15
; %bb.13:
	s_mov_b32 s15, 0
	s_or_b64 s[2:3], s[2:3], exec
	v_mov_b64_e32 v[4:5], v[2:3]
; %bb.14:
	s_or_b64 exec, exec, s[4:5]
	s_and_saveexec_b64 s[4:5], s[2:3]
	s_cbranch_execz .LBB117_10
.LBB117_15:
	s_load_dwordx8 s[4:11], s[0:1], 0x28
	v_lshlrev_b64 v[2:3], 3, v[4:5]
	v_mov_b32_e32 v10, s15
	v_and_b32_e32 v0, 15, v0
	v_mov_b32_e32 v1, 0
	s_waitcnt lgkmcnt(0)
	v_lshl_add_u64 v[6:7], s[4:5], 0, v[2:3]
	s_cmp_eq_u64 s[6:7], 0
	global_load_dwordx2 v[8:9], v[6:7], off
	v_lshl_add_u64 v[2:3], s[6:7], 0, v[2:3]
	v_lshl_add_u64 v[6:7], v[6:7], 0, 8
	s_cselect_b64 vcc, -1, 0
	v_cndmask_b32_e32 v3, v3, v7, vcc
	v_cndmask_b32_e32 v2, v2, v6, vcc
	global_load_dwordx2 v[6:7], v[2:3], off
	s_load_dword s2, s[0:1], 0x8
	s_load_dwordx2 s[4:5], s[0:1], 0x48
	s_waitcnt lgkmcnt(0)
	s_cmp_eq_u32 s2, 1
	s_waitcnt vmcnt(1)
	v_subrev_co_u32_e32 v2, vcc, s18, v8
	s_nop 1
	v_subb_co_u32_e32 v3, vcc, v9, v10, vcc
	v_lshl_add_u64 v[2:3], v[2:3], 0, v[0:1]
	v_mad_u64_u32 v[8:9], s[2:3], v2, 18, s[10:11]
	s_waitcnt vmcnt(0)
	v_subrev_co_u32_e32 v6, vcc, s18, v6
	s_nop 1
	v_subb_co_u32_e32 v7, vcc, v7, v10, vcc
	v_mov_b32_e32 v10, v9
	v_mad_u64_u32 v[10:11], s[2:3], v3, 18, v[10:11]
	v_mov_b32_e32 v9, v10
	v_cmp_lt_i64_e64 s[2:3], v[2:3], v[6:7]
	s_cbranch_scc1 .LBB117_21
; %bb.16:
	v_mov_b32_e32 v10, v1
	v_mov_b32_e32 v18, v1
	s_and_saveexec_b64 s[6:7], s[2:3]
	s_cbranch_execz .LBB117_20
; %bb.17:
	v_mov_b32_e32 v18, 0
	v_lshl_add_u64 v[12:13], v[2:3], 3, s[8:9]
	s_mov_b64 s[10:11], 0
	v_mov_b32_e32 v1, s15
	s_mov_b64 s[20:21], 0x120
	s_mov_b64 s[22:23], 0x80
	v_mov_b64_e32 v[14:15], v[8:9]
	v_mov_b64_e32 v[16:17], v[2:3]
	v_mov_b32_e32 v10, 0
	v_mov_b32_e32 v11, v18
.LBB117_18:                             ; =>This Inner Loop Header: Depth=1
	global_load_dwordx2 v[24:25], v[12:13], off
	global_load_dwordx4 v[20:23], v[14:15], off
	global_load_ushort v19, v[14:15], off offset:16
	v_lshl_add_u64 v[16:17], v[16:17], 0, 16
	v_lshl_add_u64 v[14:15], v[14:15], 0, s[20:21]
	;; [unrolled: 1-line block ×3, first 2 shown]
	s_waitcnt vmcnt(2)
	v_subrev_co_u32_e32 v24, vcc, s18, v24
	s_nop 1
	v_subb_co_u32_e32 v27, vcc, v25, v1, vcc
	v_mad_u64_u32 v[24:25], s[24:25], v24, 6, s[4:5]
	v_mov_b32_e32 v26, v25
	v_mad_u64_u32 v[26:27], s[24:25], v27, 6, v[26:27]
	v_mov_b32_e32 v25, v26
	global_load_dword v30, v[24:25], off
	global_load_ushort v31, v[24:25], off offset:4
	s_waitcnt vmcnt(3)
	v_lshlrev_b32_e32 v24, 16, v20
	v_and_b32_e32 v25, 0xffff0000, v21
	v_and_b32_e32 v26, 0xffff0000, v20
	v_lshlrev_b32_e32 v28, 16, v21
	v_lshlrev_b32_e32 v21, 16, v23
	;; [unrolled: 1-line block ×3, first 2 shown]
	v_and_b32_e32 v29, 0xffff0000, v22
	v_and_b32_e32 v23, 0xffff0000, v23
	v_cmp_ge_i64_e32 vcc, v[16:17], v[6:7]
	s_waitcnt vmcnt(2)
	v_lshlrev_b32_e32 v19, 16, v19
	s_or_b64 s[10:11], vcc, s[10:11]
	s_waitcnt vmcnt(1)
	v_lshlrev_b32_e32 v20, 16, v30
	v_and_b32_e32 v22, 0xffff0000, v30
	v_pk_fma_f32 v[10:11], v[24:25], v[20:21], v[10:11] op_sel_hi:[1,0,1]
	v_fmac_f32_e32 v18, v21, v20
	s_waitcnt vmcnt(0)
	v_lshlrev_b32_e32 v30, 16, v31
	v_pk_fma_f32 v[10:11], v[26:27], v[22:23], v[10:11] op_sel_hi:[1,0,1]
	v_fmac_f32_e32 v18, v23, v22
	v_pk_fma_f32 v[10:11], v[28:29], v[30:31], v[10:11] op_sel_hi:[1,0,1]
	v_fmac_f32_e32 v18, v19, v30
	s_andn2_b64 exec, exec, s[10:11]
	s_cbranch_execnz .LBB117_18
; %bb.19:
	s_or_b64 exec, exec, s[10:11]
	v_mov_b32_e32 v1, v11
.LBB117_20:
	s_or_b64 exec, exec, s[6:7]
	v_mov_b32_e32 v11, v1
	s_cbranch_execz .LBB117_22
	s_branch .LBB117_27
.LBB117_21:
                                        ; implicit-def: $vgpr11
                                        ; implicit-def: $vgpr18
.LBB117_22:
	v_mov_b32_e32 v11, 0
	v_mov_b32_e32 v10, v11
	;; [unrolled: 1-line block ×3, first 2 shown]
	s_and_saveexec_b64 s[6:7], s[2:3]
	s_cbranch_execz .LBB117_26
; %bb.23:
	v_mov_b32_e32 v18, 0
	v_lshl_add_u64 v[12:13], v[2:3], 3, s[8:9]
	s_mov_b64 s[2:3], 0
	v_mov_b32_e32 v1, s15
	s_mov_b64 s[8:9], 0x120
	s_mov_b64 s[10:11], 0x80
	v_mov_b32_e32 v10, 0
	v_mov_b32_e32 v11, v18
.LBB117_24:                             ; =>This Inner Loop Header: Depth=1
	global_load_dwordx2 v[20:21], v[12:13], off
	global_load_dwordx4 v[14:17], v[8:9], off
	global_load_ushort v19, v[8:9], off offset:16
	v_lshl_add_u64 v[2:3], v[2:3], 0, 16
	v_lshl_add_u64 v[8:9], v[8:9], 0, s[8:9]
	;; [unrolled: 1-line block ×3, first 2 shown]
	s_waitcnt vmcnt(2)
	v_subrev_co_u32_e32 v20, vcc, s18, v20
	s_nop 1
	v_subb_co_u32_e32 v23, vcc, v21, v1, vcc
	v_mad_u64_u32 v[20:21], s[14:15], v20, 6, s[4:5]
	v_mov_b32_e32 v22, v21
	v_mad_u64_u32 v[22:23], s[14:15], v23, 6, v[22:23]
	v_mov_b32_e32 v21, v22
	global_load_dword v24, v[20:21], off
	global_load_ushort v25, v[20:21], off offset:4
	s_waitcnt vmcnt(3)
	v_and_b32_e32 v21, 0xffff0000, v14
	v_lshlrev_b32_e32 v20, 16, v14
	v_lshlrev_b32_e32 v27, 16, v15
	v_and_b32_e32 v28, 0xffff0000, v16
	v_lshlrev_b32_e32 v23, 16, v16
	v_and_b32_e32 v22, 0xffff0000, v15
	v_and_b32_e32 v15, 0xffff0000, v17
	v_lshlrev_b32_e32 v14, 16, v17
	s_waitcnt vmcnt(2)
	v_lshlrev_b32_e32 v17, 16, v19
	v_cmp_ge_i64_e32 vcc, v[2:3], v[6:7]
	s_or_b64 s[2:3], vcc, s[2:3]
	s_waitcnt vmcnt(1)
	v_lshlrev_b32_e32 v16, 16, v24
	v_and_b32_e32 v24, 0xffff0000, v24
	v_fmac_f32_e32 v18, v27, v16
	v_pk_fma_f32 v[10:11], v[20:21], v[16:17], v[10:11] op_sel_hi:[1,0,1]
	s_waitcnt vmcnt(0)
	v_lshlrev_b32_e32 v26, 16, v25
	v_fmac_f32_e32 v18, v28, v24
	v_pk_fma_f32 v[10:11], v[22:23], v[24:25], v[10:11] op_sel_hi:[1,0,1]
	v_fmac_f32_e32 v18, v17, v26
	v_pk_fma_f32 v[10:11], v[14:15], v[26:27], v[10:11] op_sel_hi:[1,0,1]
	s_andn2_b64 exec, exec, s[2:3]
	s_cbranch_execnz .LBB117_24
; %bb.25:
	s_or_b64 exec, exec, s[2:3]
.LBB117_26:
	s_or_b64 exec, exec, s[6:7]
.LBB117_27:
	v_mov_b32_dpp v2, v10 row_shr:1 row_mask:0xf bank_mask:0xf
	v_mov_b32_dpp v3, v11 row_shr:1 row_mask:0xf bank_mask:0xf
	;; [unrolled: 1-line block ×3, first 2 shown]
	v_pk_add_f32 v[2:3], v[10:11], v[2:3]
	v_add_f32_e32 v1, v18, v1
	v_cmp_eq_u32_e32 vcc, 15, v0
	v_mov_b32_dpp v6, v2 row_shr:2 row_mask:0xf bank_mask:0xf
	v_mov_b32_dpp v7, v3 row_shr:2 row_mask:0xf bank_mask:0xf
	v_mov_b32_dpp v8, v1 row_shr:2 row_mask:0xf bank_mask:0xf
	v_pk_add_f32 v[2:3], v[2:3], v[6:7]
	v_add_f32_e32 v1, v1, v8
	s_nop 0
	v_mov_b32_dpp v6, v2 row_shr:4 row_mask:0xf bank_mask:0xe
	v_mov_b32_dpp v7, v3 row_shr:4 row_mask:0xf bank_mask:0xe
	;; [unrolled: 1-line block ×3, first 2 shown]
	v_pk_add_f32 v[2:3], v[2:3], v[6:7]
	v_add_f32_e32 v1, v1, v8
	s_nop 0
	v_mov_b32_dpp v6, v2 row_shr:8 row_mask:0xf bank_mask:0xc
	v_mov_b32_dpp v7, v3 row_shr:8 row_mask:0xf bank_mask:0xc
	;; [unrolled: 1-line block ×3, first 2 shown]
	s_and_b64 exec, exec, vcc
	s_cbranch_execz .LBB117_10
; %bb.28:
	s_load_dwordx2 s[0:1], s[0:1], 0x58
	v_add_f32_e32 v0, v1, v8
	v_cmp_eq_f32_e64 s[2:3], s16, 0
	v_pk_add_f32 v[6:7], v[2:3], v[6:7]
	s_and_b64 vcc, exec, s[2:3]
	v_mul_f32_e32 v2, s12, v0
	s_cbranch_vccz .LBB117_30
; %bb.29:
	s_waitcnt lgkmcnt(0)
	v_mad_u64_u32 v[8:9], s[2:3], v4, 12, s[0:1]
	v_mov_b32_e32 v0, v9
	v_mad_u64_u32 v[0:1], s[2:3], v5, 12, v[0:1]
	v_mov_b32_e32 v9, v0
	v_pk_mul_f32 v[0:1], s[12:13], v[6:7] op_sel_hi:[0,1]
	global_store_dwordx3 v[8:9], v[0:2], off
	s_cbranch_execnz .LBB117_10
	s_branch .LBB117_31
.LBB117_30:
.LBB117_31:
	s_waitcnt lgkmcnt(0)
	v_mad_u64_u32 v[12:13], s[0:1], v4, 12, s[0:1]
	v_mov_b32_e32 v0, v13
	v_mad_u64_u32 v[0:1], s[0:1], v5, 12, v[0:1]
	v_mov_b32_e32 v13, v0
	global_load_dwordx3 v[8:10], v[12:13], off
	v_pk_mul_f32 v[0:1], s[12:13], v[6:7] op_sel_hi:[0,1]
	s_waitcnt vmcnt(0)
	v_pk_fma_f32 v[0:1], s[16:17], v[8:9], v[0:1] op_sel_hi:[0,1,1]
	v_fmac_f32_e32 v2, s16, v10
	global_store_dwordx3 v[12:13], v[0:2], off
	s_endpgm
	.section	.rodata,"a",@progbits
	.p2align	6, 0x0
	.amdhsa_kernel _ZN9rocsparseL18bsrxmvn_3x3_kernelILj256ELj16Efll18rocsparse_bfloat16S1_fEEvT3_20rocsparse_direction_NS_24const_host_device_scalarIT1_EES2_PKS2_PKT2_SB_S8_PKT4_PKT5_S6_PT6_21rocsparse_index_base_b
		.amdhsa_group_segment_fixed_size 0
		.amdhsa_private_segment_fixed_size 0
		.amdhsa_kernarg_size 104
		.amdhsa_user_sgpr_count 2
		.amdhsa_user_sgpr_dispatch_ptr 0
		.amdhsa_user_sgpr_queue_ptr 0
		.amdhsa_user_sgpr_kernarg_segment_ptr 1
		.amdhsa_user_sgpr_dispatch_id 0
		.amdhsa_user_sgpr_kernarg_preload_length 0
		.amdhsa_user_sgpr_kernarg_preload_offset 0
		.amdhsa_user_sgpr_private_segment_size 0
		.amdhsa_uses_dynamic_stack 0
		.amdhsa_enable_private_segment 0
		.amdhsa_system_sgpr_workgroup_id_x 1
		.amdhsa_system_sgpr_workgroup_id_y 0
		.amdhsa_system_sgpr_workgroup_id_z 0
		.amdhsa_system_sgpr_workgroup_info 0
		.amdhsa_system_vgpr_workitem_id 0
		.amdhsa_next_free_vgpr 32
		.amdhsa_next_free_sgpr 26
		.amdhsa_accum_offset 32
		.amdhsa_reserve_vcc 1
		.amdhsa_float_round_mode_32 0
		.amdhsa_float_round_mode_16_64 0
		.amdhsa_float_denorm_mode_32 3
		.amdhsa_float_denorm_mode_16_64 3
		.amdhsa_dx10_clamp 1
		.amdhsa_ieee_mode 1
		.amdhsa_fp16_overflow 0
		.amdhsa_tg_split 0
		.amdhsa_exception_fp_ieee_invalid_op 0
		.amdhsa_exception_fp_denorm_src 0
		.amdhsa_exception_fp_ieee_div_zero 0
		.amdhsa_exception_fp_ieee_overflow 0
		.amdhsa_exception_fp_ieee_underflow 0
		.amdhsa_exception_fp_ieee_inexact 0
		.amdhsa_exception_int_div_zero 0
	.end_amdhsa_kernel
	.section	.text._ZN9rocsparseL18bsrxmvn_3x3_kernelILj256ELj16Efll18rocsparse_bfloat16S1_fEEvT3_20rocsparse_direction_NS_24const_host_device_scalarIT1_EES2_PKS2_PKT2_SB_S8_PKT4_PKT5_S6_PT6_21rocsparse_index_base_b,"axG",@progbits,_ZN9rocsparseL18bsrxmvn_3x3_kernelILj256ELj16Efll18rocsparse_bfloat16S1_fEEvT3_20rocsparse_direction_NS_24const_host_device_scalarIT1_EES2_PKS2_PKT2_SB_S8_PKT4_PKT5_S6_PT6_21rocsparse_index_base_b,comdat
.Lfunc_end117:
	.size	_ZN9rocsparseL18bsrxmvn_3x3_kernelILj256ELj16Efll18rocsparse_bfloat16S1_fEEvT3_20rocsparse_direction_NS_24const_host_device_scalarIT1_EES2_PKS2_PKT2_SB_S8_PKT4_PKT5_S6_PT6_21rocsparse_index_base_b, .Lfunc_end117-_ZN9rocsparseL18bsrxmvn_3x3_kernelILj256ELj16Efll18rocsparse_bfloat16S1_fEEvT3_20rocsparse_direction_NS_24const_host_device_scalarIT1_EES2_PKS2_PKT2_SB_S8_PKT4_PKT5_S6_PT6_21rocsparse_index_base_b
                                        ; -- End function
	.section	.AMDGPU.csdata,"",@progbits
; Kernel info:
; codeLenInByte = 1412
; NumSgprs: 32
; NumVgprs: 32
; NumAgprs: 0
; TotalNumVgprs: 32
; ScratchSize: 0
; MemoryBound: 0
; FloatMode: 240
; IeeeMode: 1
; LDSByteSize: 0 bytes/workgroup (compile time only)
; SGPRBlocks: 3
; VGPRBlocks: 3
; NumSGPRsForWavesPerEU: 32
; NumVGPRsForWavesPerEU: 32
; AccumOffset: 32
; Occupancy: 8
; WaveLimiterHint : 1
; COMPUTE_PGM_RSRC2:SCRATCH_EN: 0
; COMPUTE_PGM_RSRC2:USER_SGPR: 2
; COMPUTE_PGM_RSRC2:TRAP_HANDLER: 0
; COMPUTE_PGM_RSRC2:TGID_X_EN: 1
; COMPUTE_PGM_RSRC2:TGID_Y_EN: 0
; COMPUTE_PGM_RSRC2:TGID_Z_EN: 0
; COMPUTE_PGM_RSRC2:TIDIG_COMP_CNT: 0
; COMPUTE_PGM_RSRC3_GFX90A:ACCUM_OFFSET: 7
; COMPUTE_PGM_RSRC3_GFX90A:TG_SPLIT: 0
	.section	.text._ZN9rocsparseL18bsrxmvn_3x3_kernelILj256ELj32Efll18rocsparse_bfloat16S1_fEEvT3_20rocsparse_direction_NS_24const_host_device_scalarIT1_EES2_PKS2_PKT2_SB_S8_PKT4_PKT5_S6_PT6_21rocsparse_index_base_b,"axG",@progbits,_ZN9rocsparseL18bsrxmvn_3x3_kernelILj256ELj32Efll18rocsparse_bfloat16S1_fEEvT3_20rocsparse_direction_NS_24const_host_device_scalarIT1_EES2_PKS2_PKT2_SB_S8_PKT4_PKT5_S6_PT6_21rocsparse_index_base_b,comdat
	.globl	_ZN9rocsparseL18bsrxmvn_3x3_kernelILj256ELj32Efll18rocsparse_bfloat16S1_fEEvT3_20rocsparse_direction_NS_24const_host_device_scalarIT1_EES2_PKS2_PKT2_SB_S8_PKT4_PKT5_S6_PT6_21rocsparse_index_base_b ; -- Begin function _ZN9rocsparseL18bsrxmvn_3x3_kernelILj256ELj32Efll18rocsparse_bfloat16S1_fEEvT3_20rocsparse_direction_NS_24const_host_device_scalarIT1_EES2_PKS2_PKT2_SB_S8_PKT4_PKT5_S6_PT6_21rocsparse_index_base_b
	.p2align	8
	.type	_ZN9rocsparseL18bsrxmvn_3x3_kernelILj256ELj32Efll18rocsparse_bfloat16S1_fEEvT3_20rocsparse_direction_NS_24const_host_device_scalarIT1_EES2_PKS2_PKT2_SB_S8_PKT4_PKT5_S6_PT6_21rocsparse_index_base_b,@function
_ZN9rocsparseL18bsrxmvn_3x3_kernelILj256ELj32Efll18rocsparse_bfloat16S1_fEEvT3_20rocsparse_direction_NS_24const_host_device_scalarIT1_EES2_PKS2_PKT2_SB_S8_PKT4_PKT5_S6_PT6_21rocsparse_index_base_b: ; @_ZN9rocsparseL18bsrxmvn_3x3_kernelILj256ELj32Efll18rocsparse_bfloat16S1_fEEvT3_20rocsparse_direction_NS_24const_host_device_scalarIT1_EES2_PKS2_PKT2_SB_S8_PKT4_PKT5_S6_PT6_21rocsparse_index_base_b
; %bb.0:
	s_load_dwordx2 s[18:19], s[0:1], 0x60
	s_load_dwordx4 s[12:15], s[0:1], 0x10
	s_load_dwordx2 s[16:17], s[0:1], 0x50
	s_waitcnt lgkmcnt(0)
	s_bitcmp1_b32 s19, 0
	s_cselect_b64 s[6:7], -1, 0
	s_xor_b64 s[4:5], s[6:7], -1
	s_and_b64 vcc, exec, s[6:7]
	s_cbranch_vccnz .LBB118_2
; %bb.1:
	s_load_dword s12, s[12:13], 0x0
.LBB118_2:
	s_andn2_b64 vcc, exec, s[4:5]
	s_cbranch_vccnz .LBB118_4
; %bb.3:
	s_load_dword s16, s[16:17], 0x0
.LBB118_4:
	s_waitcnt lgkmcnt(0)
	v_cmp_neq_f32_e64 s[4:5], s12, 0
	v_cmp_neq_f32_e64 s[6:7], s16, 1.0
	s_or_b64 s[4:5], s[4:5], s[6:7]
	s_andn2_b64 vcc, exec, s[4:5]
	s_cbranch_vccnz .LBB118_10
; %bb.5:
	s_load_dwordx2 s[4:5], s[0:1], 0x20
	v_lshrrev_b32_e32 v1, 5, v0
	v_lshl_or_b32 v2, s2, 3, v1
	v_mov_b32_e32 v3, 0
	s_mov_b64 s[2:3], 0
	s_waitcnt lgkmcnt(0)
	s_cmp_lg_u64 s[4:5], 0
	s_cbranch_scc0 .LBB118_11
; %bb.6:
	v_cmp_gt_i64_e32 vcc, s[14:15], v[2:3]
                                        ; implicit-def: $vgpr4_vgpr5
	s_and_saveexec_b64 s[6:7], vcc
	s_xor_b64 s[6:7], exec, s[6:7]
                                        ; implicit-def: $sgpr14_sgpr15
	s_cbranch_execz .LBB118_8
; %bb.7:
	v_lshl_add_u64 v[4:5], v[2:3], 3, s[4:5]
	global_load_dwordx2 v[4:5], v[4:5], off
	s_mov_b64 s[2:3], exec
	s_mov_b32 s15, 0
	s_waitcnt vmcnt(0)
	v_subrev_co_u32_e32 v4, vcc, s18, v4
	s_nop 1
	v_subbrev_co_u32_e32 v5, vcc, 0, v5, vcc
.LBB118_8:
	s_or_b64 exec, exec, s[6:7]
.LBB118_9:
	s_and_saveexec_b64 s[4:5], s[2:3]
	s_cbranch_execnz .LBB118_15
.LBB118_10:
	s_endpgm
.LBB118_11:
                                        ; implicit-def: $vgpr4_vgpr5
                                        ; implicit-def: $sgpr14_sgpr15
	s_cbranch_execz .LBB118_9
; %bb.12:
	s_load_dwordx2 s[4:5], s[0:1], 0x0
                                        ; implicit-def: $vgpr4_vgpr5
	s_waitcnt lgkmcnt(0)
	v_cmp_gt_i64_e32 vcc, s[4:5], v[2:3]
	s_and_saveexec_b64 s[4:5], vcc
                                        ; implicit-def: $sgpr14_sgpr15
; %bb.13:
	s_mov_b32 s15, 0
	s_or_b64 s[2:3], s[2:3], exec
	v_mov_b64_e32 v[4:5], v[2:3]
; %bb.14:
	s_or_b64 exec, exec, s[4:5]
	s_and_saveexec_b64 s[4:5], s[2:3]
	s_cbranch_execz .LBB118_10
.LBB118_15:
	s_load_dwordx8 s[4:11], s[0:1], 0x28
	v_lshlrev_b64 v[2:3], 3, v[4:5]
	v_mov_b32_e32 v10, s15
	v_and_b32_e32 v0, 31, v0
	v_mov_b32_e32 v1, 0
	s_waitcnt lgkmcnt(0)
	v_lshl_add_u64 v[6:7], s[4:5], 0, v[2:3]
	s_cmp_eq_u64 s[6:7], 0
	global_load_dwordx2 v[8:9], v[6:7], off
	v_lshl_add_u64 v[2:3], s[6:7], 0, v[2:3]
	v_lshl_add_u64 v[6:7], v[6:7], 0, 8
	s_cselect_b64 vcc, -1, 0
	v_cndmask_b32_e32 v3, v3, v7, vcc
	v_cndmask_b32_e32 v2, v2, v6, vcc
	global_load_dwordx2 v[6:7], v[2:3], off
	s_load_dword s2, s[0:1], 0x8
	s_load_dwordx2 s[4:5], s[0:1], 0x48
	s_waitcnt lgkmcnt(0)
	s_cmp_eq_u32 s2, 1
	s_waitcnt vmcnt(1)
	v_subrev_co_u32_e32 v2, vcc, s18, v8
	s_nop 1
	v_subb_co_u32_e32 v3, vcc, v9, v10, vcc
	v_lshl_add_u64 v[2:3], v[2:3], 0, v[0:1]
	v_mad_u64_u32 v[8:9], s[2:3], v2, 18, s[10:11]
	s_waitcnt vmcnt(0)
	v_subrev_co_u32_e32 v6, vcc, s18, v6
	s_nop 1
	v_subb_co_u32_e32 v7, vcc, v7, v10, vcc
	v_mov_b32_e32 v10, v9
	v_mad_u64_u32 v[10:11], s[2:3], v3, 18, v[10:11]
	v_mov_b32_e32 v9, v10
	v_cmp_lt_i64_e64 s[2:3], v[2:3], v[6:7]
	s_cbranch_scc1 .LBB118_21
; %bb.16:
	v_mov_b32_e32 v10, v1
	v_mov_b32_e32 v18, v1
	s_and_saveexec_b64 s[6:7], s[2:3]
	s_cbranch_execz .LBB118_20
; %bb.17:
	v_mov_b32_e32 v18, 0
	v_lshl_add_u64 v[12:13], v[2:3], 3, s[8:9]
	s_mov_b64 s[10:11], 0
	v_mov_b32_e32 v1, s15
	s_mov_b64 s[20:21], 0x240
	s_mov_b64 s[22:23], 0x100
	v_mov_b64_e32 v[14:15], v[8:9]
	v_mov_b64_e32 v[16:17], v[2:3]
	v_mov_b32_e32 v11, 0
	v_mov_b32_e32 v10, v18
.LBB118_18:                             ; =>This Inner Loop Header: Depth=1
	global_load_dwordx2 v[24:25], v[12:13], off
	global_load_dwordx4 v[20:23], v[14:15], off
	global_load_ushort v19, v[14:15], off offset:16
	v_lshl_add_u64 v[16:17], v[16:17], 0, 32
	v_lshl_add_u64 v[14:15], v[14:15], 0, s[20:21]
	;; [unrolled: 1-line block ×3, first 2 shown]
	s_waitcnt vmcnt(2)
	v_subrev_co_u32_e32 v24, vcc, s18, v24
	s_nop 1
	v_subb_co_u32_e32 v27, vcc, v25, v1, vcc
	v_mad_u64_u32 v[24:25], s[24:25], v24, 6, s[4:5]
	v_mov_b32_e32 v26, v25
	v_mad_u64_u32 v[26:27], s[24:25], v27, 6, v[26:27]
	v_mov_b32_e32 v25, v26
	global_load_dword v30, v[24:25], off
	global_load_ushort v31, v[24:25], off offset:4
	s_waitcnt vmcnt(3)
	v_and_b32_e32 v24, 0xffff0000, v20
	v_and_b32_e32 v27, 0xffff0000, v21
	v_lshlrev_b32_e32 v26, 16, v20
	v_lshlrev_b32_e32 v28, 16, v21
	;; [unrolled: 1-line block ×4, first 2 shown]
	v_and_b32_e32 v29, 0xffff0000, v22
	v_and_b32_e32 v23, 0xffff0000, v23
	v_cmp_ge_i64_e32 vcc, v[16:17], v[6:7]
	s_waitcnt vmcnt(2)
	v_lshlrev_b32_e32 v19, 16, v19
	s_or_b64 s[10:11], vcc, s[10:11]
	s_waitcnt vmcnt(1)
	v_lshlrev_b32_e32 v20, 16, v30
	v_and_b32_e32 v22, 0xffff0000, v30
	v_pk_fma_f32 v[10:11], v[26:27], v[20:21], v[10:11] op_sel_hi:[1,0,1]
	v_fmac_f32_e32 v18, v21, v20
	s_waitcnt vmcnt(0)
	v_lshlrev_b32_e32 v30, 16, v31
	v_pk_fma_f32 v[10:11], v[24:25], v[22:23], v[10:11] op_sel_hi:[1,0,1]
	v_fmac_f32_e32 v18, v23, v22
	v_pk_fma_f32 v[10:11], v[28:29], v[30:31], v[10:11] op_sel_hi:[1,0,1]
	v_fmac_f32_e32 v18, v19, v30
	s_andn2_b64 exec, exec, s[10:11]
	s_cbranch_execnz .LBB118_18
; %bb.19:
	s_or_b64 exec, exec, s[10:11]
	v_mov_b32_e32 v1, v11
.LBB118_20:
	s_or_b64 exec, exec, s[6:7]
	v_mov_b32_e32 v11, v1
	s_cbranch_execz .LBB118_22
	s_branch .LBB118_27
.LBB118_21:
                                        ; implicit-def: $vgpr11
                                        ; implicit-def: $vgpr18
.LBB118_22:
	v_mov_b32_e32 v11, 0
	v_mov_b32_e32 v10, v11
	;; [unrolled: 1-line block ×3, first 2 shown]
	s_and_saveexec_b64 s[6:7], s[2:3]
	s_cbranch_execz .LBB118_26
; %bb.23:
	v_mov_b32_e32 v18, 0
	v_lshl_add_u64 v[12:13], v[2:3], 3, s[8:9]
	s_mov_b64 s[2:3], 0
	v_mov_b32_e32 v1, s15
	s_mov_b64 s[8:9], 0x240
	s_mov_b64 s[10:11], 0x100
	v_mov_b32_e32 v11, 0
	v_mov_b32_e32 v10, v18
.LBB118_24:                             ; =>This Inner Loop Header: Depth=1
	global_load_dwordx2 v[20:21], v[12:13], off
	global_load_dwordx4 v[14:17], v[8:9], off
	global_load_ushort v19, v[8:9], off offset:16
	v_lshl_add_u64 v[2:3], v[2:3], 0, 32
	v_lshl_add_u64 v[8:9], v[8:9], 0, s[8:9]
	;; [unrolled: 1-line block ×3, first 2 shown]
	s_waitcnt vmcnt(2)
	v_subrev_co_u32_e32 v20, vcc, s18, v20
	s_nop 1
	v_subb_co_u32_e32 v23, vcc, v21, v1, vcc
	v_mad_u64_u32 v[20:21], s[14:15], v20, 6, s[4:5]
	v_mov_b32_e32 v22, v21
	v_mad_u64_u32 v[22:23], s[14:15], v23, 6, v[22:23]
	v_mov_b32_e32 v21, v22
	global_load_dword v24, v[20:21], off
	global_load_ushort v25, v[20:21], off offset:4
	s_waitcnt vmcnt(3)
	v_and_b32_e32 v21, 0xffff0000, v14
	v_lshlrev_b32_e32 v20, 16, v14
	v_lshlrev_b32_e32 v27, 16, v15
	;; [unrolled: 1-line block ×3, first 2 shown]
	v_and_b32_e32 v22, 0xffff0000, v15
	v_and_b32_e32 v28, 0xffff0000, v16
	;; [unrolled: 1-line block ×3, first 2 shown]
	v_lshlrev_b32_e32 v14, 16, v17
	s_waitcnt vmcnt(2)
	v_lshlrev_b32_e32 v17, 16, v19
	v_cmp_ge_i64_e32 vcc, v[2:3], v[6:7]
	s_or_b64 s[2:3], vcc, s[2:3]
	s_waitcnt vmcnt(1)
	v_lshlrev_b32_e32 v16, 16, v24
	v_and_b32_e32 v24, 0xffff0000, v24
	v_fmac_f32_e32 v18, v27, v16
	v_pk_fma_f32 v[10:11], v[20:21], v[16:17], v[10:11] op_sel_hi:[1,0,1]
	s_waitcnt vmcnt(0)
	v_lshlrev_b32_e32 v26, 16, v25
	v_fmac_f32_e32 v18, v28, v24
	v_pk_fma_f32 v[10:11], v[22:23], v[24:25], v[10:11] op_sel_hi:[1,0,1]
	v_fmac_f32_e32 v18, v17, v26
	v_pk_fma_f32 v[10:11], v[14:15], v[26:27], v[10:11] op_sel_hi:[1,0,1]
	s_andn2_b64 exec, exec, s[2:3]
	s_cbranch_execnz .LBB118_24
; %bb.25:
	s_or_b64 exec, exec, s[2:3]
.LBB118_26:
	s_or_b64 exec, exec, s[6:7]
.LBB118_27:
	v_mov_b32_dpp v2, v10 row_shr:1 row_mask:0xf bank_mask:0xf
	v_mov_b32_dpp v3, v11 row_shr:1 row_mask:0xf bank_mask:0xf
	;; [unrolled: 1-line block ×3, first 2 shown]
	v_pk_add_f32 v[2:3], v[10:11], v[2:3]
	v_add_f32_e32 v1, v18, v1
	v_cmp_eq_u32_e32 vcc, 31, v0
	v_mov_b32_dpp v6, v2 row_shr:2 row_mask:0xf bank_mask:0xf
	v_mov_b32_dpp v7, v3 row_shr:2 row_mask:0xf bank_mask:0xf
	v_mov_b32_dpp v8, v1 row_shr:2 row_mask:0xf bank_mask:0xf
	v_pk_add_f32 v[2:3], v[2:3], v[6:7]
	v_add_f32_e32 v1, v1, v8
	s_nop 0
	v_mov_b32_dpp v6, v2 row_shr:4 row_mask:0xf bank_mask:0xe
	v_mov_b32_dpp v7, v3 row_shr:4 row_mask:0xf bank_mask:0xe
	v_mov_b32_dpp v8, v1 row_shr:4 row_mask:0xf bank_mask:0xe
	v_pk_add_f32 v[2:3], v[2:3], v[6:7]
	v_add_f32_e32 v1, v1, v8
	s_nop 0
	v_mov_b32_dpp v6, v2 row_shr:8 row_mask:0xf bank_mask:0xc
	v_mov_b32_dpp v7, v3 row_shr:8 row_mask:0xf bank_mask:0xc
	v_mov_b32_dpp v8, v1 row_shr:8 row_mask:0xf bank_mask:0xc
	v_pk_add_f32 v[2:3], v[2:3], v[6:7]
	v_add_f32_e32 v1, v1, v8
	s_nop 0
	v_mov_b32_dpp v6, v2 row_bcast:15 row_mask:0xa bank_mask:0xf
	v_mov_b32_dpp v7, v3 row_bcast:15 row_mask:0xa bank_mask:0xf
	;; [unrolled: 1-line block ×3, first 2 shown]
	s_and_b64 exec, exec, vcc
	s_cbranch_execz .LBB118_10
; %bb.28:
	s_load_dwordx2 s[0:1], s[0:1], 0x58
	v_add_f32_e32 v0, v1, v8
	v_cmp_eq_f32_e64 s[2:3], s16, 0
	v_pk_add_f32 v[6:7], v[2:3], v[6:7]
	s_and_b64 vcc, exec, s[2:3]
	v_mul_f32_e32 v2, s12, v0
	s_cbranch_vccz .LBB118_30
; %bb.29:
	s_waitcnt lgkmcnt(0)
	v_mad_u64_u32 v[8:9], s[2:3], v4, 12, s[0:1]
	v_mov_b32_e32 v0, v9
	v_mad_u64_u32 v[0:1], s[2:3], v5, 12, v[0:1]
	v_mov_b32_e32 v9, v0
	v_pk_mul_f32 v[0:1], s[12:13], v[6:7] op_sel_hi:[0,1]
	global_store_dwordx3 v[8:9], v[0:2], off
	s_cbranch_execnz .LBB118_10
	s_branch .LBB118_31
.LBB118_30:
.LBB118_31:
	s_waitcnt lgkmcnt(0)
	v_mad_u64_u32 v[12:13], s[0:1], v4, 12, s[0:1]
	v_mov_b32_e32 v0, v13
	v_mad_u64_u32 v[0:1], s[0:1], v5, 12, v[0:1]
	v_mov_b32_e32 v13, v0
	global_load_dwordx3 v[8:10], v[12:13], off
	v_pk_mul_f32 v[0:1], s[12:13], v[6:7] op_sel_hi:[0,1]
	s_waitcnt vmcnt(0)
	v_pk_fma_f32 v[0:1], s[16:17], v[8:9], v[0:1] op_sel_hi:[0,1,1]
	v_fmac_f32_e32 v2, s16, v10
	global_store_dwordx3 v[12:13], v[0:2], off
	s_endpgm
	.section	.rodata,"a",@progbits
	.p2align	6, 0x0
	.amdhsa_kernel _ZN9rocsparseL18bsrxmvn_3x3_kernelILj256ELj32Efll18rocsparse_bfloat16S1_fEEvT3_20rocsparse_direction_NS_24const_host_device_scalarIT1_EES2_PKS2_PKT2_SB_S8_PKT4_PKT5_S6_PT6_21rocsparse_index_base_b
		.amdhsa_group_segment_fixed_size 0
		.amdhsa_private_segment_fixed_size 0
		.amdhsa_kernarg_size 104
		.amdhsa_user_sgpr_count 2
		.amdhsa_user_sgpr_dispatch_ptr 0
		.amdhsa_user_sgpr_queue_ptr 0
		.amdhsa_user_sgpr_kernarg_segment_ptr 1
		.amdhsa_user_sgpr_dispatch_id 0
		.amdhsa_user_sgpr_kernarg_preload_length 0
		.amdhsa_user_sgpr_kernarg_preload_offset 0
		.amdhsa_user_sgpr_private_segment_size 0
		.amdhsa_uses_dynamic_stack 0
		.amdhsa_enable_private_segment 0
		.amdhsa_system_sgpr_workgroup_id_x 1
		.amdhsa_system_sgpr_workgroup_id_y 0
		.amdhsa_system_sgpr_workgroup_id_z 0
		.amdhsa_system_sgpr_workgroup_info 0
		.amdhsa_system_vgpr_workitem_id 0
		.amdhsa_next_free_vgpr 32
		.amdhsa_next_free_sgpr 26
		.amdhsa_accum_offset 32
		.amdhsa_reserve_vcc 1
		.amdhsa_float_round_mode_32 0
		.amdhsa_float_round_mode_16_64 0
		.amdhsa_float_denorm_mode_32 3
		.amdhsa_float_denorm_mode_16_64 3
		.amdhsa_dx10_clamp 1
		.amdhsa_ieee_mode 1
		.amdhsa_fp16_overflow 0
		.amdhsa_tg_split 0
		.amdhsa_exception_fp_ieee_invalid_op 0
		.amdhsa_exception_fp_denorm_src 0
		.amdhsa_exception_fp_ieee_div_zero 0
		.amdhsa_exception_fp_ieee_overflow 0
		.amdhsa_exception_fp_ieee_underflow 0
		.amdhsa_exception_fp_ieee_inexact 0
		.amdhsa_exception_int_div_zero 0
	.end_amdhsa_kernel
	.section	.text._ZN9rocsparseL18bsrxmvn_3x3_kernelILj256ELj32Efll18rocsparse_bfloat16S1_fEEvT3_20rocsparse_direction_NS_24const_host_device_scalarIT1_EES2_PKS2_PKT2_SB_S8_PKT4_PKT5_S6_PT6_21rocsparse_index_base_b,"axG",@progbits,_ZN9rocsparseL18bsrxmvn_3x3_kernelILj256ELj32Efll18rocsparse_bfloat16S1_fEEvT3_20rocsparse_direction_NS_24const_host_device_scalarIT1_EES2_PKS2_PKT2_SB_S8_PKT4_PKT5_S6_PT6_21rocsparse_index_base_b,comdat
.Lfunc_end118:
	.size	_ZN9rocsparseL18bsrxmvn_3x3_kernelILj256ELj32Efll18rocsparse_bfloat16S1_fEEvT3_20rocsparse_direction_NS_24const_host_device_scalarIT1_EES2_PKS2_PKT2_SB_S8_PKT4_PKT5_S6_PT6_21rocsparse_index_base_b, .Lfunc_end118-_ZN9rocsparseL18bsrxmvn_3x3_kernelILj256ELj32Efll18rocsparse_bfloat16S1_fEEvT3_20rocsparse_direction_NS_24const_host_device_scalarIT1_EES2_PKS2_PKT2_SB_S8_PKT4_PKT5_S6_PT6_21rocsparse_index_base_b
                                        ; -- End function
	.section	.AMDGPU.csdata,"",@progbits
; Kernel info:
; codeLenInByte = 1452
; NumSgprs: 32
; NumVgprs: 32
; NumAgprs: 0
; TotalNumVgprs: 32
; ScratchSize: 0
; MemoryBound: 0
; FloatMode: 240
; IeeeMode: 1
; LDSByteSize: 0 bytes/workgroup (compile time only)
; SGPRBlocks: 3
; VGPRBlocks: 3
; NumSGPRsForWavesPerEU: 32
; NumVGPRsForWavesPerEU: 32
; AccumOffset: 32
; Occupancy: 8
; WaveLimiterHint : 1
; COMPUTE_PGM_RSRC2:SCRATCH_EN: 0
; COMPUTE_PGM_RSRC2:USER_SGPR: 2
; COMPUTE_PGM_RSRC2:TRAP_HANDLER: 0
; COMPUTE_PGM_RSRC2:TGID_X_EN: 1
; COMPUTE_PGM_RSRC2:TGID_Y_EN: 0
; COMPUTE_PGM_RSRC2:TGID_Z_EN: 0
; COMPUTE_PGM_RSRC2:TIDIG_COMP_CNT: 0
; COMPUTE_PGM_RSRC3_GFX90A:ACCUM_OFFSET: 7
; COMPUTE_PGM_RSRC3_GFX90A:TG_SPLIT: 0
	.section	.text._ZN9rocsparseL18bsrxmvn_3x3_kernelILj256ELj64Efll18rocsparse_bfloat16S1_fEEvT3_20rocsparse_direction_NS_24const_host_device_scalarIT1_EES2_PKS2_PKT2_SB_S8_PKT4_PKT5_S6_PT6_21rocsparse_index_base_b,"axG",@progbits,_ZN9rocsparseL18bsrxmvn_3x3_kernelILj256ELj64Efll18rocsparse_bfloat16S1_fEEvT3_20rocsparse_direction_NS_24const_host_device_scalarIT1_EES2_PKS2_PKT2_SB_S8_PKT4_PKT5_S6_PT6_21rocsparse_index_base_b,comdat
	.globl	_ZN9rocsparseL18bsrxmvn_3x3_kernelILj256ELj64Efll18rocsparse_bfloat16S1_fEEvT3_20rocsparse_direction_NS_24const_host_device_scalarIT1_EES2_PKS2_PKT2_SB_S8_PKT4_PKT5_S6_PT6_21rocsparse_index_base_b ; -- Begin function _ZN9rocsparseL18bsrxmvn_3x3_kernelILj256ELj64Efll18rocsparse_bfloat16S1_fEEvT3_20rocsparse_direction_NS_24const_host_device_scalarIT1_EES2_PKS2_PKT2_SB_S8_PKT4_PKT5_S6_PT6_21rocsparse_index_base_b
	.p2align	8
	.type	_ZN9rocsparseL18bsrxmvn_3x3_kernelILj256ELj64Efll18rocsparse_bfloat16S1_fEEvT3_20rocsparse_direction_NS_24const_host_device_scalarIT1_EES2_PKS2_PKT2_SB_S8_PKT4_PKT5_S6_PT6_21rocsparse_index_base_b,@function
_ZN9rocsparseL18bsrxmvn_3x3_kernelILj256ELj64Efll18rocsparse_bfloat16S1_fEEvT3_20rocsparse_direction_NS_24const_host_device_scalarIT1_EES2_PKS2_PKT2_SB_S8_PKT4_PKT5_S6_PT6_21rocsparse_index_base_b: ; @_ZN9rocsparseL18bsrxmvn_3x3_kernelILj256ELj64Efll18rocsparse_bfloat16S1_fEEvT3_20rocsparse_direction_NS_24const_host_device_scalarIT1_EES2_PKS2_PKT2_SB_S8_PKT4_PKT5_S6_PT6_21rocsparse_index_base_b
; %bb.0:
	s_load_dwordx2 s[18:19], s[0:1], 0x60
	s_load_dwordx4 s[12:15], s[0:1], 0x10
	s_load_dwordx2 s[16:17], s[0:1], 0x50
	s_waitcnt lgkmcnt(0)
	s_bitcmp1_b32 s19, 0
	s_cselect_b64 s[6:7], -1, 0
	s_xor_b64 s[4:5], s[6:7], -1
	s_and_b64 vcc, exec, s[6:7]
	s_cbranch_vccnz .LBB119_2
; %bb.1:
	s_load_dword s12, s[12:13], 0x0
.LBB119_2:
	s_andn2_b64 vcc, exec, s[4:5]
	s_cbranch_vccnz .LBB119_4
; %bb.3:
	s_load_dword s16, s[16:17], 0x0
.LBB119_4:
	s_waitcnt lgkmcnt(0)
	v_cmp_neq_f32_e64 s[4:5], s12, 0
	v_cmp_neq_f32_e64 s[6:7], s16, 1.0
	s_or_b64 s[4:5], s[4:5], s[6:7]
	s_andn2_b64 vcc, exec, s[4:5]
	s_cbranch_vccnz .LBB119_10
; %bb.5:
	s_load_dwordx2 s[4:5], s[0:1], 0x20
	v_lshrrev_b32_e32 v1, 6, v0
	v_lshl_or_b32 v2, s2, 2, v1
	v_mov_b32_e32 v3, 0
	s_mov_b64 s[2:3], 0
	s_waitcnt lgkmcnt(0)
	s_cmp_lg_u64 s[4:5], 0
	s_cbranch_scc0 .LBB119_11
; %bb.6:
	v_cmp_gt_i64_e32 vcc, s[14:15], v[2:3]
                                        ; implicit-def: $vgpr4_vgpr5
	s_and_saveexec_b64 s[6:7], vcc
	s_xor_b64 s[6:7], exec, s[6:7]
                                        ; implicit-def: $sgpr14_sgpr15
	s_cbranch_execz .LBB119_8
; %bb.7:
	v_lshl_add_u64 v[4:5], v[2:3], 3, s[4:5]
	global_load_dwordx2 v[4:5], v[4:5], off
	s_mov_b64 s[2:3], exec
	s_mov_b32 s15, 0
	s_waitcnt vmcnt(0)
	v_subrev_co_u32_e32 v4, vcc, s18, v4
	s_nop 1
	v_subbrev_co_u32_e32 v5, vcc, 0, v5, vcc
.LBB119_8:
	s_or_b64 exec, exec, s[6:7]
.LBB119_9:
	s_and_saveexec_b64 s[4:5], s[2:3]
	s_cbranch_execnz .LBB119_15
.LBB119_10:
	s_endpgm
.LBB119_11:
                                        ; implicit-def: $vgpr4_vgpr5
                                        ; implicit-def: $sgpr14_sgpr15
	s_cbranch_execz .LBB119_9
; %bb.12:
	s_load_dwordx2 s[4:5], s[0:1], 0x0
                                        ; implicit-def: $vgpr4_vgpr5
	s_waitcnt lgkmcnt(0)
	v_cmp_gt_i64_e32 vcc, s[4:5], v[2:3]
	s_and_saveexec_b64 s[4:5], vcc
                                        ; implicit-def: $sgpr14_sgpr15
; %bb.13:
	s_mov_b32 s15, 0
	s_or_b64 s[2:3], s[2:3], exec
	v_mov_b64_e32 v[4:5], v[2:3]
; %bb.14:
	s_or_b64 exec, exec, s[4:5]
	s_and_saveexec_b64 s[4:5], s[2:3]
	s_cbranch_execz .LBB119_10
.LBB119_15:
	s_load_dwordx8 s[4:11], s[0:1], 0x28
	v_lshlrev_b64 v[2:3], 3, v[4:5]
	v_mov_b32_e32 v10, s15
	v_and_b32_e32 v0, 63, v0
	v_mov_b32_e32 v1, 0
	s_waitcnt lgkmcnt(0)
	v_lshl_add_u64 v[6:7], s[4:5], 0, v[2:3]
	s_cmp_eq_u64 s[6:7], 0
	global_load_dwordx2 v[8:9], v[6:7], off
	v_lshl_add_u64 v[2:3], s[6:7], 0, v[2:3]
	v_lshl_add_u64 v[6:7], v[6:7], 0, 8
	s_cselect_b64 vcc, -1, 0
	v_cndmask_b32_e32 v3, v3, v7, vcc
	v_cndmask_b32_e32 v2, v2, v6, vcc
	global_load_dwordx2 v[6:7], v[2:3], off
	s_load_dword s2, s[0:1], 0x8
	s_load_dwordx2 s[4:5], s[0:1], 0x48
	s_waitcnt lgkmcnt(0)
	s_cmp_eq_u32 s2, 1
	s_waitcnt vmcnt(1)
	v_subrev_co_u32_e32 v2, vcc, s18, v8
	s_nop 1
	v_subb_co_u32_e32 v3, vcc, v9, v10, vcc
	v_lshl_add_u64 v[2:3], v[2:3], 0, v[0:1]
	v_mad_u64_u32 v[8:9], s[2:3], v2, 18, s[10:11]
	s_waitcnt vmcnt(0)
	v_subrev_co_u32_e32 v6, vcc, s18, v6
	s_nop 1
	v_subb_co_u32_e32 v7, vcc, v7, v10, vcc
	v_mov_b32_e32 v10, v9
	v_mad_u64_u32 v[10:11], s[2:3], v3, 18, v[10:11]
	v_mov_b32_e32 v9, v10
	v_cmp_lt_i64_e64 s[2:3], v[2:3], v[6:7]
	s_cbranch_scc1 .LBB119_21
; %bb.16:
	v_mov_b32_e32 v10, v1
	v_mov_b32_e32 v18, v1
	s_and_saveexec_b64 s[6:7], s[2:3]
	s_cbranch_execz .LBB119_20
; %bb.17:
	v_mov_b32_e32 v18, 0
	v_lshl_add_u64 v[12:13], v[2:3], 3, s[8:9]
	s_mov_b64 s[10:11], 0
	v_mov_b32_e32 v1, s15
	s_mov_b64 s[20:21], 0x480
	s_mov_b64 s[22:23], 0x200
	v_mov_b64_e32 v[14:15], v[8:9]
	v_mov_b64_e32 v[16:17], v[2:3]
	v_mov_b32_e32 v10, 0
	v_mov_b32_e32 v11, v18
.LBB119_18:                             ; =>This Inner Loop Header: Depth=1
	global_load_dwordx2 v[24:25], v[12:13], off
	global_load_dwordx4 v[20:23], v[14:15], off
	global_load_ushort v19, v[14:15], off offset:16
	v_lshl_add_u64 v[16:17], v[16:17], 0, 64
	v_lshl_add_u64 v[14:15], v[14:15], 0, s[20:21]
	v_lshl_add_u64 v[12:13], v[12:13], 0, s[22:23]
	s_waitcnt vmcnt(2)
	v_subrev_co_u32_e32 v24, vcc, s18, v24
	s_nop 1
	v_subb_co_u32_e32 v27, vcc, v25, v1, vcc
	v_mad_u64_u32 v[24:25], s[24:25], v24, 6, s[4:5]
	v_mov_b32_e32 v26, v25
	v_mad_u64_u32 v[26:27], s[24:25], v27, 6, v[26:27]
	v_mov_b32_e32 v25, v26
	global_load_dword v28, v[24:25], off
	global_load_ushort v29, v[24:25], off offset:4
	s_waitcnt vmcnt(3)
	v_lshlrev_b32_e32 v24, 16, v21
	v_and_b32_e32 v27, 0xffff0000, v21
	v_lshlrev_b32_e32 v26, 16, v20
	v_lshlrev_b32_e32 v21, 16, v22
	v_and_b32_e32 v25, 0xffff0000, v22
	v_lshlrev_b32_e32 v31, 16, v23
	v_and_b32_e32 v23, 0xffff0000, v23
	v_and_b32_e32 v20, 0xffff0000, v20
	v_cmp_ge_i64_e32 vcc, v[16:17], v[6:7]
	s_waitcnt vmcnt(2)
	v_lshlrev_b32_e32 v19, 16, v19
	s_or_b64 s[10:11], vcc, s[10:11]
	s_waitcnt vmcnt(1)
	v_lshlrev_b32_e32 v22, 16, v28
	v_and_b32_e32 v28, 0xffff0000, v28
	v_pk_fma_f32 v[10:11], v[26:27], v[22:23], v[10:11] op_sel_hi:[1,0,1]
	v_fmac_f32_e32 v18, v31, v22
	s_waitcnt vmcnt(0)
	v_lshlrev_b32_e32 v30, 16, v29
	v_pk_fma_f32 v[10:11], v[20:21], v[28:29], v[10:11] op_sel_hi:[1,0,1]
	v_fmac_f32_e32 v18, v23, v28
	v_pk_fma_f32 v[10:11], v[24:25], v[30:31], v[10:11] op_sel_hi:[1,0,1]
	v_fmac_f32_e32 v18, v19, v30
	s_andn2_b64 exec, exec, s[10:11]
	s_cbranch_execnz .LBB119_18
; %bb.19:
	s_or_b64 exec, exec, s[10:11]
	v_mov_b32_e32 v1, v11
.LBB119_20:
	s_or_b64 exec, exec, s[6:7]
	v_mov_b32_e32 v11, v1
	s_cbranch_execz .LBB119_22
	s_branch .LBB119_27
.LBB119_21:
                                        ; implicit-def: $vgpr11
                                        ; implicit-def: $vgpr18
.LBB119_22:
	v_mov_b32_e32 v11, 0
	v_mov_b32_e32 v10, v11
	;; [unrolled: 1-line block ×3, first 2 shown]
	s_and_saveexec_b64 s[6:7], s[2:3]
	s_cbranch_execz .LBB119_26
; %bb.23:
	v_mov_b32_e32 v18, 0
	v_lshl_add_u64 v[12:13], v[2:3], 3, s[8:9]
	s_mov_b64 s[2:3], 0
	v_mov_b32_e32 v1, s15
	s_mov_b64 s[8:9], 0x480
	s_mov_b64 s[10:11], 0x200
	v_mov_b32_e32 v10, 0
	v_mov_b32_e32 v11, v18
.LBB119_24:                             ; =>This Inner Loop Header: Depth=1
	global_load_dwordx2 v[20:21], v[12:13], off
	global_load_dwordx4 v[14:17], v[8:9], off
	global_load_ushort v19, v[8:9], off offset:16
	v_lshl_add_u64 v[2:3], v[2:3], 0, 64
	v_lshl_add_u64 v[8:9], v[8:9], 0, s[8:9]
	;; [unrolled: 1-line block ×3, first 2 shown]
	s_waitcnt vmcnt(2)
	v_subrev_co_u32_e32 v20, vcc, s18, v20
	s_nop 1
	v_subb_co_u32_e32 v23, vcc, v21, v1, vcc
	v_mad_u64_u32 v[20:21], s[14:15], v20, 6, s[4:5]
	v_mov_b32_e32 v22, v21
	v_mad_u64_u32 v[22:23], s[14:15], v23, 6, v[22:23]
	v_mov_b32_e32 v21, v22
	global_load_dword v24, v[20:21], off
	global_load_ushort v25, v[20:21], off offset:4
	s_waitcnt vmcnt(3)
	v_and_b32_e32 v21, 0xffff0000, v14
	v_lshlrev_b32_e32 v20, 16, v14
	v_lshlrev_b32_e32 v27, 16, v15
	;; [unrolled: 1-line block ×3, first 2 shown]
	v_and_b32_e32 v22, 0xffff0000, v15
	v_and_b32_e32 v28, 0xffff0000, v16
	;; [unrolled: 1-line block ×3, first 2 shown]
	v_lshlrev_b32_e32 v14, 16, v17
	s_waitcnt vmcnt(2)
	v_lshlrev_b32_e32 v17, 16, v19
	v_cmp_ge_i64_e32 vcc, v[2:3], v[6:7]
	s_or_b64 s[2:3], vcc, s[2:3]
	s_waitcnt vmcnt(1)
	v_lshlrev_b32_e32 v16, 16, v24
	v_and_b32_e32 v24, 0xffff0000, v24
	v_pk_fma_f32 v[10:11], v[20:21], v[16:17], v[10:11] op_sel_hi:[1,0,1]
	v_fmac_f32_e32 v18, v27, v16
	s_waitcnt vmcnt(0)
	v_lshlrev_b32_e32 v26, 16, v25
	v_fmac_f32_e32 v18, v28, v24
	v_pk_fma_f32 v[10:11], v[22:23], v[24:25], v[10:11] op_sel_hi:[1,0,1]
	v_fmac_f32_e32 v18, v17, v26
	v_pk_fma_f32 v[10:11], v[14:15], v[26:27], v[10:11] op_sel_hi:[1,0,1]
	s_andn2_b64 exec, exec, s[2:3]
	s_cbranch_execnz .LBB119_24
; %bb.25:
	s_or_b64 exec, exec, s[2:3]
.LBB119_26:
	s_or_b64 exec, exec, s[6:7]
.LBB119_27:
	v_mov_b32_dpp v2, v10 row_shr:1 row_mask:0xf bank_mask:0xf
	v_mov_b32_dpp v3, v11 row_shr:1 row_mask:0xf bank_mask:0xf
	;; [unrolled: 1-line block ×3, first 2 shown]
	v_pk_add_f32 v[2:3], v[10:11], v[2:3]
	v_add_f32_e32 v1, v18, v1
	v_cmp_eq_u32_e32 vcc, 63, v0
	v_mov_b32_dpp v6, v2 row_shr:2 row_mask:0xf bank_mask:0xf
	v_mov_b32_dpp v7, v3 row_shr:2 row_mask:0xf bank_mask:0xf
	v_mov_b32_dpp v8, v1 row_shr:2 row_mask:0xf bank_mask:0xf
	v_pk_add_f32 v[2:3], v[2:3], v[6:7]
	v_add_f32_e32 v1, v1, v8
	s_nop 0
	v_mov_b32_dpp v6, v2 row_shr:4 row_mask:0xf bank_mask:0xe
	v_mov_b32_dpp v7, v3 row_shr:4 row_mask:0xf bank_mask:0xe
	v_mov_b32_dpp v8, v1 row_shr:4 row_mask:0xf bank_mask:0xe
	v_pk_add_f32 v[2:3], v[2:3], v[6:7]
	v_add_f32_e32 v1, v1, v8
	s_nop 0
	;; [unrolled: 6-line block ×3, first 2 shown]
	v_mov_b32_dpp v6, v2 row_bcast:15 row_mask:0xa bank_mask:0xf
	v_mov_b32_dpp v7, v3 row_bcast:15 row_mask:0xa bank_mask:0xf
	;; [unrolled: 1-line block ×3, first 2 shown]
	v_pk_add_f32 v[2:3], v[2:3], v[6:7]
	v_add_f32_e32 v1, v1, v8
	s_nop 0
	v_mov_b32_dpp v6, v2 row_bcast:31 row_mask:0xc bank_mask:0xf
	v_mov_b32_dpp v7, v3 row_bcast:31 row_mask:0xc bank_mask:0xf
	v_mov_b32_dpp v8, v1 row_bcast:31 row_mask:0xc bank_mask:0xf
	s_and_b64 exec, exec, vcc
	s_cbranch_execz .LBB119_10
; %bb.28:
	s_load_dwordx2 s[0:1], s[0:1], 0x58
	v_add_f32_e32 v0, v1, v8
	v_cmp_eq_f32_e64 s[2:3], s16, 0
	v_pk_add_f32 v[6:7], v[2:3], v[6:7]
	s_and_b64 vcc, exec, s[2:3]
	v_mul_f32_e32 v2, s12, v0
	s_cbranch_vccz .LBB119_30
; %bb.29:
	s_waitcnt lgkmcnt(0)
	v_mad_u64_u32 v[8:9], s[2:3], v4, 12, s[0:1]
	v_mov_b32_e32 v0, v9
	v_mad_u64_u32 v[0:1], s[2:3], v5, 12, v[0:1]
	v_mov_b32_e32 v9, v0
	v_pk_mul_f32 v[0:1], s[12:13], v[6:7] op_sel_hi:[0,1]
	global_store_dwordx3 v[8:9], v[0:2], off
	s_cbranch_execnz .LBB119_10
	s_branch .LBB119_31
.LBB119_30:
.LBB119_31:
	s_waitcnt lgkmcnt(0)
	v_mad_u64_u32 v[12:13], s[0:1], v4, 12, s[0:1]
	v_mov_b32_e32 v0, v13
	v_mad_u64_u32 v[0:1], s[0:1], v5, 12, v[0:1]
	v_mov_b32_e32 v13, v0
	global_load_dwordx3 v[8:10], v[12:13], off
	v_pk_mul_f32 v[0:1], s[12:13], v[6:7] op_sel_hi:[0,1]
	s_waitcnt vmcnt(0)
	v_pk_fma_f32 v[0:1], s[16:17], v[8:9], v[0:1] op_sel_hi:[0,1,1]
	v_fmac_f32_e32 v2, s16, v10
	global_store_dwordx3 v[12:13], v[0:2], off
	s_endpgm
	.section	.rodata,"a",@progbits
	.p2align	6, 0x0
	.amdhsa_kernel _ZN9rocsparseL18bsrxmvn_3x3_kernelILj256ELj64Efll18rocsparse_bfloat16S1_fEEvT3_20rocsparse_direction_NS_24const_host_device_scalarIT1_EES2_PKS2_PKT2_SB_S8_PKT4_PKT5_S6_PT6_21rocsparse_index_base_b
		.amdhsa_group_segment_fixed_size 0
		.amdhsa_private_segment_fixed_size 0
		.amdhsa_kernarg_size 104
		.amdhsa_user_sgpr_count 2
		.amdhsa_user_sgpr_dispatch_ptr 0
		.amdhsa_user_sgpr_queue_ptr 0
		.amdhsa_user_sgpr_kernarg_segment_ptr 1
		.amdhsa_user_sgpr_dispatch_id 0
		.amdhsa_user_sgpr_kernarg_preload_length 0
		.amdhsa_user_sgpr_kernarg_preload_offset 0
		.amdhsa_user_sgpr_private_segment_size 0
		.amdhsa_uses_dynamic_stack 0
		.amdhsa_enable_private_segment 0
		.amdhsa_system_sgpr_workgroup_id_x 1
		.amdhsa_system_sgpr_workgroup_id_y 0
		.amdhsa_system_sgpr_workgroup_id_z 0
		.amdhsa_system_sgpr_workgroup_info 0
		.amdhsa_system_vgpr_workitem_id 0
		.amdhsa_next_free_vgpr 32
		.amdhsa_next_free_sgpr 26
		.amdhsa_accum_offset 32
		.amdhsa_reserve_vcc 1
		.amdhsa_float_round_mode_32 0
		.amdhsa_float_round_mode_16_64 0
		.amdhsa_float_denorm_mode_32 3
		.amdhsa_float_denorm_mode_16_64 3
		.amdhsa_dx10_clamp 1
		.amdhsa_ieee_mode 1
		.amdhsa_fp16_overflow 0
		.amdhsa_tg_split 0
		.amdhsa_exception_fp_ieee_invalid_op 0
		.amdhsa_exception_fp_denorm_src 0
		.amdhsa_exception_fp_ieee_div_zero 0
		.amdhsa_exception_fp_ieee_overflow 0
		.amdhsa_exception_fp_ieee_underflow 0
		.amdhsa_exception_fp_ieee_inexact 0
		.amdhsa_exception_int_div_zero 0
	.end_amdhsa_kernel
	.section	.text._ZN9rocsparseL18bsrxmvn_3x3_kernelILj256ELj64Efll18rocsparse_bfloat16S1_fEEvT3_20rocsparse_direction_NS_24const_host_device_scalarIT1_EES2_PKS2_PKT2_SB_S8_PKT4_PKT5_S6_PT6_21rocsparse_index_base_b,"axG",@progbits,_ZN9rocsparseL18bsrxmvn_3x3_kernelILj256ELj64Efll18rocsparse_bfloat16S1_fEEvT3_20rocsparse_direction_NS_24const_host_device_scalarIT1_EES2_PKS2_PKT2_SB_S8_PKT4_PKT5_S6_PT6_21rocsparse_index_base_b,comdat
.Lfunc_end119:
	.size	_ZN9rocsparseL18bsrxmvn_3x3_kernelILj256ELj64Efll18rocsparse_bfloat16S1_fEEvT3_20rocsparse_direction_NS_24const_host_device_scalarIT1_EES2_PKS2_PKT2_SB_S8_PKT4_PKT5_S6_PT6_21rocsparse_index_base_b, .Lfunc_end119-_ZN9rocsparseL18bsrxmvn_3x3_kernelILj256ELj64Efll18rocsparse_bfloat16S1_fEEvT3_20rocsparse_direction_NS_24const_host_device_scalarIT1_EES2_PKS2_PKT2_SB_S8_PKT4_PKT5_S6_PT6_21rocsparse_index_base_b
                                        ; -- End function
	.section	.AMDGPU.csdata,"",@progbits
; Kernel info:
; codeLenInByte = 1492
; NumSgprs: 32
; NumVgprs: 32
; NumAgprs: 0
; TotalNumVgprs: 32
; ScratchSize: 0
; MemoryBound: 0
; FloatMode: 240
; IeeeMode: 1
; LDSByteSize: 0 bytes/workgroup (compile time only)
; SGPRBlocks: 3
; VGPRBlocks: 3
; NumSGPRsForWavesPerEU: 32
; NumVGPRsForWavesPerEU: 32
; AccumOffset: 32
; Occupancy: 8
; WaveLimiterHint : 1
; COMPUTE_PGM_RSRC2:SCRATCH_EN: 0
; COMPUTE_PGM_RSRC2:USER_SGPR: 2
; COMPUTE_PGM_RSRC2:TRAP_HANDLER: 0
; COMPUTE_PGM_RSRC2:TGID_X_EN: 1
; COMPUTE_PGM_RSRC2:TGID_Y_EN: 0
; COMPUTE_PGM_RSRC2:TGID_Z_EN: 0
; COMPUTE_PGM_RSRC2:TIDIG_COMP_CNT: 0
; COMPUTE_PGM_RSRC3_GFX90A:ACCUM_OFFSET: 7
; COMPUTE_PGM_RSRC3_GFX90A:TG_SPLIT: 0
	.section	.text._ZN9rocsparseL18bsrxmvn_3x3_kernelILj256ELj4E21rocsparse_complex_numIfEiifS2_S2_EEvT3_20rocsparse_direction_NS_24const_host_device_scalarIT1_EES3_PKS3_PKT2_SC_S9_PKT4_PKT5_S7_PT6_21rocsparse_index_base_b,"axG",@progbits,_ZN9rocsparseL18bsrxmvn_3x3_kernelILj256ELj4E21rocsparse_complex_numIfEiifS2_S2_EEvT3_20rocsparse_direction_NS_24const_host_device_scalarIT1_EES3_PKS3_PKT2_SC_S9_PKT4_PKT5_S7_PT6_21rocsparse_index_base_b,comdat
	.globl	_ZN9rocsparseL18bsrxmvn_3x3_kernelILj256ELj4E21rocsparse_complex_numIfEiifS2_S2_EEvT3_20rocsparse_direction_NS_24const_host_device_scalarIT1_EES3_PKS3_PKT2_SC_S9_PKT4_PKT5_S7_PT6_21rocsparse_index_base_b ; -- Begin function _ZN9rocsparseL18bsrxmvn_3x3_kernelILj256ELj4E21rocsparse_complex_numIfEiifS2_S2_EEvT3_20rocsparse_direction_NS_24const_host_device_scalarIT1_EES3_PKS3_PKT2_SC_S9_PKT4_PKT5_S7_PT6_21rocsparse_index_base_b
	.p2align	8
	.type	_ZN9rocsparseL18bsrxmvn_3x3_kernelILj256ELj4E21rocsparse_complex_numIfEiifS2_S2_EEvT3_20rocsparse_direction_NS_24const_host_device_scalarIT1_EES3_PKS3_PKT2_SC_S9_PKT4_PKT5_S7_PT6_21rocsparse_index_base_b,@function
_ZN9rocsparseL18bsrxmvn_3x3_kernelILj256ELj4E21rocsparse_complex_numIfEiifS2_S2_EEvT3_20rocsparse_direction_NS_24const_host_device_scalarIT1_EES3_PKS3_PKT2_SC_S9_PKT4_PKT5_S7_PT6_21rocsparse_index_base_b: ; @_ZN9rocsparseL18bsrxmvn_3x3_kernelILj256ELj4E21rocsparse_complex_numIfEiifS2_S2_EEvT3_20rocsparse_direction_NS_24const_host_device_scalarIT1_EES3_PKS3_PKT2_SC_S9_PKT4_PKT5_S7_PT6_21rocsparse_index_base_b
; %bb.0:
	s_load_dwordx2 s[12:13], s[0:1], 0x58
	s_load_dwordx2 s[8:9], s[0:1], 0x8
	s_load_dwordx2 s[6:7], s[0:1], 0x48
	s_waitcnt lgkmcnt(0)
	s_bitcmp1_b32 s13, 0
	s_cselect_b64 s[4:5], -1, 0
	s_xor_b64 s[10:11], s[4:5], -1
	s_and_b64 vcc, exec, s[4:5]
	v_mov_b32_e32 v2, s8
	s_cbranch_vccnz .LBB120_2
; %bb.1:
	v_mov_b64_e32 v[2:3], s[8:9]
	flat_load_dword v2, v[2:3]
.LBB120_2:
	v_cndmask_b32_e64 v1, 0, 1, s[10:11]
	v_cmp_ne_u32_e64 s[4:5], 1, v1
	s_andn2_b64 vcc, exec, s[10:11]
	v_mov_b32_e32 v3, s9
	s_cbranch_vccz .LBB120_15
; %bb.3:
	s_and_b64 vcc, exec, s[4:5]
	v_mov_b32_e32 v4, s6
	s_cbranch_vccz .LBB120_16
.LBB120_4:
	s_and_b64 vcc, exec, s[4:5]
	v_mov_b32_e32 v5, s7
	s_cbranch_vccnz .LBB120_6
.LBB120_5:
	v_mov_b64_e32 v[6:7], s[6:7]
	flat_load_dword v5, v[6:7] offset:4
.LBB120_6:
	s_waitcnt vmcnt(0) lgkmcnt(0)
	v_and_b32_e32 v1, 0x7fffffff, v2
	v_cmp_eq_u32_e32 vcc, 0, v1
	v_cmp_eq_f32_e64 s[4:5], 0, v3
	s_and_b64 s[8:9], vcc, s[4:5]
	s_mov_b64 s[4:5], -1
	s_and_saveexec_b64 s[6:7], s[8:9]
; %bb.7:
	v_and_b32_e32 v1, 0x7fffffff, v5
	v_cmp_neq_f32_e32 vcc, 1.0, v4
	v_cmp_ne_u32_e64 s[4:5], 0, v1
	s_or_b64 s[4:5], vcc, s[4:5]
	s_orn2_b64 s[4:5], s[4:5], exec
; %bb.8:
	s_or_b64 exec, exec, s[6:7]
	s_and_saveexec_b64 s[6:7], s[4:5]
	s_cbranch_execz .LBB120_14
; %bb.9:
	s_load_dwordx2 s[4:5], s[0:1], 0x18
	s_load_dwordx2 s[14:15], s[0:1], 0x0
	v_lshrrev_b32_e32 v1, 2, v0
	v_lshl_or_b32 v6, s2, 6, v1
	s_mov_b64 s[2:3], 0
	s_waitcnt lgkmcnt(0)
	s_cmp_lg_u64 s[4:5], 0
	s_cbranch_scc0 .LBB120_17
; %bb.10:
	s_load_dword s6, s[0:1], 0x10
                                        ; implicit-def: $vgpr1
	s_waitcnt lgkmcnt(0)
	v_cmp_gt_i32_e32 vcc, s6, v6
	s_and_saveexec_b64 s[6:7], vcc
	s_xor_b64 s[6:7], exec, s[6:7]
	s_cbranch_execz .LBB120_12
; %bb.11:
	v_ashrrev_i32_e32 v7, 31, v6
	v_lshl_add_u64 v[8:9], v[6:7], 2, s[4:5]
	global_load_dword v1, v[8:9], off
	s_mov_b64 s[2:3], exec
	s_waitcnt vmcnt(0)
	v_subrev_u32_e32 v1, s12, v1
.LBB120_12:
	s_or_b64 exec, exec, s[6:7]
	s_branch .LBB120_18
.LBB120_13:
	v_cmp_gt_i32_e32 vcc, s14, v6
	s_andn2_b64 s[2:3], s[2:3], exec
	s_and_b64 s[4:5], vcc, exec
	s_or_b64 s[2:3], s[2:3], s[4:5]
	s_and_b64 exec, exec, s[2:3]
	s_cbranch_execnz .LBB120_19
.LBB120_14:
	s_endpgm
.LBB120_15:
	v_mov_b64_e32 v[4:5], s[8:9]
	flat_load_dword v3, v[4:5] offset:4
	s_and_b64 vcc, exec, s[4:5]
	v_mov_b32_e32 v4, s6
	s_cbranch_vccnz .LBB120_4
.LBB120_16:
	v_mov_b64_e32 v[4:5], s[6:7]
	flat_load_dword v4, v[4:5]
	s_and_b64 vcc, exec, s[4:5]
	v_mov_b32_e32 v5, s7
	s_cbranch_vccz .LBB120_5
	s_branch .LBB120_6
.LBB120_17:
                                        ; implicit-def: $vgpr1
	s_cbranch_execnz .LBB120_13
.LBB120_18:
	v_mov_b32_e32 v6, v1
	s_and_b64 exec, exec, s[2:3]
	s_cbranch_execz .LBB120_14
.LBB120_19:
	s_load_dwordx8 s[4:11], s[0:1], 0x20
	v_ashrrev_i32_e32 v7, 31, v6
	v_lshlrev_b64 v[8:9], 2, v[6:7]
	v_and_b32_e32 v7, 3, v0
	s_waitcnt lgkmcnt(0)
	v_lshl_add_u64 v[10:11], s[4:5], 0, v[8:9]
	s_cmp_eq_u64 s[6:7], 0
	global_load_dword v1, v[10:11], off
	v_lshl_add_u64 v[10:11], v[10:11], 0, 4
	v_lshl_add_u64 v[8:9], s[6:7], 0, v[8:9]
	s_cselect_b64 vcc, -1, 0
	v_cndmask_b32_e32 v9, v9, v11, vcc
	v_cndmask_b32_e32 v8, v8, v10, vcc
	global_load_dword v8, v[8:9], off
	s_load_dwordx2 s[4:5], s[0:1], 0x40
	s_cmp_eq_u32 s15, 1
	s_waitcnt vmcnt(1)
	v_subrev_u32_e32 v0, s12, v1
	v_add_u32_e32 v0, v0, v7
	s_waitcnt vmcnt(0)
	v_subrev_u32_e32 v24, s12, v8
	v_mad_i64_i32 v[8:9], s[2:3], v0, 36, s[10:11]
	v_cmp_lt_i32_e64 s[2:3], v0, v24
	s_cbranch_scc1 .LBB120_25
; %bb.20:
	v_mov_b32_e32 v13, 0
	v_mov_b32_e32 v12, v13
	;; [unrolled: 1-line block ×6, first 2 shown]
	s_and_saveexec_b64 s[6:7], s[2:3]
	s_cbranch_execz .LBB120_24
; %bb.21:
	v_mov_b32_e32 v17, 0
	s_mov_b64 s[10:11], 0
	s_mov_b64 s[14:15], 0x90
	v_bfrev_b32_e32 v18, 1
	v_mov_b32_e32 v20, v0
	v_mov_b64_e32 v[22:23], v[8:9]
	v_mov_b32_e32 v14, v17
	v_mov_b32_e32 v15, v17
	;; [unrolled: 1-line block ×6, first 2 shown]
.LBB120_22:                             ; =>This Inner Loop Header: Depth=1
	v_ashrrev_i32_e32 v21, 31, v20
	v_lshl_add_u64 v[34:35], v[20:21], 2, s[8:9]
	global_load_dword v1, v[34:35], off
	global_load_dwordx4 v[26:29], v[22:23], off offset:16
	global_load_dwordx4 v[30:33], v[22:23], off
	v_mov_b32_e32 v43, v17
	v_add_u32_e32 v20, 4, v20
	v_cmp_ge_i32_e32 vcc, v20, v24
	s_or_b64 s[10:11], vcc, s[10:11]
	s_waitcnt vmcnt(2)
	v_subrev_u32_e32 v1, s12, v1
	v_lshl_add_u32 v34, v1, 1, v1
	v_ashrrev_i32_e32 v35, 31, v34
	s_waitcnt lgkmcnt(0)
	v_lshl_add_u64 v[38:39], v[34:35], 3, s[4:5]
	global_load_dwordx4 v[34:37], v[38:39], off
	global_load_dwordx2 v[40:41], v[38:39], off offset:16
	global_load_dword v42, v[22:23], off offset:32
	s_waitcnt vmcnt(3)
	v_mov_b32_e32 v16, v30
	v_mov_b32_e32 v19, v30
	v_lshl_add_u64 v[22:23], v[22:23], 0, s[14:15]
	s_waitcnt vmcnt(2)
	v_pk_fma_f32 v[12:13], v[34:35], v[16:17], v[12:13] op_sel_hi:[0,1,1]
	v_mov_b32_e32 v16, v31
	v_pk_fma_f32 v[12:13], v[34:35], v[18:19], v[12:13] op_sel:[1,0,0]
	v_mov_b32_e32 v30, v37
	v_mov_b32_e32 v19, v31
	v_pk_fma_f32 v[12:13], v[36:37], v[16:17], v[12:13] op_sel_hi:[0,1,1]
	v_mov_b32_e32 v16, v32
	v_pk_fma_f32 v[12:13], v[30:31], v[18:19], v[12:13] op_sel_hi:[0,1,1]
	v_mov_b32_e32 v19, v32
	s_waitcnt vmcnt(1)
	v_pk_fma_f32 v[12:13], v[40:41], v[16:17], v[12:13] op_sel_hi:[0,1,1]
	v_mov_b32_e32 v16, v33
	v_pk_fma_f32 v[12:13], v[40:41], v[18:19], v[12:13] op_sel:[1,0,0]
	v_pk_fma_f32 v[10:11], v[34:35], v[16:17], v[10:11] op_sel_hi:[0,1,1]
	v_mov_b32_e32 v19, v33
	v_mov_b32_e32 v16, v26
	v_pk_fma_f32 v[10:11], v[34:35], v[18:19], v[10:11] op_sel:[1,0,0]
	v_mov_b32_e32 v19, v26
	v_pk_fma_f32 v[10:11], v[36:37], v[16:17], v[10:11] op_sel_hi:[0,1,1]
	v_mov_b32_e32 v16, v27
	v_pk_fma_f32 v[10:11], v[30:31], v[18:19], v[10:11] op_sel_hi:[0,1,1]
	v_mov_b32_e32 v19, v27
	v_pk_fma_f32 v[10:11], v[40:41], v[16:17], v[10:11] op_sel_hi:[0,1,1]
	v_mov_b32_e32 v16, v28
	v_pk_fma_f32 v[10:11], v[40:41], v[18:19], v[10:11] op_sel:[1,0,0]
	v_pk_fma_f32 v[14:15], v[34:35], v[16:17], v[14:15] op_sel_hi:[0,1,1]
	v_mov_b32_e32 v19, v28
	v_mov_b32_e32 v16, v29
	v_pk_fma_f32 v[14:15], v[34:35], v[18:19], v[14:15] op_sel:[1,0,0]
	v_mov_b32_e32 v19, v29
	v_pk_fma_f32 v[14:15], v[36:37], v[16:17], v[14:15] op_sel_hi:[0,1,1]
	v_pk_fma_f32 v[14:15], v[30:31], v[18:19], v[14:15] op_sel_hi:[0,1,1]
	s_waitcnt vmcnt(0)
	v_mov_b32_e32 v19, v42
	v_pk_fma_f32 v[14:15], v[40:41], v[42:43], v[14:15] op_sel_hi:[0,1,1]
	v_pk_fma_f32 v[14:15], v[40:41], v[18:19], v[14:15] op_sel:[1,0,0]
	s_andn2_b64 exec, exec, s[10:11]
	s_cbranch_execnz .LBB120_22
; %bb.23:
	s_or_b64 exec, exec, s[10:11]
.LBB120_24:
	s_or_b64 exec, exec, s[6:7]
	s_cbranch_execz .LBB120_26
	s_branch .LBB120_31
.LBB120_25:
                                        ; implicit-def: $vgpr13
                                        ; implicit-def: $vgpr11
                                        ; implicit-def: $vgpr15
.LBB120_26:
	v_mov_b32_e32 v13, 0
	v_mov_b32_e32 v12, v13
	;; [unrolled: 1-line block ×6, first 2 shown]
	s_and_saveexec_b64 s[6:7], s[2:3]
	s_cbranch_execz .LBB120_30
; %bb.27:
	v_mov_b32_e32 v17, 0
	s_mov_b64 s[2:3], 0
	s_mov_b64 s[10:11], 0x90
	v_bfrev_b32_e32 v18, 1
	v_mov_b32_e32 v14, v17
	v_mov_b32_e32 v15, v17
	;; [unrolled: 1-line block ×6, first 2 shown]
.LBB120_28:                             ; =>This Inner Loop Header: Depth=1
	v_ashrrev_i32_e32 v1, 31, v0
	v_lshl_add_u64 v[30:31], v[0:1], 2, s[8:9]
	global_load_dword v1, v[30:31], off
	global_load_dwordx4 v[20:23], v[8:9], off offset:16
	global_load_dwordx4 v[26:29], v[8:9], off
	v_mov_b32_e32 v39, v17
	v_add_u32_e32 v0, 4, v0
	v_cmp_ge_i32_e32 vcc, v0, v24
	s_or_b64 s[2:3], vcc, s[2:3]
	s_waitcnt vmcnt(2)
	v_subrev_u32_e32 v1, s12, v1
	v_lshl_add_u32 v30, v1, 1, v1
	v_ashrrev_i32_e32 v31, 31, v30
	s_waitcnt lgkmcnt(0)
	v_lshl_add_u64 v[34:35], v[30:31], 3, s[4:5]
	global_load_dwordx4 v[30:33], v[34:35], off
	global_load_dwordx2 v[36:37], v[34:35], off offset:16
	global_load_dword v38, v[8:9], off offset:32
	s_waitcnt vmcnt(3)
	v_mov_b32_e32 v16, v26
	v_mov_b32_e32 v19, v26
	v_lshl_add_u64 v[8:9], v[8:9], 0, s[10:11]
	s_waitcnt vmcnt(2)
	v_pk_fma_f32 v[12:13], v[30:31], v[16:17], v[12:13] op_sel_hi:[0,1,1]
	v_mov_b32_e32 v16, v29
	v_pk_fma_f32 v[12:13], v[30:31], v[18:19], v[12:13] op_sel:[1,0,0]
	v_mov_b32_e32 v26, v33
	v_mov_b32_e32 v19, v29
	v_pk_fma_f32 v[12:13], v[32:33], v[16:17], v[12:13] op_sel_hi:[0,1,1]
	v_mov_b32_e32 v16, v22
	v_pk_fma_f32 v[12:13], v[26:27], v[18:19], v[12:13] op_sel_hi:[0,1,1]
	v_mov_b32_e32 v19, v22
	s_waitcnt vmcnt(1)
	v_pk_fma_f32 v[12:13], v[36:37], v[16:17], v[12:13] op_sel_hi:[0,1,1]
	v_mov_b32_e32 v16, v27
	v_pk_fma_f32 v[12:13], v[36:37], v[18:19], v[12:13] op_sel:[1,0,0]
	v_pk_fma_f32 v[10:11], v[30:31], v[16:17], v[10:11] op_sel_hi:[0,1,1]
	v_mov_b32_e32 v19, v27
	v_mov_b32_e32 v16, v20
	v_pk_fma_f32 v[10:11], v[30:31], v[18:19], v[10:11] op_sel:[1,0,0]
	v_mov_b32_e32 v19, v20
	v_pk_fma_f32 v[10:11], v[32:33], v[16:17], v[10:11] op_sel_hi:[0,1,1]
	v_mov_b32_e32 v16, v23
	v_pk_fma_f32 v[10:11], v[26:27], v[18:19], v[10:11] op_sel_hi:[0,1,1]
	v_mov_b32_e32 v29, v17
	v_mov_b32_e32 v19, v23
	v_pk_fma_f32 v[10:11], v[36:37], v[16:17], v[10:11] op_sel_hi:[0,1,1]
	v_pk_fma_f32 v[14:15], v[30:31], v[28:29], v[14:15] op_sel_hi:[0,1,1]
	v_pk_fma_f32 v[10:11], v[36:37], v[18:19], v[10:11] op_sel:[1,0,0]
	v_mov_b32_e32 v19, v28
	v_mov_b32_e32 v16, v21
	v_pk_fma_f32 v[14:15], v[30:31], v[18:19], v[14:15] op_sel:[1,0,0]
	v_mov_b32_e32 v19, v21
	v_pk_fma_f32 v[14:15], v[32:33], v[16:17], v[14:15] op_sel_hi:[0,1,1]
	v_pk_fma_f32 v[14:15], v[26:27], v[18:19], v[14:15] op_sel_hi:[0,1,1]
	s_waitcnt vmcnt(0)
	v_mov_b32_e32 v19, v38
	v_pk_fma_f32 v[14:15], v[36:37], v[38:39], v[14:15] op_sel_hi:[0,1,1]
	v_pk_fma_f32 v[14:15], v[36:37], v[18:19], v[14:15] op_sel:[1,0,0]
	s_andn2_b64 exec, exec, s[2:3]
	s_cbranch_execnz .LBB120_28
; %bb.29:
	s_or_b64 exec, exec, s[2:3]
.LBB120_30:
	s_or_b64 exec, exec, s[6:7]
.LBB120_31:
	v_mov_b32_dpp v0, v12 row_shr:1 row_mask:0xf bank_mask:0xf
	v_add_f32_e32 v0, v12, v0
	v_mov_b32_dpp v12, v10 row_shr:1 row_mask:0xf bank_mask:0xf
	v_add_f32_e32 v10, v10, v12
	v_mov_b32_dpp v8, v13 row_shr:1 row_mask:0xf bank_mask:0xf
	v_mov_b32_dpp v12, v11 row_shr:1 row_mask:0xf bank_mask:0xf
	v_add_f32_e32 v11, v11, v12
	v_add_f32_e32 v8, v13, v8
	v_mov_b32_dpp v12, v14 row_shr:1 row_mask:0xf bank_mask:0xf
	v_add_f32_e32 v18, v14, v12
	v_mov_b32_dpp v1, v0 row_shr:2 row_mask:0xf bank_mask:0xf
	v_mov_b32_dpp v12, v15 row_shr:1 row_mask:0xf bank_mask:0xf
	v_add_f32_e32 v15, v15, v12
	v_mov_b32_dpp v9, v8 row_shr:2 row_mask:0xf bank_mask:0xf
	v_mov_b32_dpp v13, v10 row_shr:2 row_mask:0xf bank_mask:0xf
	;; [unrolled: 1-line block ×5, first 2 shown]
	v_cmp_eq_u32_e32 vcc, 3, v7
	s_and_b64 exec, exec, vcc
	s_cbranch_execz .LBB120_14
; %bb.32:
	s_load_dwordx2 s[2:3], s[0:1], 0x50
	v_add_f32_e32 v12, v0, v1
	v_and_b32_e32 v1, 0x7fffffff, v4
	v_cmp_eq_u32_e32 vcc, 0, v1
	v_cmp_eq_f32_e64 s[0:1], 0, v5
	v_lshl_add_u32 v6, v6, 1, v6
	v_add_f32_e32 v16, v8, v9
	v_add_f32_e32 v10, v10, v13
	;; [unrolled: 1-line block ×5, first 2 shown]
	s_and_b64 s[0:1], vcc, s[0:1]
	v_ashrrev_i32_e32 v7, 31, v6
	s_waitcnt lgkmcnt(0)
	s_and_saveexec_b64 s[4:5], s[0:1]
	s_xor_b64 s[0:1], exec, s[4:5]
	s_cbranch_execz .LBB120_34
; %bb.33:
	v_xor_b32_e32 v18, 0x80000000, v3
	v_mov_b32_e32 v19, v2
	v_lshl_add_u64 v[20:21], v[6:7], 3, s[2:3]
	v_pk_mul_f32 v[4:5], v[16:17], v[18:19] op_sel_hi:[0,1]
	v_pk_mul_f32 v[6:7], v[14:15], v[18:19] op_sel_hi:[0,1]
	v_pk_fma_f32 v[4:5], v[2:3], v[12:13], v[4:5] op_sel_hi:[1,0,1]
	v_pk_fma_f32 v[6:7], v[2:3], v[10:11], v[6:7] op_sel_hi:[1,0,1]
	global_store_dwordx4 v[20:21], v[4:7], off
                                        ; implicit-def: $vgpr12
                                        ; implicit-def: $vgpr16
                                        ; implicit-def: $vgpr10
                                        ; implicit-def: $vgpr14
                                        ; implicit-def: $vgpr6
	s_nop 1
	v_pk_mul_f32 v[4:5], v[8:9], v[18:19] op_sel_hi:[0,1]
	v_pk_fma_f32 v[0:1], v[2:3], v[0:1], v[4:5] op_sel_hi:[1,0,1]
	global_store_dwordx2 v[20:21], v[0:1], off offset:16
                                        ; implicit-def: $vgpr3
                                        ; implicit-def: $vgpr4
                                        ; implicit-def: $vgpr0
                                        ; implicit-def: $vgpr8
.LBB120_34:
	s_andn2_saveexec_b64 s[0:1], s[0:1]
	s_cbranch_execz .LBB120_14
; %bb.35:
	v_lshl_add_u64 v[6:7], v[6:7], 3, s[2:3]
	global_load_dwordx4 v[18:21], v[6:7], off
	global_load_dwordx2 v[22:23], v[6:7], off offset:16
	v_xor_b32_e32 v24, 0x80000000, v3
	v_mov_b32_e32 v25, v2
	v_pk_mul_f32 v[16:17], v[16:17], v[24:25] op_sel_hi:[0,1]
	v_pk_mul_f32 v[14:15], v[14:15], v[24:25] op_sel_hi:[0,1]
	;; [unrolled: 1-line block ×3, first 2 shown]
	v_pk_fma_f32 v[12:13], v[2:3], v[12:13], v[16:17] op_sel_hi:[1,0,1]
	v_pk_fma_f32 v[10:11], v[2:3], v[10:11], v[14:15] op_sel_hi:[1,0,1]
	v_xor_b32_e32 v26, 0x80000000, v5
	v_mov_b32_e32 v27, v4
	v_pk_fma_f32 v[0:1], v[2:3], v[0:1], v[8:9] op_sel_hi:[1,0,1]
	s_waitcnt vmcnt(1)
	v_pk_fma_f32 v[2:3], v[4:5], v[18:19], v[12:13] op_sel_hi:[1,0,1]
	v_pk_fma_f32 v[8:9], v[4:5], v[20:21], v[10:11] op_sel_hi:[1,0,1]
	v_mov_b32_e32 v10, v21
	s_waitcnt vmcnt(0)
	v_pk_fma_f32 v[4:5], v[4:5], v[22:23], v[0:1] op_sel_hi:[1,0,1]
	v_pk_fma_f32 v[0:1], v[26:27], v[18:19], v[2:3] op_sel:[0,1,0]
	v_pk_fma_f32 v[2:3], v[26:27], v[10:11], v[8:9] op_sel_hi:[1,0,1]
	v_pk_fma_f32 v[4:5], v[26:27], v[22:23], v[4:5] op_sel:[0,1,0]
	global_store_dwordx4 v[6:7], v[0:3], off
	global_store_dwordx2 v[6:7], v[4:5], off offset:16
	s_endpgm
	.section	.rodata,"a",@progbits
	.p2align	6, 0x0
	.amdhsa_kernel _ZN9rocsparseL18bsrxmvn_3x3_kernelILj256ELj4E21rocsparse_complex_numIfEiifS2_S2_EEvT3_20rocsparse_direction_NS_24const_host_device_scalarIT1_EES3_PKS3_PKT2_SC_S9_PKT4_PKT5_S7_PT6_21rocsparse_index_base_b
		.amdhsa_group_segment_fixed_size 0
		.amdhsa_private_segment_fixed_size 0
		.amdhsa_kernarg_size 96
		.amdhsa_user_sgpr_count 2
		.amdhsa_user_sgpr_dispatch_ptr 0
		.amdhsa_user_sgpr_queue_ptr 0
		.amdhsa_user_sgpr_kernarg_segment_ptr 1
		.amdhsa_user_sgpr_dispatch_id 0
		.amdhsa_user_sgpr_kernarg_preload_length 0
		.amdhsa_user_sgpr_kernarg_preload_offset 0
		.amdhsa_user_sgpr_private_segment_size 0
		.amdhsa_uses_dynamic_stack 0
		.amdhsa_enable_private_segment 0
		.amdhsa_system_sgpr_workgroup_id_x 1
		.amdhsa_system_sgpr_workgroup_id_y 0
		.amdhsa_system_sgpr_workgroup_id_z 0
		.amdhsa_system_sgpr_workgroup_info 0
		.amdhsa_system_vgpr_workitem_id 0
		.amdhsa_next_free_vgpr 44
		.amdhsa_next_free_sgpr 16
		.amdhsa_accum_offset 44
		.amdhsa_reserve_vcc 1
		.amdhsa_float_round_mode_32 0
		.amdhsa_float_round_mode_16_64 0
		.amdhsa_float_denorm_mode_32 3
		.amdhsa_float_denorm_mode_16_64 3
		.amdhsa_dx10_clamp 1
		.amdhsa_ieee_mode 1
		.amdhsa_fp16_overflow 0
		.amdhsa_tg_split 0
		.amdhsa_exception_fp_ieee_invalid_op 0
		.amdhsa_exception_fp_denorm_src 0
		.amdhsa_exception_fp_ieee_div_zero 0
		.amdhsa_exception_fp_ieee_overflow 0
		.amdhsa_exception_fp_ieee_underflow 0
		.amdhsa_exception_fp_ieee_inexact 0
		.amdhsa_exception_int_div_zero 0
	.end_amdhsa_kernel
	.section	.text._ZN9rocsparseL18bsrxmvn_3x3_kernelILj256ELj4E21rocsparse_complex_numIfEiifS2_S2_EEvT3_20rocsparse_direction_NS_24const_host_device_scalarIT1_EES3_PKS3_PKT2_SC_S9_PKT4_PKT5_S7_PT6_21rocsparse_index_base_b,"axG",@progbits,_ZN9rocsparseL18bsrxmvn_3x3_kernelILj256ELj4E21rocsparse_complex_numIfEiifS2_S2_EEvT3_20rocsparse_direction_NS_24const_host_device_scalarIT1_EES3_PKS3_PKT2_SC_S9_PKT4_PKT5_S7_PT6_21rocsparse_index_base_b,comdat
.Lfunc_end120:
	.size	_ZN9rocsparseL18bsrxmvn_3x3_kernelILj256ELj4E21rocsparse_complex_numIfEiifS2_S2_EEvT3_20rocsparse_direction_NS_24const_host_device_scalarIT1_EES3_PKS3_PKT2_SC_S9_PKT4_PKT5_S7_PT6_21rocsparse_index_base_b, .Lfunc_end120-_ZN9rocsparseL18bsrxmvn_3x3_kernelILj256ELj4E21rocsparse_complex_numIfEiifS2_S2_EEvT3_20rocsparse_direction_NS_24const_host_device_scalarIT1_EES3_PKS3_PKT2_SC_S9_PKT4_PKT5_S7_PT6_21rocsparse_index_base_b
                                        ; -- End function
	.section	.AMDGPU.csdata,"",@progbits
; Kernel info:
; codeLenInByte = 1932
; NumSgprs: 22
; NumVgprs: 44
; NumAgprs: 0
; TotalNumVgprs: 44
; ScratchSize: 0
; MemoryBound: 0
; FloatMode: 240
; IeeeMode: 1
; LDSByteSize: 0 bytes/workgroup (compile time only)
; SGPRBlocks: 2
; VGPRBlocks: 5
; NumSGPRsForWavesPerEU: 22
; NumVGPRsForWavesPerEU: 44
; AccumOffset: 44
; Occupancy: 8
; WaveLimiterHint : 1
; COMPUTE_PGM_RSRC2:SCRATCH_EN: 0
; COMPUTE_PGM_RSRC2:USER_SGPR: 2
; COMPUTE_PGM_RSRC2:TRAP_HANDLER: 0
; COMPUTE_PGM_RSRC2:TGID_X_EN: 1
; COMPUTE_PGM_RSRC2:TGID_Y_EN: 0
; COMPUTE_PGM_RSRC2:TGID_Z_EN: 0
; COMPUTE_PGM_RSRC2:TIDIG_COMP_CNT: 0
; COMPUTE_PGM_RSRC3_GFX90A:ACCUM_OFFSET: 10
; COMPUTE_PGM_RSRC3_GFX90A:TG_SPLIT: 0
	.section	.text._ZN9rocsparseL18bsrxmvn_3x3_kernelILj256ELj8E21rocsparse_complex_numIfEiifS2_S2_EEvT3_20rocsparse_direction_NS_24const_host_device_scalarIT1_EES3_PKS3_PKT2_SC_S9_PKT4_PKT5_S7_PT6_21rocsparse_index_base_b,"axG",@progbits,_ZN9rocsparseL18bsrxmvn_3x3_kernelILj256ELj8E21rocsparse_complex_numIfEiifS2_S2_EEvT3_20rocsparse_direction_NS_24const_host_device_scalarIT1_EES3_PKS3_PKT2_SC_S9_PKT4_PKT5_S7_PT6_21rocsparse_index_base_b,comdat
	.globl	_ZN9rocsparseL18bsrxmvn_3x3_kernelILj256ELj8E21rocsparse_complex_numIfEiifS2_S2_EEvT3_20rocsparse_direction_NS_24const_host_device_scalarIT1_EES3_PKS3_PKT2_SC_S9_PKT4_PKT5_S7_PT6_21rocsparse_index_base_b ; -- Begin function _ZN9rocsparseL18bsrxmvn_3x3_kernelILj256ELj8E21rocsparse_complex_numIfEiifS2_S2_EEvT3_20rocsparse_direction_NS_24const_host_device_scalarIT1_EES3_PKS3_PKT2_SC_S9_PKT4_PKT5_S7_PT6_21rocsparse_index_base_b
	.p2align	8
	.type	_ZN9rocsparseL18bsrxmvn_3x3_kernelILj256ELj8E21rocsparse_complex_numIfEiifS2_S2_EEvT3_20rocsparse_direction_NS_24const_host_device_scalarIT1_EES3_PKS3_PKT2_SC_S9_PKT4_PKT5_S7_PT6_21rocsparse_index_base_b,@function
_ZN9rocsparseL18bsrxmvn_3x3_kernelILj256ELj8E21rocsparse_complex_numIfEiifS2_S2_EEvT3_20rocsparse_direction_NS_24const_host_device_scalarIT1_EES3_PKS3_PKT2_SC_S9_PKT4_PKT5_S7_PT6_21rocsparse_index_base_b: ; @_ZN9rocsparseL18bsrxmvn_3x3_kernelILj256ELj8E21rocsparse_complex_numIfEiifS2_S2_EEvT3_20rocsparse_direction_NS_24const_host_device_scalarIT1_EES3_PKS3_PKT2_SC_S9_PKT4_PKT5_S7_PT6_21rocsparse_index_base_b
; %bb.0:
	s_load_dwordx2 s[12:13], s[0:1], 0x58
	s_load_dwordx2 s[8:9], s[0:1], 0x8
	;; [unrolled: 1-line block ×3, first 2 shown]
	s_waitcnt lgkmcnt(0)
	s_bitcmp1_b32 s13, 0
	s_cselect_b64 s[4:5], -1, 0
	s_xor_b64 s[10:11], s[4:5], -1
	s_and_b64 vcc, exec, s[4:5]
	v_mov_b32_e32 v2, s8
	s_cbranch_vccnz .LBB121_2
; %bb.1:
	v_mov_b64_e32 v[2:3], s[8:9]
	flat_load_dword v2, v[2:3]
.LBB121_2:
	v_cndmask_b32_e64 v1, 0, 1, s[10:11]
	v_cmp_ne_u32_e64 s[4:5], 1, v1
	s_andn2_b64 vcc, exec, s[10:11]
	v_mov_b32_e32 v3, s9
	s_cbranch_vccz .LBB121_15
; %bb.3:
	s_and_b64 vcc, exec, s[4:5]
	v_mov_b32_e32 v4, s6
	s_cbranch_vccz .LBB121_16
.LBB121_4:
	s_and_b64 vcc, exec, s[4:5]
	v_mov_b32_e32 v5, s7
	s_cbranch_vccnz .LBB121_6
.LBB121_5:
	v_mov_b64_e32 v[6:7], s[6:7]
	flat_load_dword v5, v[6:7] offset:4
.LBB121_6:
	s_waitcnt vmcnt(0) lgkmcnt(0)
	v_and_b32_e32 v1, 0x7fffffff, v2
	v_cmp_eq_u32_e32 vcc, 0, v1
	v_cmp_eq_f32_e64 s[4:5], 0, v3
	s_and_b64 s[8:9], vcc, s[4:5]
	s_mov_b64 s[4:5], -1
	s_and_saveexec_b64 s[6:7], s[8:9]
; %bb.7:
	v_and_b32_e32 v1, 0x7fffffff, v5
	v_cmp_neq_f32_e32 vcc, 1.0, v4
	v_cmp_ne_u32_e64 s[4:5], 0, v1
	s_or_b64 s[4:5], vcc, s[4:5]
	s_orn2_b64 s[4:5], s[4:5], exec
; %bb.8:
	s_or_b64 exec, exec, s[6:7]
	s_and_saveexec_b64 s[6:7], s[4:5]
	s_cbranch_execz .LBB121_14
; %bb.9:
	s_load_dwordx2 s[4:5], s[0:1], 0x18
	s_load_dwordx2 s[14:15], s[0:1], 0x0
	v_lshrrev_b32_e32 v1, 3, v0
	v_lshl_or_b32 v6, s2, 5, v1
	s_mov_b64 s[2:3], 0
	s_waitcnt lgkmcnt(0)
	s_cmp_lg_u64 s[4:5], 0
	s_cbranch_scc0 .LBB121_17
; %bb.10:
	s_load_dword s6, s[0:1], 0x10
                                        ; implicit-def: $vgpr1
	s_waitcnt lgkmcnt(0)
	v_cmp_gt_i32_e32 vcc, s6, v6
	s_and_saveexec_b64 s[6:7], vcc
	s_xor_b64 s[6:7], exec, s[6:7]
	s_cbranch_execz .LBB121_12
; %bb.11:
	v_ashrrev_i32_e32 v7, 31, v6
	v_lshl_add_u64 v[8:9], v[6:7], 2, s[4:5]
	global_load_dword v1, v[8:9], off
	s_mov_b64 s[2:3], exec
	s_waitcnt vmcnt(0)
	v_subrev_u32_e32 v1, s12, v1
.LBB121_12:
	s_or_b64 exec, exec, s[6:7]
	s_branch .LBB121_18
.LBB121_13:
	v_cmp_gt_i32_e32 vcc, s14, v6
	s_andn2_b64 s[2:3], s[2:3], exec
	s_and_b64 s[4:5], vcc, exec
	s_or_b64 s[2:3], s[2:3], s[4:5]
	s_and_b64 exec, exec, s[2:3]
	s_cbranch_execnz .LBB121_19
.LBB121_14:
	s_endpgm
.LBB121_15:
	v_mov_b64_e32 v[4:5], s[8:9]
	flat_load_dword v3, v[4:5] offset:4
	s_and_b64 vcc, exec, s[4:5]
	v_mov_b32_e32 v4, s6
	s_cbranch_vccnz .LBB121_4
.LBB121_16:
	v_mov_b64_e32 v[4:5], s[6:7]
	flat_load_dword v4, v[4:5]
	s_and_b64 vcc, exec, s[4:5]
	v_mov_b32_e32 v5, s7
	s_cbranch_vccz .LBB121_5
	s_branch .LBB121_6
.LBB121_17:
                                        ; implicit-def: $vgpr1
	s_cbranch_execnz .LBB121_13
.LBB121_18:
	v_mov_b32_e32 v6, v1
	s_and_b64 exec, exec, s[2:3]
	s_cbranch_execz .LBB121_14
.LBB121_19:
	s_load_dwordx8 s[4:11], s[0:1], 0x20
	v_ashrrev_i32_e32 v7, 31, v6
	v_lshlrev_b64 v[8:9], 2, v[6:7]
	v_and_b32_e32 v7, 7, v0
	s_waitcnt lgkmcnt(0)
	v_lshl_add_u64 v[10:11], s[4:5], 0, v[8:9]
	s_cmp_eq_u64 s[6:7], 0
	global_load_dword v1, v[10:11], off
	v_lshl_add_u64 v[10:11], v[10:11], 0, 4
	v_lshl_add_u64 v[8:9], s[6:7], 0, v[8:9]
	s_cselect_b64 vcc, -1, 0
	v_cndmask_b32_e32 v9, v9, v11, vcc
	v_cndmask_b32_e32 v8, v8, v10, vcc
	global_load_dword v8, v[8:9], off
	s_load_dwordx2 s[4:5], s[0:1], 0x40
	s_cmp_eq_u32 s15, 1
	s_waitcnt vmcnt(1)
	v_subrev_u32_e32 v0, s12, v1
	v_add_u32_e32 v0, v0, v7
	s_waitcnt vmcnt(0)
	v_subrev_u32_e32 v24, s12, v8
	v_mad_i64_i32 v[8:9], s[2:3], v0, 36, s[10:11]
	v_cmp_lt_i32_e64 s[2:3], v0, v24
	s_cbranch_scc1 .LBB121_25
; %bb.20:
	v_mov_b32_e32 v15, 0
	v_mov_b32_e32 v14, v15
	;; [unrolled: 1-line block ×6, first 2 shown]
	s_and_saveexec_b64 s[6:7], s[2:3]
	s_cbranch_execz .LBB121_24
; %bb.21:
	v_mov_b32_e32 v17, 0
	s_mov_b64 s[10:11], 0
	s_mov_b64 s[14:15], 0x120
	v_bfrev_b32_e32 v18, 1
	v_mov_b32_e32 v20, v0
	v_mov_b64_e32 v[22:23], v[8:9]
	v_mov_b32_e32 v12, v17
	v_mov_b32_e32 v13, v17
	v_mov_b32_e32 v10, v17
	v_mov_b32_e32 v11, v17
	v_mov_b32_e32 v14, v17
	v_mov_b32_e32 v15, v17
.LBB121_22:                             ; =>This Inner Loop Header: Depth=1
	v_ashrrev_i32_e32 v21, 31, v20
	v_lshl_add_u64 v[34:35], v[20:21], 2, s[8:9]
	global_load_dword v1, v[34:35], off
	global_load_dwordx4 v[26:29], v[22:23], off offset:16
	global_load_dwordx4 v[30:33], v[22:23], off
	v_mov_b32_e32 v43, v17
	v_add_u32_e32 v20, 8, v20
	v_cmp_ge_i32_e32 vcc, v20, v24
	s_or_b64 s[10:11], vcc, s[10:11]
	s_waitcnt vmcnt(2)
	v_subrev_u32_e32 v1, s12, v1
	v_lshl_add_u32 v34, v1, 1, v1
	v_ashrrev_i32_e32 v35, 31, v34
	s_waitcnt lgkmcnt(0)
	v_lshl_add_u64 v[38:39], v[34:35], 3, s[4:5]
	global_load_dwordx4 v[34:37], v[38:39], off
	global_load_dwordx2 v[40:41], v[38:39], off offset:16
	global_load_dword v42, v[22:23], off offset:32
	s_waitcnt vmcnt(3)
	v_mov_b32_e32 v16, v30
	v_mov_b32_e32 v19, v30
	v_lshl_add_u64 v[22:23], v[22:23], 0, s[14:15]
	s_waitcnt vmcnt(2)
	v_pk_fma_f32 v[14:15], v[34:35], v[16:17], v[14:15] op_sel_hi:[0,1,1]
	v_mov_b32_e32 v16, v31
	v_pk_fma_f32 v[14:15], v[34:35], v[18:19], v[14:15] op_sel:[1,0,0]
	v_mov_b32_e32 v30, v37
	v_mov_b32_e32 v19, v31
	v_pk_fma_f32 v[14:15], v[36:37], v[16:17], v[14:15] op_sel_hi:[0,1,1]
	v_mov_b32_e32 v16, v32
	v_pk_fma_f32 v[14:15], v[30:31], v[18:19], v[14:15] op_sel_hi:[0,1,1]
	v_mov_b32_e32 v19, v32
	s_waitcnt vmcnt(1)
	v_pk_fma_f32 v[14:15], v[40:41], v[16:17], v[14:15] op_sel_hi:[0,1,1]
	v_mov_b32_e32 v16, v33
	v_pk_fma_f32 v[14:15], v[40:41], v[18:19], v[14:15] op_sel:[1,0,0]
	v_pk_fma_f32 v[10:11], v[34:35], v[16:17], v[10:11] op_sel_hi:[0,1,1]
	v_mov_b32_e32 v19, v33
	v_mov_b32_e32 v16, v26
	v_pk_fma_f32 v[10:11], v[34:35], v[18:19], v[10:11] op_sel:[1,0,0]
	v_mov_b32_e32 v19, v26
	v_pk_fma_f32 v[10:11], v[36:37], v[16:17], v[10:11] op_sel_hi:[0,1,1]
	v_mov_b32_e32 v16, v27
	v_pk_fma_f32 v[10:11], v[30:31], v[18:19], v[10:11] op_sel_hi:[0,1,1]
	;; [unrolled: 2-line block ×3, first 2 shown]
	v_mov_b32_e32 v16, v28
	v_pk_fma_f32 v[10:11], v[40:41], v[18:19], v[10:11] op_sel:[1,0,0]
	v_pk_fma_f32 v[12:13], v[34:35], v[16:17], v[12:13] op_sel_hi:[0,1,1]
	v_mov_b32_e32 v19, v28
	v_mov_b32_e32 v16, v29
	v_pk_fma_f32 v[12:13], v[34:35], v[18:19], v[12:13] op_sel:[1,0,0]
	v_mov_b32_e32 v19, v29
	v_pk_fma_f32 v[12:13], v[36:37], v[16:17], v[12:13] op_sel_hi:[0,1,1]
	v_pk_fma_f32 v[12:13], v[30:31], v[18:19], v[12:13] op_sel_hi:[0,1,1]
	s_waitcnt vmcnt(0)
	v_mov_b32_e32 v19, v42
	v_pk_fma_f32 v[12:13], v[40:41], v[42:43], v[12:13] op_sel_hi:[0,1,1]
	v_pk_fma_f32 v[12:13], v[40:41], v[18:19], v[12:13] op_sel:[1,0,0]
	s_andn2_b64 exec, exec, s[10:11]
	s_cbranch_execnz .LBB121_22
; %bb.23:
	s_or_b64 exec, exec, s[10:11]
.LBB121_24:
	s_or_b64 exec, exec, s[6:7]
	s_cbranch_execz .LBB121_26
	s_branch .LBB121_31
.LBB121_25:
                                        ; implicit-def: $vgpr15
                                        ; implicit-def: $vgpr11
                                        ; implicit-def: $vgpr13
.LBB121_26:
	v_mov_b32_e32 v15, 0
	v_mov_b32_e32 v14, v15
	;; [unrolled: 1-line block ×6, first 2 shown]
	s_and_saveexec_b64 s[6:7], s[2:3]
	s_cbranch_execz .LBB121_30
; %bb.27:
	v_mov_b32_e32 v17, 0
	s_mov_b64 s[2:3], 0
	s_mov_b64 s[10:11], 0x120
	v_bfrev_b32_e32 v18, 1
	v_mov_b32_e32 v12, v17
	v_mov_b32_e32 v13, v17
	;; [unrolled: 1-line block ×6, first 2 shown]
.LBB121_28:                             ; =>This Inner Loop Header: Depth=1
	v_ashrrev_i32_e32 v1, 31, v0
	v_lshl_add_u64 v[30:31], v[0:1], 2, s[8:9]
	global_load_dword v1, v[30:31], off
	global_load_dwordx4 v[20:23], v[8:9], off offset:16
	global_load_dwordx4 v[26:29], v[8:9], off
	v_mov_b32_e32 v39, v17
	v_add_u32_e32 v0, 8, v0
	v_cmp_ge_i32_e32 vcc, v0, v24
	s_or_b64 s[2:3], vcc, s[2:3]
	s_waitcnt vmcnt(2)
	v_subrev_u32_e32 v1, s12, v1
	v_lshl_add_u32 v30, v1, 1, v1
	v_ashrrev_i32_e32 v31, 31, v30
	s_waitcnt lgkmcnt(0)
	v_lshl_add_u64 v[34:35], v[30:31], 3, s[4:5]
	global_load_dwordx4 v[30:33], v[34:35], off
	global_load_dwordx2 v[36:37], v[34:35], off offset:16
	global_load_dword v38, v[8:9], off offset:32
	s_waitcnt vmcnt(3)
	v_mov_b32_e32 v16, v26
	v_mov_b32_e32 v19, v26
	v_lshl_add_u64 v[8:9], v[8:9], 0, s[10:11]
	s_waitcnt vmcnt(2)
	v_pk_fma_f32 v[14:15], v[30:31], v[16:17], v[14:15] op_sel_hi:[0,1,1]
	v_mov_b32_e32 v16, v29
	v_pk_fma_f32 v[14:15], v[30:31], v[18:19], v[14:15] op_sel:[1,0,0]
	v_mov_b32_e32 v26, v33
	v_mov_b32_e32 v19, v29
	v_pk_fma_f32 v[14:15], v[32:33], v[16:17], v[14:15] op_sel_hi:[0,1,1]
	v_mov_b32_e32 v16, v22
	v_pk_fma_f32 v[14:15], v[26:27], v[18:19], v[14:15] op_sel_hi:[0,1,1]
	v_mov_b32_e32 v19, v22
	s_waitcnt vmcnt(1)
	v_pk_fma_f32 v[14:15], v[36:37], v[16:17], v[14:15] op_sel_hi:[0,1,1]
	v_mov_b32_e32 v16, v27
	v_pk_fma_f32 v[14:15], v[36:37], v[18:19], v[14:15] op_sel:[1,0,0]
	v_pk_fma_f32 v[10:11], v[30:31], v[16:17], v[10:11] op_sel_hi:[0,1,1]
	v_mov_b32_e32 v19, v27
	v_mov_b32_e32 v16, v20
	v_pk_fma_f32 v[10:11], v[30:31], v[18:19], v[10:11] op_sel:[1,0,0]
	v_mov_b32_e32 v19, v20
	v_pk_fma_f32 v[10:11], v[32:33], v[16:17], v[10:11] op_sel_hi:[0,1,1]
	v_mov_b32_e32 v16, v23
	v_pk_fma_f32 v[10:11], v[26:27], v[18:19], v[10:11] op_sel_hi:[0,1,1]
	v_mov_b32_e32 v29, v17
	v_mov_b32_e32 v19, v23
	v_pk_fma_f32 v[10:11], v[36:37], v[16:17], v[10:11] op_sel_hi:[0,1,1]
	v_pk_fma_f32 v[12:13], v[30:31], v[28:29], v[12:13] op_sel_hi:[0,1,1]
	v_pk_fma_f32 v[10:11], v[36:37], v[18:19], v[10:11] op_sel:[1,0,0]
	v_mov_b32_e32 v19, v28
	v_mov_b32_e32 v16, v21
	v_pk_fma_f32 v[12:13], v[30:31], v[18:19], v[12:13] op_sel:[1,0,0]
	v_mov_b32_e32 v19, v21
	v_pk_fma_f32 v[12:13], v[32:33], v[16:17], v[12:13] op_sel_hi:[0,1,1]
	v_pk_fma_f32 v[12:13], v[26:27], v[18:19], v[12:13] op_sel_hi:[0,1,1]
	s_waitcnt vmcnt(0)
	v_mov_b32_e32 v19, v38
	v_pk_fma_f32 v[12:13], v[36:37], v[38:39], v[12:13] op_sel_hi:[0,1,1]
	v_pk_fma_f32 v[12:13], v[36:37], v[18:19], v[12:13] op_sel:[1,0,0]
	s_andn2_b64 exec, exec, s[2:3]
	s_cbranch_execnz .LBB121_28
; %bb.29:
	s_or_b64 exec, exec, s[2:3]
.LBB121_30:
	s_or_b64 exec, exec, s[6:7]
.LBB121_31:
	v_mov_b32_dpp v16, v12 row_shr:1 row_mask:0xf bank_mask:0xf
	v_add_f32_e32 v12, v12, v16
	v_mov_b32_dpp v0, v14 row_shr:1 row_mask:0xf bank_mask:0xf
	v_mov_b32_dpp v8, v15 row_shr:1 row_mask:0xf bank_mask:0xf
	;; [unrolled: 1-line block ×3, first 2 shown]
	v_add_f32_e32 v0, v14, v0
	v_add_f32_e32 v8, v15, v8
	v_mov_b32_dpp v14, v10 row_shr:1 row_mask:0xf bank_mask:0xf
	v_mov_b32_dpp v15, v11 row_shr:1 row_mask:0xf bank_mask:0xf
	v_add_f32_e32 v17, v12, v16
	v_mov_b32_dpp v12, v13 row_shr:1 row_mask:0xf bank_mask:0xf
	v_add_f32_e32 v10, v10, v14
	v_add_f32_e32 v11, v11, v15
	;; [unrolled: 1-line block ×3, first 2 shown]
	v_mov_b32_dpp v1, v0 row_shr:2 row_mask:0xf bank_mask:0xf
	v_mov_b32_dpp v9, v8 row_shr:2 row_mask:0xf bank_mask:0xf
	;; [unrolled: 1-line block ×5, first 2 shown]
	v_add_f32_e32 v0, v0, v1
	v_add_f32_e32 v8, v8, v9
	;; [unrolled: 1-line block ×5, first 2 shown]
	v_mov_b32_dpp v1, v0 row_shr:4 row_mask:0xf bank_mask:0xe
	v_mov_b32_dpp v9, v8 row_shr:4 row_mask:0xf bank_mask:0xe
	;; [unrolled: 1-line block ×6, first 2 shown]
	v_cmp_eq_u32_e32 vcc, 7, v7
	s_and_b64 exec, exec, vcc
	s_cbranch_execz .LBB121_14
; %bb.32:
	s_load_dwordx2 s[2:3], s[0:1], 0x50
	v_add_f32_e32 v12, v0, v1
	v_and_b32_e32 v1, 0x7fffffff, v4
	v_cmp_eq_u32_e32 vcc, 0, v1
	v_cmp_eq_f32_e64 s[0:1], 0, v5
	v_lshl_add_u32 v6, v6, 1, v6
	v_add_f32_e32 v16, v8, v9
	v_add_f32_e32 v10, v10, v14
	;; [unrolled: 1-line block ×5, first 2 shown]
	s_and_b64 s[0:1], vcc, s[0:1]
	v_ashrrev_i32_e32 v7, 31, v6
	s_waitcnt lgkmcnt(0)
	s_and_saveexec_b64 s[4:5], s[0:1]
	s_xor_b64 s[0:1], exec, s[4:5]
	s_cbranch_execz .LBB121_34
; %bb.33:
	v_xor_b32_e32 v18, 0x80000000, v3
	v_mov_b32_e32 v19, v2
	v_lshl_add_u64 v[20:21], v[6:7], 3, s[2:3]
	v_pk_mul_f32 v[4:5], v[16:17], v[18:19] op_sel_hi:[0,1]
	v_pk_mul_f32 v[6:7], v[14:15], v[18:19] op_sel_hi:[0,1]
	v_pk_fma_f32 v[4:5], v[2:3], v[12:13], v[4:5] op_sel_hi:[1,0,1]
	v_pk_fma_f32 v[6:7], v[2:3], v[10:11], v[6:7] op_sel_hi:[1,0,1]
	global_store_dwordx4 v[20:21], v[4:7], off
                                        ; implicit-def: $vgpr12
                                        ; implicit-def: $vgpr16
                                        ; implicit-def: $vgpr10
                                        ; implicit-def: $vgpr14
                                        ; implicit-def: $vgpr6
	s_nop 1
	v_pk_mul_f32 v[4:5], v[8:9], v[18:19] op_sel_hi:[0,1]
	v_pk_fma_f32 v[0:1], v[2:3], v[0:1], v[4:5] op_sel_hi:[1,0,1]
	global_store_dwordx2 v[20:21], v[0:1], off offset:16
                                        ; implicit-def: $vgpr3
                                        ; implicit-def: $vgpr4
                                        ; implicit-def: $vgpr0
                                        ; implicit-def: $vgpr8
.LBB121_34:
	s_andn2_saveexec_b64 s[0:1], s[0:1]
	s_cbranch_execz .LBB121_14
; %bb.35:
	v_lshl_add_u64 v[6:7], v[6:7], 3, s[2:3]
	global_load_dwordx4 v[18:21], v[6:7], off
	global_load_dwordx2 v[22:23], v[6:7], off offset:16
	v_xor_b32_e32 v24, 0x80000000, v3
	v_mov_b32_e32 v25, v2
	v_pk_mul_f32 v[16:17], v[16:17], v[24:25] op_sel_hi:[0,1]
	v_pk_mul_f32 v[14:15], v[14:15], v[24:25] op_sel_hi:[0,1]
	;; [unrolled: 1-line block ×3, first 2 shown]
	v_pk_fma_f32 v[12:13], v[2:3], v[12:13], v[16:17] op_sel_hi:[1,0,1]
	v_pk_fma_f32 v[10:11], v[2:3], v[10:11], v[14:15] op_sel_hi:[1,0,1]
	v_xor_b32_e32 v26, 0x80000000, v5
	v_mov_b32_e32 v27, v4
	v_pk_fma_f32 v[0:1], v[2:3], v[0:1], v[8:9] op_sel_hi:[1,0,1]
	s_waitcnt vmcnt(1)
	v_pk_fma_f32 v[2:3], v[4:5], v[18:19], v[12:13] op_sel_hi:[1,0,1]
	v_pk_fma_f32 v[8:9], v[4:5], v[20:21], v[10:11] op_sel_hi:[1,0,1]
	v_mov_b32_e32 v10, v21
	s_waitcnt vmcnt(0)
	v_pk_fma_f32 v[4:5], v[4:5], v[22:23], v[0:1] op_sel_hi:[1,0,1]
	v_pk_fma_f32 v[0:1], v[26:27], v[18:19], v[2:3] op_sel:[0,1,0]
	v_pk_fma_f32 v[2:3], v[26:27], v[10:11], v[8:9] op_sel_hi:[1,0,1]
	v_pk_fma_f32 v[4:5], v[26:27], v[22:23], v[4:5] op_sel:[0,1,0]
	global_store_dwordx4 v[6:7], v[0:3], off
	global_store_dwordx2 v[6:7], v[4:5], off offset:16
	s_endpgm
	.section	.rodata,"a",@progbits
	.p2align	6, 0x0
	.amdhsa_kernel _ZN9rocsparseL18bsrxmvn_3x3_kernelILj256ELj8E21rocsparse_complex_numIfEiifS2_S2_EEvT3_20rocsparse_direction_NS_24const_host_device_scalarIT1_EES3_PKS3_PKT2_SC_S9_PKT4_PKT5_S7_PT6_21rocsparse_index_base_b
		.amdhsa_group_segment_fixed_size 0
		.amdhsa_private_segment_fixed_size 0
		.amdhsa_kernarg_size 96
		.amdhsa_user_sgpr_count 2
		.amdhsa_user_sgpr_dispatch_ptr 0
		.amdhsa_user_sgpr_queue_ptr 0
		.amdhsa_user_sgpr_kernarg_segment_ptr 1
		.amdhsa_user_sgpr_dispatch_id 0
		.amdhsa_user_sgpr_kernarg_preload_length 0
		.amdhsa_user_sgpr_kernarg_preload_offset 0
		.amdhsa_user_sgpr_private_segment_size 0
		.amdhsa_uses_dynamic_stack 0
		.amdhsa_enable_private_segment 0
		.amdhsa_system_sgpr_workgroup_id_x 1
		.amdhsa_system_sgpr_workgroup_id_y 0
		.amdhsa_system_sgpr_workgroup_id_z 0
		.amdhsa_system_sgpr_workgroup_info 0
		.amdhsa_system_vgpr_workitem_id 0
		.amdhsa_next_free_vgpr 44
		.amdhsa_next_free_sgpr 16
		.amdhsa_accum_offset 44
		.amdhsa_reserve_vcc 1
		.amdhsa_float_round_mode_32 0
		.amdhsa_float_round_mode_16_64 0
		.amdhsa_float_denorm_mode_32 3
		.amdhsa_float_denorm_mode_16_64 3
		.amdhsa_dx10_clamp 1
		.amdhsa_ieee_mode 1
		.amdhsa_fp16_overflow 0
		.amdhsa_tg_split 0
		.amdhsa_exception_fp_ieee_invalid_op 0
		.amdhsa_exception_fp_denorm_src 0
		.amdhsa_exception_fp_ieee_div_zero 0
		.amdhsa_exception_fp_ieee_overflow 0
		.amdhsa_exception_fp_ieee_underflow 0
		.amdhsa_exception_fp_ieee_inexact 0
		.amdhsa_exception_int_div_zero 0
	.end_amdhsa_kernel
	.section	.text._ZN9rocsparseL18bsrxmvn_3x3_kernelILj256ELj8E21rocsparse_complex_numIfEiifS2_S2_EEvT3_20rocsparse_direction_NS_24const_host_device_scalarIT1_EES3_PKS3_PKT2_SC_S9_PKT4_PKT5_S7_PT6_21rocsparse_index_base_b,"axG",@progbits,_ZN9rocsparseL18bsrxmvn_3x3_kernelILj256ELj8E21rocsparse_complex_numIfEiifS2_S2_EEvT3_20rocsparse_direction_NS_24const_host_device_scalarIT1_EES3_PKS3_PKT2_SC_S9_PKT4_PKT5_S7_PT6_21rocsparse_index_base_b,comdat
.Lfunc_end121:
	.size	_ZN9rocsparseL18bsrxmvn_3x3_kernelILj256ELj8E21rocsparse_complex_numIfEiifS2_S2_EEvT3_20rocsparse_direction_NS_24const_host_device_scalarIT1_EES3_PKS3_PKT2_SC_S9_PKT4_PKT5_S7_PT6_21rocsparse_index_base_b, .Lfunc_end121-_ZN9rocsparseL18bsrxmvn_3x3_kernelILj256ELj8E21rocsparse_complex_numIfEiifS2_S2_EEvT3_20rocsparse_direction_NS_24const_host_device_scalarIT1_EES3_PKS3_PKT2_SC_S9_PKT4_PKT5_S7_PT6_21rocsparse_index_base_b
                                        ; -- End function
	.section	.AMDGPU.csdata,"",@progbits
; Kernel info:
; codeLenInByte = 2004
; NumSgprs: 22
; NumVgprs: 44
; NumAgprs: 0
; TotalNumVgprs: 44
; ScratchSize: 0
; MemoryBound: 0
; FloatMode: 240
; IeeeMode: 1
; LDSByteSize: 0 bytes/workgroup (compile time only)
; SGPRBlocks: 2
; VGPRBlocks: 5
; NumSGPRsForWavesPerEU: 22
; NumVGPRsForWavesPerEU: 44
; AccumOffset: 44
; Occupancy: 8
; WaveLimiterHint : 1
; COMPUTE_PGM_RSRC2:SCRATCH_EN: 0
; COMPUTE_PGM_RSRC2:USER_SGPR: 2
; COMPUTE_PGM_RSRC2:TRAP_HANDLER: 0
; COMPUTE_PGM_RSRC2:TGID_X_EN: 1
; COMPUTE_PGM_RSRC2:TGID_Y_EN: 0
; COMPUTE_PGM_RSRC2:TGID_Z_EN: 0
; COMPUTE_PGM_RSRC2:TIDIG_COMP_CNT: 0
; COMPUTE_PGM_RSRC3_GFX90A:ACCUM_OFFSET: 10
; COMPUTE_PGM_RSRC3_GFX90A:TG_SPLIT: 0
	.section	.text._ZN9rocsparseL18bsrxmvn_3x3_kernelILj256ELj16E21rocsparse_complex_numIfEiifS2_S2_EEvT3_20rocsparse_direction_NS_24const_host_device_scalarIT1_EES3_PKS3_PKT2_SC_S9_PKT4_PKT5_S7_PT6_21rocsparse_index_base_b,"axG",@progbits,_ZN9rocsparseL18bsrxmvn_3x3_kernelILj256ELj16E21rocsparse_complex_numIfEiifS2_S2_EEvT3_20rocsparse_direction_NS_24const_host_device_scalarIT1_EES3_PKS3_PKT2_SC_S9_PKT4_PKT5_S7_PT6_21rocsparse_index_base_b,comdat
	.globl	_ZN9rocsparseL18bsrxmvn_3x3_kernelILj256ELj16E21rocsparse_complex_numIfEiifS2_S2_EEvT3_20rocsparse_direction_NS_24const_host_device_scalarIT1_EES3_PKS3_PKT2_SC_S9_PKT4_PKT5_S7_PT6_21rocsparse_index_base_b ; -- Begin function _ZN9rocsparseL18bsrxmvn_3x3_kernelILj256ELj16E21rocsparse_complex_numIfEiifS2_S2_EEvT3_20rocsparse_direction_NS_24const_host_device_scalarIT1_EES3_PKS3_PKT2_SC_S9_PKT4_PKT5_S7_PT6_21rocsparse_index_base_b
	.p2align	8
	.type	_ZN9rocsparseL18bsrxmvn_3x3_kernelILj256ELj16E21rocsparse_complex_numIfEiifS2_S2_EEvT3_20rocsparse_direction_NS_24const_host_device_scalarIT1_EES3_PKS3_PKT2_SC_S9_PKT4_PKT5_S7_PT6_21rocsparse_index_base_b,@function
_ZN9rocsparseL18bsrxmvn_3x3_kernelILj256ELj16E21rocsparse_complex_numIfEiifS2_S2_EEvT3_20rocsparse_direction_NS_24const_host_device_scalarIT1_EES3_PKS3_PKT2_SC_S9_PKT4_PKT5_S7_PT6_21rocsparse_index_base_b: ; @_ZN9rocsparseL18bsrxmvn_3x3_kernelILj256ELj16E21rocsparse_complex_numIfEiifS2_S2_EEvT3_20rocsparse_direction_NS_24const_host_device_scalarIT1_EES3_PKS3_PKT2_SC_S9_PKT4_PKT5_S7_PT6_21rocsparse_index_base_b
; %bb.0:
	s_load_dwordx2 s[12:13], s[0:1], 0x58
	s_load_dwordx2 s[8:9], s[0:1], 0x8
	;; [unrolled: 1-line block ×3, first 2 shown]
	s_waitcnt lgkmcnt(0)
	s_bitcmp1_b32 s13, 0
	s_cselect_b64 s[4:5], -1, 0
	s_xor_b64 s[10:11], s[4:5], -1
	s_and_b64 vcc, exec, s[4:5]
	v_mov_b32_e32 v2, s8
	s_cbranch_vccnz .LBB122_2
; %bb.1:
	v_mov_b64_e32 v[2:3], s[8:9]
	flat_load_dword v2, v[2:3]
.LBB122_2:
	v_cndmask_b32_e64 v1, 0, 1, s[10:11]
	v_cmp_ne_u32_e64 s[4:5], 1, v1
	s_andn2_b64 vcc, exec, s[10:11]
	v_mov_b32_e32 v3, s9
	s_cbranch_vccz .LBB122_15
; %bb.3:
	s_and_b64 vcc, exec, s[4:5]
	v_mov_b32_e32 v4, s6
	s_cbranch_vccz .LBB122_16
.LBB122_4:
	s_and_b64 vcc, exec, s[4:5]
	v_mov_b32_e32 v5, s7
	s_cbranch_vccnz .LBB122_6
.LBB122_5:
	v_mov_b64_e32 v[6:7], s[6:7]
	flat_load_dword v5, v[6:7] offset:4
.LBB122_6:
	s_waitcnt vmcnt(0) lgkmcnt(0)
	v_and_b32_e32 v1, 0x7fffffff, v2
	v_cmp_eq_u32_e32 vcc, 0, v1
	v_cmp_eq_f32_e64 s[4:5], 0, v3
	s_and_b64 s[8:9], vcc, s[4:5]
	s_mov_b64 s[4:5], -1
	s_and_saveexec_b64 s[6:7], s[8:9]
; %bb.7:
	v_and_b32_e32 v1, 0x7fffffff, v5
	v_cmp_neq_f32_e32 vcc, 1.0, v4
	v_cmp_ne_u32_e64 s[4:5], 0, v1
	s_or_b64 s[4:5], vcc, s[4:5]
	s_orn2_b64 s[4:5], s[4:5], exec
; %bb.8:
	s_or_b64 exec, exec, s[6:7]
	s_and_saveexec_b64 s[6:7], s[4:5]
	s_cbranch_execz .LBB122_14
; %bb.9:
	s_load_dwordx2 s[4:5], s[0:1], 0x18
	s_load_dwordx2 s[14:15], s[0:1], 0x0
	v_lshrrev_b32_e32 v1, 4, v0
	v_lshl_or_b32 v6, s2, 4, v1
	s_mov_b64 s[2:3], 0
	s_waitcnt lgkmcnt(0)
	s_cmp_lg_u64 s[4:5], 0
	s_cbranch_scc0 .LBB122_17
; %bb.10:
	s_load_dword s6, s[0:1], 0x10
                                        ; implicit-def: $vgpr1
	s_waitcnt lgkmcnt(0)
	v_cmp_gt_i32_e32 vcc, s6, v6
	s_and_saveexec_b64 s[6:7], vcc
	s_xor_b64 s[6:7], exec, s[6:7]
	s_cbranch_execz .LBB122_12
; %bb.11:
	v_ashrrev_i32_e32 v7, 31, v6
	v_lshl_add_u64 v[8:9], v[6:7], 2, s[4:5]
	global_load_dword v1, v[8:9], off
	s_mov_b64 s[2:3], exec
	s_waitcnt vmcnt(0)
	v_subrev_u32_e32 v1, s12, v1
.LBB122_12:
	s_or_b64 exec, exec, s[6:7]
	s_branch .LBB122_18
.LBB122_13:
	v_cmp_gt_i32_e32 vcc, s14, v6
	s_andn2_b64 s[2:3], s[2:3], exec
	s_and_b64 s[4:5], vcc, exec
	s_or_b64 s[2:3], s[2:3], s[4:5]
	s_and_b64 exec, exec, s[2:3]
	s_cbranch_execnz .LBB122_19
.LBB122_14:
	s_endpgm
.LBB122_15:
	v_mov_b64_e32 v[4:5], s[8:9]
	flat_load_dword v3, v[4:5] offset:4
	s_and_b64 vcc, exec, s[4:5]
	v_mov_b32_e32 v4, s6
	s_cbranch_vccnz .LBB122_4
.LBB122_16:
	v_mov_b64_e32 v[4:5], s[6:7]
	flat_load_dword v4, v[4:5]
	s_and_b64 vcc, exec, s[4:5]
	v_mov_b32_e32 v5, s7
	s_cbranch_vccz .LBB122_5
	s_branch .LBB122_6
.LBB122_17:
                                        ; implicit-def: $vgpr1
	s_cbranch_execnz .LBB122_13
.LBB122_18:
	v_mov_b32_e32 v6, v1
	s_and_b64 exec, exec, s[2:3]
	s_cbranch_execz .LBB122_14
.LBB122_19:
	s_load_dwordx8 s[4:11], s[0:1], 0x20
	v_ashrrev_i32_e32 v7, 31, v6
	v_lshlrev_b64 v[8:9], 2, v[6:7]
	v_and_b32_e32 v7, 15, v0
	s_waitcnt lgkmcnt(0)
	v_lshl_add_u64 v[10:11], s[4:5], 0, v[8:9]
	s_cmp_eq_u64 s[6:7], 0
	global_load_dword v1, v[10:11], off
	v_lshl_add_u64 v[10:11], v[10:11], 0, 4
	v_lshl_add_u64 v[8:9], s[6:7], 0, v[8:9]
	s_cselect_b64 vcc, -1, 0
	v_cndmask_b32_e32 v9, v9, v11, vcc
	v_cndmask_b32_e32 v8, v8, v10, vcc
	global_load_dword v8, v[8:9], off
	s_load_dwordx2 s[4:5], s[0:1], 0x40
	s_cmp_eq_u32 s15, 1
	s_waitcnt vmcnt(1)
	v_subrev_u32_e32 v0, s12, v1
	v_add_u32_e32 v0, v0, v7
	s_waitcnt vmcnt(0)
	v_subrev_u32_e32 v24, s12, v8
	v_mad_i64_i32 v[8:9], s[2:3], v0, 36, s[10:11]
	v_cmp_lt_i32_e64 s[2:3], v0, v24
	s_cbranch_scc1 .LBB122_25
; %bb.20:
	v_mov_b32_e32 v15, 0
	v_mov_b32_e32 v14, v15
	;; [unrolled: 1-line block ×6, first 2 shown]
	s_and_saveexec_b64 s[6:7], s[2:3]
	s_cbranch_execz .LBB122_24
; %bb.21:
	v_mov_b32_e32 v17, 0
	s_mov_b64 s[10:11], 0
	s_mov_b64 s[14:15], 0x240
	v_bfrev_b32_e32 v18, 1
	v_mov_b32_e32 v20, v0
	v_mov_b64_e32 v[22:23], v[8:9]
	v_mov_b32_e32 v10, v17
	v_mov_b32_e32 v11, v17
	;; [unrolled: 1-line block ×6, first 2 shown]
.LBB122_22:                             ; =>This Inner Loop Header: Depth=1
	v_ashrrev_i32_e32 v21, 31, v20
	v_lshl_add_u64 v[34:35], v[20:21], 2, s[8:9]
	global_load_dword v1, v[34:35], off
	global_load_dwordx4 v[26:29], v[22:23], off offset:16
	global_load_dwordx4 v[30:33], v[22:23], off
	v_mov_b32_e32 v43, v17
	v_add_u32_e32 v20, 16, v20
	v_cmp_ge_i32_e32 vcc, v20, v24
	s_or_b64 s[10:11], vcc, s[10:11]
	s_waitcnt vmcnt(2)
	v_subrev_u32_e32 v1, s12, v1
	v_lshl_add_u32 v34, v1, 1, v1
	v_ashrrev_i32_e32 v35, 31, v34
	s_waitcnt lgkmcnt(0)
	v_lshl_add_u64 v[38:39], v[34:35], 3, s[4:5]
	global_load_dwordx4 v[34:37], v[38:39], off
	global_load_dwordx2 v[40:41], v[38:39], off offset:16
	global_load_dword v42, v[22:23], off offset:32
	s_waitcnt vmcnt(3)
	v_mov_b32_e32 v16, v30
	v_mov_b32_e32 v19, v30
	v_lshl_add_u64 v[22:23], v[22:23], 0, s[14:15]
	s_waitcnt vmcnt(2)
	v_pk_fma_f32 v[14:15], v[34:35], v[16:17], v[14:15] op_sel_hi:[0,1,1]
	v_mov_b32_e32 v16, v31
	v_pk_fma_f32 v[14:15], v[34:35], v[18:19], v[14:15] op_sel:[1,0,0]
	v_mov_b32_e32 v30, v37
	v_mov_b32_e32 v19, v31
	v_pk_fma_f32 v[14:15], v[36:37], v[16:17], v[14:15] op_sel_hi:[0,1,1]
	v_mov_b32_e32 v16, v32
	v_pk_fma_f32 v[14:15], v[30:31], v[18:19], v[14:15] op_sel_hi:[0,1,1]
	v_mov_b32_e32 v19, v32
	s_waitcnt vmcnt(1)
	v_pk_fma_f32 v[14:15], v[40:41], v[16:17], v[14:15] op_sel_hi:[0,1,1]
	v_mov_b32_e32 v16, v33
	v_pk_fma_f32 v[14:15], v[40:41], v[18:19], v[14:15] op_sel:[1,0,0]
	v_pk_fma_f32 v[12:13], v[34:35], v[16:17], v[12:13] op_sel_hi:[0,1,1]
	v_mov_b32_e32 v19, v33
	v_mov_b32_e32 v16, v26
	v_pk_fma_f32 v[12:13], v[34:35], v[18:19], v[12:13] op_sel:[1,0,0]
	v_mov_b32_e32 v19, v26
	v_pk_fma_f32 v[12:13], v[36:37], v[16:17], v[12:13] op_sel_hi:[0,1,1]
	v_mov_b32_e32 v16, v27
	v_pk_fma_f32 v[12:13], v[30:31], v[18:19], v[12:13] op_sel_hi:[0,1,1]
	;; [unrolled: 2-line block ×3, first 2 shown]
	v_mov_b32_e32 v16, v28
	v_pk_fma_f32 v[12:13], v[40:41], v[18:19], v[12:13] op_sel:[1,0,0]
	v_pk_fma_f32 v[10:11], v[34:35], v[16:17], v[10:11] op_sel_hi:[0,1,1]
	v_mov_b32_e32 v19, v28
	v_mov_b32_e32 v16, v29
	v_pk_fma_f32 v[10:11], v[34:35], v[18:19], v[10:11] op_sel:[1,0,0]
	v_mov_b32_e32 v19, v29
	v_pk_fma_f32 v[10:11], v[36:37], v[16:17], v[10:11] op_sel_hi:[0,1,1]
	v_pk_fma_f32 v[10:11], v[30:31], v[18:19], v[10:11] op_sel_hi:[0,1,1]
	s_waitcnt vmcnt(0)
	v_mov_b32_e32 v19, v42
	v_pk_fma_f32 v[10:11], v[40:41], v[42:43], v[10:11] op_sel_hi:[0,1,1]
	v_pk_fma_f32 v[10:11], v[40:41], v[18:19], v[10:11] op_sel:[1,0,0]
	s_andn2_b64 exec, exec, s[10:11]
	s_cbranch_execnz .LBB122_22
; %bb.23:
	s_or_b64 exec, exec, s[10:11]
.LBB122_24:
	s_or_b64 exec, exec, s[6:7]
	s_cbranch_execz .LBB122_26
	s_branch .LBB122_31
.LBB122_25:
                                        ; implicit-def: $vgpr15
                                        ; implicit-def: $vgpr13
                                        ; implicit-def: $vgpr11
.LBB122_26:
	v_mov_b32_e32 v15, 0
	v_mov_b32_e32 v14, v15
	;; [unrolled: 1-line block ×6, first 2 shown]
	s_and_saveexec_b64 s[6:7], s[2:3]
	s_cbranch_execz .LBB122_30
; %bb.27:
	v_mov_b32_e32 v17, 0
	s_mov_b64 s[2:3], 0
	s_mov_b64 s[10:11], 0x240
	v_bfrev_b32_e32 v18, 1
	v_mov_b32_e32 v10, v17
	v_mov_b32_e32 v11, v17
	;; [unrolled: 1-line block ×6, first 2 shown]
.LBB122_28:                             ; =>This Inner Loop Header: Depth=1
	v_ashrrev_i32_e32 v1, 31, v0
	v_lshl_add_u64 v[30:31], v[0:1], 2, s[8:9]
	global_load_dword v1, v[30:31], off
	global_load_dwordx4 v[20:23], v[8:9], off offset:16
	global_load_dwordx4 v[26:29], v[8:9], off
	v_mov_b32_e32 v39, v17
	v_add_u32_e32 v0, 16, v0
	v_cmp_ge_i32_e32 vcc, v0, v24
	s_or_b64 s[2:3], vcc, s[2:3]
	s_waitcnt vmcnt(2)
	v_subrev_u32_e32 v1, s12, v1
	v_lshl_add_u32 v30, v1, 1, v1
	v_ashrrev_i32_e32 v31, 31, v30
	s_waitcnt lgkmcnt(0)
	v_lshl_add_u64 v[34:35], v[30:31], 3, s[4:5]
	global_load_dwordx4 v[30:33], v[34:35], off
	global_load_dwordx2 v[36:37], v[34:35], off offset:16
	global_load_dword v38, v[8:9], off offset:32
	s_waitcnt vmcnt(3)
	v_mov_b32_e32 v16, v26
	v_mov_b32_e32 v19, v26
	v_lshl_add_u64 v[8:9], v[8:9], 0, s[10:11]
	s_waitcnt vmcnt(2)
	v_pk_fma_f32 v[14:15], v[30:31], v[16:17], v[14:15] op_sel_hi:[0,1,1]
	v_mov_b32_e32 v16, v29
	v_pk_fma_f32 v[14:15], v[30:31], v[18:19], v[14:15] op_sel:[1,0,0]
	v_mov_b32_e32 v26, v33
	v_mov_b32_e32 v19, v29
	v_pk_fma_f32 v[14:15], v[32:33], v[16:17], v[14:15] op_sel_hi:[0,1,1]
	v_mov_b32_e32 v16, v22
	v_pk_fma_f32 v[14:15], v[26:27], v[18:19], v[14:15] op_sel_hi:[0,1,1]
	v_mov_b32_e32 v19, v22
	s_waitcnt vmcnt(1)
	v_pk_fma_f32 v[14:15], v[36:37], v[16:17], v[14:15] op_sel_hi:[0,1,1]
	v_mov_b32_e32 v16, v27
	v_pk_fma_f32 v[14:15], v[36:37], v[18:19], v[14:15] op_sel:[1,0,0]
	v_pk_fma_f32 v[12:13], v[30:31], v[16:17], v[12:13] op_sel_hi:[0,1,1]
	v_mov_b32_e32 v19, v27
	v_mov_b32_e32 v16, v20
	v_pk_fma_f32 v[12:13], v[30:31], v[18:19], v[12:13] op_sel:[1,0,0]
	v_mov_b32_e32 v19, v20
	v_pk_fma_f32 v[12:13], v[32:33], v[16:17], v[12:13] op_sel_hi:[0,1,1]
	v_mov_b32_e32 v16, v23
	v_pk_fma_f32 v[12:13], v[26:27], v[18:19], v[12:13] op_sel_hi:[0,1,1]
	v_mov_b32_e32 v29, v17
	v_mov_b32_e32 v19, v23
	v_pk_fma_f32 v[12:13], v[36:37], v[16:17], v[12:13] op_sel_hi:[0,1,1]
	v_pk_fma_f32 v[10:11], v[30:31], v[28:29], v[10:11] op_sel_hi:[0,1,1]
	v_pk_fma_f32 v[12:13], v[36:37], v[18:19], v[12:13] op_sel:[1,0,0]
	v_mov_b32_e32 v19, v28
	v_mov_b32_e32 v16, v21
	v_pk_fma_f32 v[10:11], v[30:31], v[18:19], v[10:11] op_sel:[1,0,0]
	v_mov_b32_e32 v19, v21
	v_pk_fma_f32 v[10:11], v[32:33], v[16:17], v[10:11] op_sel_hi:[0,1,1]
	v_pk_fma_f32 v[10:11], v[26:27], v[18:19], v[10:11] op_sel_hi:[0,1,1]
	s_waitcnt vmcnt(0)
	v_mov_b32_e32 v19, v38
	v_pk_fma_f32 v[10:11], v[36:37], v[38:39], v[10:11] op_sel_hi:[0,1,1]
	v_pk_fma_f32 v[10:11], v[36:37], v[18:19], v[10:11] op_sel:[1,0,0]
	s_andn2_b64 exec, exec, s[2:3]
	s_cbranch_execnz .LBB122_28
; %bb.29:
	s_or_b64 exec, exec, s[2:3]
.LBB122_30:
	s_or_b64 exec, exec, s[6:7]
.LBB122_31:
	v_mov_b32_dpp v0, v14 row_shr:1 row_mask:0xf bank_mask:0xf
	v_add_f32_e32 v0, v14, v0
	v_mov_b32_dpp v14, v12 row_shr:1 row_mask:0xf bank_mask:0xf
	v_add_f32_e32 v12, v12, v14
	v_mov_b32_dpp v8, v15 row_shr:1 row_mask:0xf bank_mask:0xf
	v_add_f32_e32 v8, v15, v8
	v_mov_b32_dpp v14, v12 row_shr:2 row_mask:0xf bank_mask:0xf
	v_add_f32_e32 v12, v12, v14
	v_mov_b32_dpp v1, v0 row_shr:2 row_mask:0xf bank_mask:0xf
	v_mov_b32_dpp v9, v8 row_shr:2 row_mask:0xf bank_mask:0xf
	;; [unrolled: 1-line block ×3, first 2 shown]
	v_add_f32_e32 v14, v12, v14
	v_mov_b32_dpp v12, v13 row_shr:1 row_mask:0xf bank_mask:0xf
	v_add_f32_e32 v12, v13, v12
	v_add_f32_e32 v0, v0, v1
	;; [unrolled: 1-line block ×3, first 2 shown]
	v_mov_b32_dpp v13, v12 row_shr:2 row_mask:0xf bank_mask:0xf
	v_add_f32_e32 v12, v12, v13
	v_mov_b32_dpp v1, v0 row_shr:4 row_mask:0xf bank_mask:0xe
	v_mov_b32_dpp v9, v8 row_shr:4 row_mask:0xf bank_mask:0xe
	;; [unrolled: 1-line block ×3, first 2 shown]
	v_add_f32_e32 v13, v12, v13
	v_mov_b32_dpp v12, v10 row_shr:1 row_mask:0xf bank_mask:0xf
	v_add_f32_e32 v10, v10, v12
	v_add_f32_e32 v0, v0, v1
	;; [unrolled: 1-line block ×3, first 2 shown]
	v_mov_b32_dpp v12, v10 row_shr:2 row_mask:0xf bank_mask:0xf
	v_add_f32_e32 v10, v10, v12
	v_mov_b32_dpp v1, v0 row_shr:8 row_mask:0xf bank_mask:0xc
	v_mov_b32_dpp v9, v8 row_shr:8 row_mask:0xf bank_mask:0xc
	v_mov_b32_dpp v12, v10 row_shr:4 row_mask:0xf bank_mask:0xe
	v_add_f32_e32 v18, v10, v12
	v_mov_b32_dpp v10, v11 row_shr:1 row_mask:0xf bank_mask:0xf
	v_add_f32_e32 v10, v11, v10
	v_mov_b32_dpp v15, v14 row_shr:8 row_mask:0xf bank_mask:0xc
	v_mov_b32_dpp v17, v13 row_shr:8 row_mask:0xf bank_mask:0xc
	v_mov_b32_dpp v11, v10 row_shr:2 row_mask:0xf bank_mask:0xf
	v_add_f32_e32 v10, v10, v11
	v_mov_b32_dpp v19, v18 row_shr:8 row_mask:0xf bank_mask:0xc
	v_cmp_eq_u32_e32 vcc, 15, v7
	v_mov_b32_dpp v11, v10 row_shr:4 row_mask:0xf bank_mask:0xe
	v_add_f32_e32 v11, v10, v11
	s_nop 1
	v_mov_b32_dpp v20, v11 row_shr:8 row_mask:0xf bank_mask:0xc
	s_and_b64 exec, exec, vcc
	s_cbranch_execz .LBB122_14
; %bb.32:
	s_load_dwordx2 s[2:3], s[0:1], 0x50
	v_add_f32_e32 v12, v0, v1
	v_and_b32_e32 v1, 0x7fffffff, v4
	v_cmp_eq_u32_e32 vcc, 0, v1
	v_cmp_eq_f32_e64 s[0:1], 0, v5
	v_lshl_add_u32 v6, v6, 1, v6
	v_add_f32_e32 v16, v8, v9
	v_add_f32_e32 v10, v14, v15
	;; [unrolled: 1-line block ×5, first 2 shown]
	s_and_b64 s[0:1], vcc, s[0:1]
	v_ashrrev_i32_e32 v7, 31, v6
	s_waitcnt lgkmcnt(0)
	s_and_saveexec_b64 s[4:5], s[0:1]
	s_xor_b64 s[0:1], exec, s[4:5]
	s_cbranch_execz .LBB122_34
; %bb.33:
	v_xor_b32_e32 v18, 0x80000000, v3
	v_mov_b32_e32 v19, v2
	v_lshl_add_u64 v[20:21], v[6:7], 3, s[2:3]
	v_pk_mul_f32 v[4:5], v[16:17], v[18:19] op_sel_hi:[0,1]
	v_pk_mul_f32 v[6:7], v[14:15], v[18:19] op_sel_hi:[0,1]
	v_pk_fma_f32 v[4:5], v[2:3], v[12:13], v[4:5] op_sel_hi:[1,0,1]
	v_pk_fma_f32 v[6:7], v[2:3], v[10:11], v[6:7] op_sel_hi:[1,0,1]
	global_store_dwordx4 v[20:21], v[4:7], off
                                        ; implicit-def: $vgpr12
                                        ; implicit-def: $vgpr16
                                        ; implicit-def: $vgpr10
                                        ; implicit-def: $vgpr14
                                        ; implicit-def: $vgpr6
	s_nop 1
	v_pk_mul_f32 v[4:5], v[8:9], v[18:19] op_sel_hi:[0,1]
	v_pk_fma_f32 v[0:1], v[2:3], v[0:1], v[4:5] op_sel_hi:[1,0,1]
	global_store_dwordx2 v[20:21], v[0:1], off offset:16
                                        ; implicit-def: $vgpr3
                                        ; implicit-def: $vgpr4
                                        ; implicit-def: $vgpr0
                                        ; implicit-def: $vgpr8
.LBB122_34:
	s_andn2_saveexec_b64 s[0:1], s[0:1]
	s_cbranch_execz .LBB122_14
; %bb.35:
	v_lshl_add_u64 v[6:7], v[6:7], 3, s[2:3]
	global_load_dwordx4 v[18:21], v[6:7], off
	global_load_dwordx2 v[22:23], v[6:7], off offset:16
	v_xor_b32_e32 v24, 0x80000000, v3
	v_mov_b32_e32 v25, v2
	v_pk_mul_f32 v[16:17], v[16:17], v[24:25] op_sel_hi:[0,1]
	v_pk_mul_f32 v[14:15], v[14:15], v[24:25] op_sel_hi:[0,1]
	;; [unrolled: 1-line block ×3, first 2 shown]
	v_pk_fma_f32 v[12:13], v[2:3], v[12:13], v[16:17] op_sel_hi:[1,0,1]
	v_pk_fma_f32 v[10:11], v[2:3], v[10:11], v[14:15] op_sel_hi:[1,0,1]
	v_xor_b32_e32 v26, 0x80000000, v5
	v_mov_b32_e32 v27, v4
	v_pk_fma_f32 v[0:1], v[2:3], v[0:1], v[8:9] op_sel_hi:[1,0,1]
	s_waitcnt vmcnt(1)
	v_pk_fma_f32 v[2:3], v[4:5], v[18:19], v[12:13] op_sel_hi:[1,0,1]
	v_pk_fma_f32 v[8:9], v[4:5], v[20:21], v[10:11] op_sel_hi:[1,0,1]
	v_mov_b32_e32 v10, v21
	s_waitcnt vmcnt(0)
	v_pk_fma_f32 v[4:5], v[4:5], v[22:23], v[0:1] op_sel_hi:[1,0,1]
	v_pk_fma_f32 v[0:1], v[26:27], v[18:19], v[2:3] op_sel:[0,1,0]
	v_pk_fma_f32 v[2:3], v[26:27], v[10:11], v[8:9] op_sel_hi:[1,0,1]
	v_pk_fma_f32 v[4:5], v[26:27], v[22:23], v[4:5] op_sel:[0,1,0]
	global_store_dwordx4 v[6:7], v[0:3], off
	global_store_dwordx2 v[6:7], v[4:5], off offset:16
	s_endpgm
	.section	.rodata,"a",@progbits
	.p2align	6, 0x0
	.amdhsa_kernel _ZN9rocsparseL18bsrxmvn_3x3_kernelILj256ELj16E21rocsparse_complex_numIfEiifS2_S2_EEvT3_20rocsparse_direction_NS_24const_host_device_scalarIT1_EES3_PKS3_PKT2_SC_S9_PKT4_PKT5_S7_PT6_21rocsparse_index_base_b
		.amdhsa_group_segment_fixed_size 0
		.amdhsa_private_segment_fixed_size 0
		.amdhsa_kernarg_size 96
		.amdhsa_user_sgpr_count 2
		.amdhsa_user_sgpr_dispatch_ptr 0
		.amdhsa_user_sgpr_queue_ptr 0
		.amdhsa_user_sgpr_kernarg_segment_ptr 1
		.amdhsa_user_sgpr_dispatch_id 0
		.amdhsa_user_sgpr_kernarg_preload_length 0
		.amdhsa_user_sgpr_kernarg_preload_offset 0
		.amdhsa_user_sgpr_private_segment_size 0
		.amdhsa_uses_dynamic_stack 0
		.amdhsa_enable_private_segment 0
		.amdhsa_system_sgpr_workgroup_id_x 1
		.amdhsa_system_sgpr_workgroup_id_y 0
		.amdhsa_system_sgpr_workgroup_id_z 0
		.amdhsa_system_sgpr_workgroup_info 0
		.amdhsa_system_vgpr_workitem_id 0
		.amdhsa_next_free_vgpr 44
		.amdhsa_next_free_sgpr 16
		.amdhsa_accum_offset 44
		.amdhsa_reserve_vcc 1
		.amdhsa_float_round_mode_32 0
		.amdhsa_float_round_mode_16_64 0
		.amdhsa_float_denorm_mode_32 3
		.amdhsa_float_denorm_mode_16_64 3
		.amdhsa_dx10_clamp 1
		.amdhsa_ieee_mode 1
		.amdhsa_fp16_overflow 0
		.amdhsa_tg_split 0
		.amdhsa_exception_fp_ieee_invalid_op 0
		.amdhsa_exception_fp_denorm_src 0
		.amdhsa_exception_fp_ieee_div_zero 0
		.amdhsa_exception_fp_ieee_overflow 0
		.amdhsa_exception_fp_ieee_underflow 0
		.amdhsa_exception_fp_ieee_inexact 0
		.amdhsa_exception_int_div_zero 0
	.end_amdhsa_kernel
	.section	.text._ZN9rocsparseL18bsrxmvn_3x3_kernelILj256ELj16E21rocsparse_complex_numIfEiifS2_S2_EEvT3_20rocsparse_direction_NS_24const_host_device_scalarIT1_EES3_PKS3_PKT2_SC_S9_PKT4_PKT5_S7_PT6_21rocsparse_index_base_b,"axG",@progbits,_ZN9rocsparseL18bsrxmvn_3x3_kernelILj256ELj16E21rocsparse_complex_numIfEiifS2_S2_EEvT3_20rocsparse_direction_NS_24const_host_device_scalarIT1_EES3_PKS3_PKT2_SC_S9_PKT4_PKT5_S7_PT6_21rocsparse_index_base_b,comdat
.Lfunc_end122:
	.size	_ZN9rocsparseL18bsrxmvn_3x3_kernelILj256ELj16E21rocsparse_complex_numIfEiifS2_S2_EEvT3_20rocsparse_direction_NS_24const_host_device_scalarIT1_EES3_PKS3_PKT2_SC_S9_PKT4_PKT5_S7_PT6_21rocsparse_index_base_b, .Lfunc_end122-_ZN9rocsparseL18bsrxmvn_3x3_kernelILj256ELj16E21rocsparse_complex_numIfEiifS2_S2_EEvT3_20rocsparse_direction_NS_24const_host_device_scalarIT1_EES3_PKS3_PKT2_SC_S9_PKT4_PKT5_S7_PT6_21rocsparse_index_base_b
                                        ; -- End function
	.section	.AMDGPU.csdata,"",@progbits
; Kernel info:
; codeLenInByte = 2080
; NumSgprs: 22
; NumVgprs: 44
; NumAgprs: 0
; TotalNumVgprs: 44
; ScratchSize: 0
; MemoryBound: 0
; FloatMode: 240
; IeeeMode: 1
; LDSByteSize: 0 bytes/workgroup (compile time only)
; SGPRBlocks: 2
; VGPRBlocks: 5
; NumSGPRsForWavesPerEU: 22
; NumVGPRsForWavesPerEU: 44
; AccumOffset: 44
; Occupancy: 8
; WaveLimiterHint : 1
; COMPUTE_PGM_RSRC2:SCRATCH_EN: 0
; COMPUTE_PGM_RSRC2:USER_SGPR: 2
; COMPUTE_PGM_RSRC2:TRAP_HANDLER: 0
; COMPUTE_PGM_RSRC2:TGID_X_EN: 1
; COMPUTE_PGM_RSRC2:TGID_Y_EN: 0
; COMPUTE_PGM_RSRC2:TGID_Z_EN: 0
; COMPUTE_PGM_RSRC2:TIDIG_COMP_CNT: 0
; COMPUTE_PGM_RSRC3_GFX90A:ACCUM_OFFSET: 10
; COMPUTE_PGM_RSRC3_GFX90A:TG_SPLIT: 0
	.section	.text._ZN9rocsparseL18bsrxmvn_3x3_kernelILj256ELj32E21rocsparse_complex_numIfEiifS2_S2_EEvT3_20rocsparse_direction_NS_24const_host_device_scalarIT1_EES3_PKS3_PKT2_SC_S9_PKT4_PKT5_S7_PT6_21rocsparse_index_base_b,"axG",@progbits,_ZN9rocsparseL18bsrxmvn_3x3_kernelILj256ELj32E21rocsparse_complex_numIfEiifS2_S2_EEvT3_20rocsparse_direction_NS_24const_host_device_scalarIT1_EES3_PKS3_PKT2_SC_S9_PKT4_PKT5_S7_PT6_21rocsparse_index_base_b,comdat
	.globl	_ZN9rocsparseL18bsrxmvn_3x3_kernelILj256ELj32E21rocsparse_complex_numIfEiifS2_S2_EEvT3_20rocsparse_direction_NS_24const_host_device_scalarIT1_EES3_PKS3_PKT2_SC_S9_PKT4_PKT5_S7_PT6_21rocsparse_index_base_b ; -- Begin function _ZN9rocsparseL18bsrxmvn_3x3_kernelILj256ELj32E21rocsparse_complex_numIfEiifS2_S2_EEvT3_20rocsparse_direction_NS_24const_host_device_scalarIT1_EES3_PKS3_PKT2_SC_S9_PKT4_PKT5_S7_PT6_21rocsparse_index_base_b
	.p2align	8
	.type	_ZN9rocsparseL18bsrxmvn_3x3_kernelILj256ELj32E21rocsparse_complex_numIfEiifS2_S2_EEvT3_20rocsparse_direction_NS_24const_host_device_scalarIT1_EES3_PKS3_PKT2_SC_S9_PKT4_PKT5_S7_PT6_21rocsparse_index_base_b,@function
_ZN9rocsparseL18bsrxmvn_3x3_kernelILj256ELj32E21rocsparse_complex_numIfEiifS2_S2_EEvT3_20rocsparse_direction_NS_24const_host_device_scalarIT1_EES3_PKS3_PKT2_SC_S9_PKT4_PKT5_S7_PT6_21rocsparse_index_base_b: ; @_ZN9rocsparseL18bsrxmvn_3x3_kernelILj256ELj32E21rocsparse_complex_numIfEiifS2_S2_EEvT3_20rocsparse_direction_NS_24const_host_device_scalarIT1_EES3_PKS3_PKT2_SC_S9_PKT4_PKT5_S7_PT6_21rocsparse_index_base_b
; %bb.0:
	s_load_dwordx2 s[12:13], s[0:1], 0x58
	s_load_dwordx2 s[8:9], s[0:1], 0x8
	;; [unrolled: 1-line block ×3, first 2 shown]
	s_waitcnt lgkmcnt(0)
	s_bitcmp1_b32 s13, 0
	s_cselect_b64 s[4:5], -1, 0
	s_xor_b64 s[10:11], s[4:5], -1
	s_and_b64 vcc, exec, s[4:5]
	v_mov_b32_e32 v2, s8
	s_cbranch_vccnz .LBB123_2
; %bb.1:
	v_mov_b64_e32 v[2:3], s[8:9]
	flat_load_dword v2, v[2:3]
.LBB123_2:
	v_cndmask_b32_e64 v1, 0, 1, s[10:11]
	v_cmp_ne_u32_e64 s[4:5], 1, v1
	s_andn2_b64 vcc, exec, s[10:11]
	v_mov_b32_e32 v3, s9
	s_cbranch_vccz .LBB123_15
; %bb.3:
	s_and_b64 vcc, exec, s[4:5]
	v_mov_b32_e32 v4, s6
	s_cbranch_vccz .LBB123_16
.LBB123_4:
	s_and_b64 vcc, exec, s[4:5]
	v_mov_b32_e32 v5, s7
	s_cbranch_vccnz .LBB123_6
.LBB123_5:
	v_mov_b64_e32 v[6:7], s[6:7]
	flat_load_dword v5, v[6:7] offset:4
.LBB123_6:
	s_waitcnt vmcnt(0) lgkmcnt(0)
	v_and_b32_e32 v1, 0x7fffffff, v2
	v_cmp_eq_u32_e32 vcc, 0, v1
	v_cmp_eq_f32_e64 s[4:5], 0, v3
	s_and_b64 s[8:9], vcc, s[4:5]
	s_mov_b64 s[4:5], -1
	s_and_saveexec_b64 s[6:7], s[8:9]
; %bb.7:
	v_and_b32_e32 v1, 0x7fffffff, v5
	v_cmp_neq_f32_e32 vcc, 1.0, v4
	v_cmp_ne_u32_e64 s[4:5], 0, v1
	s_or_b64 s[4:5], vcc, s[4:5]
	s_orn2_b64 s[4:5], s[4:5], exec
; %bb.8:
	s_or_b64 exec, exec, s[6:7]
	s_and_saveexec_b64 s[6:7], s[4:5]
	s_cbranch_execz .LBB123_14
; %bb.9:
	s_load_dwordx2 s[4:5], s[0:1], 0x18
	s_load_dwordx2 s[14:15], s[0:1], 0x0
	v_lshrrev_b32_e32 v1, 5, v0
	v_lshl_or_b32 v6, s2, 3, v1
	s_mov_b64 s[2:3], 0
	s_waitcnt lgkmcnt(0)
	s_cmp_lg_u64 s[4:5], 0
	s_cbranch_scc0 .LBB123_17
; %bb.10:
	s_load_dword s6, s[0:1], 0x10
                                        ; implicit-def: $vgpr1
	s_waitcnt lgkmcnt(0)
	v_cmp_gt_i32_e32 vcc, s6, v6
	s_and_saveexec_b64 s[6:7], vcc
	s_xor_b64 s[6:7], exec, s[6:7]
	s_cbranch_execz .LBB123_12
; %bb.11:
	v_ashrrev_i32_e32 v7, 31, v6
	v_lshl_add_u64 v[8:9], v[6:7], 2, s[4:5]
	global_load_dword v1, v[8:9], off
	s_mov_b64 s[2:3], exec
	s_waitcnt vmcnt(0)
	v_subrev_u32_e32 v1, s12, v1
.LBB123_12:
	s_or_b64 exec, exec, s[6:7]
	s_branch .LBB123_18
.LBB123_13:
	v_cmp_gt_i32_e32 vcc, s14, v6
	s_andn2_b64 s[2:3], s[2:3], exec
	s_and_b64 s[4:5], vcc, exec
	s_or_b64 s[2:3], s[2:3], s[4:5]
	s_and_b64 exec, exec, s[2:3]
	s_cbranch_execnz .LBB123_19
.LBB123_14:
	s_endpgm
.LBB123_15:
	v_mov_b64_e32 v[4:5], s[8:9]
	flat_load_dword v3, v[4:5] offset:4
	s_and_b64 vcc, exec, s[4:5]
	v_mov_b32_e32 v4, s6
	s_cbranch_vccnz .LBB123_4
.LBB123_16:
	v_mov_b64_e32 v[4:5], s[6:7]
	flat_load_dword v4, v[4:5]
	s_and_b64 vcc, exec, s[4:5]
	v_mov_b32_e32 v5, s7
	s_cbranch_vccz .LBB123_5
	s_branch .LBB123_6
.LBB123_17:
                                        ; implicit-def: $vgpr1
	s_cbranch_execnz .LBB123_13
.LBB123_18:
	v_mov_b32_e32 v6, v1
	s_and_b64 exec, exec, s[2:3]
	s_cbranch_execz .LBB123_14
.LBB123_19:
	s_load_dwordx8 s[4:11], s[0:1], 0x20
	v_ashrrev_i32_e32 v7, 31, v6
	v_lshlrev_b64 v[8:9], 2, v[6:7]
	v_and_b32_e32 v7, 31, v0
	s_waitcnt lgkmcnt(0)
	v_lshl_add_u64 v[10:11], s[4:5], 0, v[8:9]
	s_cmp_eq_u64 s[6:7], 0
	global_load_dword v1, v[10:11], off
	v_lshl_add_u64 v[10:11], v[10:11], 0, 4
	v_lshl_add_u64 v[8:9], s[6:7], 0, v[8:9]
	s_cselect_b64 vcc, -1, 0
	v_cndmask_b32_e32 v9, v9, v11, vcc
	v_cndmask_b32_e32 v8, v8, v10, vcc
	global_load_dword v9, v[8:9], off
	s_load_dwordx2 s[4:5], s[0:1], 0x40
	s_cmp_eq_u32 s15, 1
	s_waitcnt vmcnt(1)
	v_subrev_u32_e32 v0, s12, v1
	v_add_u32_e32 v8, v0, v7
	v_mad_i64_i32 v[12:13], s[2:3], v8, 36, s[10:11]
	s_waitcnt vmcnt(0)
	v_subrev_u32_e32 v24, s12, v9
	v_cmp_lt_i32_e64 s[2:3], v8, v24
	s_cbranch_scc1 .LBB123_25
; %bb.20:
	v_mov_b32_e32 v15, 0
	v_mov_b32_e32 v14, v15
	;; [unrolled: 1-line block ×6, first 2 shown]
	s_and_saveexec_b64 s[6:7], s[2:3]
	s_cbranch_execz .LBB123_24
; %bb.21:
	v_mov_b32_e32 v17, 0
	s_mov_b64 s[10:11], 0
	s_mov_b64 s[14:15], 0x480
	v_bfrev_b32_e32 v18, 1
	v_mov_b32_e32 v20, v8
	v_mov_b64_e32 v[22:23], v[12:13]
	v_mov_b32_e32 v0, v17
	v_mov_b32_e32 v1, v17
	;; [unrolled: 1-line block ×6, first 2 shown]
.LBB123_22:                             ; =>This Inner Loop Header: Depth=1
	v_ashrrev_i32_e32 v21, 31, v20
	v_lshl_add_u64 v[34:35], v[20:21], 2, s[8:9]
	global_load_dword v9, v[34:35], off
	global_load_dwordx4 v[26:29], v[22:23], off offset:16
	global_load_dwordx4 v[30:33], v[22:23], off
	v_mov_b32_e32 v43, v17
	v_add_u32_e32 v20, 32, v20
	v_cmp_ge_i32_e32 vcc, v20, v24
	s_or_b64 s[10:11], vcc, s[10:11]
	s_waitcnt vmcnt(2)
	v_subrev_u32_e32 v9, s12, v9
	v_lshl_add_u32 v34, v9, 1, v9
	v_ashrrev_i32_e32 v35, 31, v34
	s_waitcnt lgkmcnt(0)
	v_lshl_add_u64 v[38:39], v[34:35], 3, s[4:5]
	global_load_dwordx4 v[34:37], v[38:39], off
	global_load_dwordx2 v[40:41], v[38:39], off offset:16
	global_load_dword v42, v[22:23], off offset:32
	s_waitcnt vmcnt(3)
	v_mov_b32_e32 v16, v30
	v_mov_b32_e32 v19, v30
	v_lshl_add_u64 v[22:23], v[22:23], 0, s[14:15]
	s_waitcnt vmcnt(2)
	v_pk_fma_f32 v[14:15], v[34:35], v[16:17], v[14:15] op_sel_hi:[0,1,1]
	v_mov_b32_e32 v16, v31
	v_pk_fma_f32 v[14:15], v[34:35], v[18:19], v[14:15] op_sel:[1,0,0]
	v_mov_b32_e32 v30, v37
	v_mov_b32_e32 v19, v31
	v_pk_fma_f32 v[14:15], v[36:37], v[16:17], v[14:15] op_sel_hi:[0,1,1]
	v_mov_b32_e32 v16, v32
	v_pk_fma_f32 v[14:15], v[30:31], v[18:19], v[14:15] op_sel_hi:[0,1,1]
	v_mov_b32_e32 v19, v32
	s_waitcnt vmcnt(1)
	v_pk_fma_f32 v[14:15], v[40:41], v[16:17], v[14:15] op_sel_hi:[0,1,1]
	v_mov_b32_e32 v16, v33
	v_pk_fma_f32 v[14:15], v[40:41], v[18:19], v[14:15] op_sel:[1,0,0]
	v_pk_fma_f32 v[10:11], v[34:35], v[16:17], v[10:11] op_sel_hi:[0,1,1]
	v_mov_b32_e32 v19, v33
	v_mov_b32_e32 v16, v26
	v_pk_fma_f32 v[10:11], v[34:35], v[18:19], v[10:11] op_sel:[1,0,0]
	v_mov_b32_e32 v19, v26
	v_pk_fma_f32 v[10:11], v[36:37], v[16:17], v[10:11] op_sel_hi:[0,1,1]
	v_mov_b32_e32 v16, v27
	v_pk_fma_f32 v[10:11], v[30:31], v[18:19], v[10:11] op_sel_hi:[0,1,1]
	;; [unrolled: 2-line block ×3, first 2 shown]
	v_mov_b32_e32 v16, v28
	v_pk_fma_f32 v[10:11], v[40:41], v[18:19], v[10:11] op_sel:[1,0,0]
	v_pk_fma_f32 v[0:1], v[34:35], v[16:17], v[0:1] op_sel_hi:[0,1,1]
	v_mov_b32_e32 v19, v28
	v_mov_b32_e32 v16, v29
	v_pk_fma_f32 v[0:1], v[34:35], v[18:19], v[0:1] op_sel:[1,0,0]
	v_mov_b32_e32 v19, v29
	v_pk_fma_f32 v[0:1], v[36:37], v[16:17], v[0:1] op_sel_hi:[0,1,1]
	v_pk_fma_f32 v[0:1], v[30:31], v[18:19], v[0:1] op_sel_hi:[0,1,1]
	s_waitcnt vmcnt(0)
	v_mov_b32_e32 v19, v42
	v_pk_fma_f32 v[0:1], v[40:41], v[42:43], v[0:1] op_sel_hi:[0,1,1]
	v_pk_fma_f32 v[0:1], v[40:41], v[18:19], v[0:1] op_sel:[1,0,0]
	s_andn2_b64 exec, exec, s[10:11]
	s_cbranch_execnz .LBB123_22
; %bb.23:
	s_or_b64 exec, exec, s[10:11]
.LBB123_24:
	s_or_b64 exec, exec, s[6:7]
	s_cbranch_execz .LBB123_26
	s_branch .LBB123_31
.LBB123_25:
                                        ; implicit-def: $vgpr15
                                        ; implicit-def: $vgpr11
                                        ; implicit-def: $vgpr1
.LBB123_26:
	v_mov_b32_e32 v15, 0
	v_mov_b32_e32 v14, v15
	;; [unrolled: 1-line block ×6, first 2 shown]
	s_and_saveexec_b64 s[6:7], s[2:3]
	s_cbranch_execz .LBB123_30
; %bb.27:
	v_mov_b32_e32 v17, 0
	s_mov_b64 s[2:3], 0
	s_mov_b64 s[10:11], 0x480
	v_bfrev_b32_e32 v18, 1
	v_mov_b32_e32 v0, v17
	v_mov_b32_e32 v1, v17
	v_mov_b32_e32 v10, v17
	v_mov_b32_e32 v11, v17
	v_mov_b32_e32 v14, v17
	v_mov_b32_e32 v15, v17
.LBB123_28:                             ; =>This Inner Loop Header: Depth=1
	v_ashrrev_i32_e32 v9, 31, v8
	v_lshl_add_u64 v[30:31], v[8:9], 2, s[8:9]
	global_load_dword v9, v[30:31], off
	global_load_dwordx4 v[20:23], v[12:13], off offset:16
	global_load_dwordx4 v[26:29], v[12:13], off
	v_mov_b32_e32 v39, v17
	v_add_u32_e32 v8, 32, v8
	v_cmp_ge_i32_e32 vcc, v8, v24
	s_or_b64 s[2:3], vcc, s[2:3]
	s_waitcnt vmcnt(2)
	v_subrev_u32_e32 v9, s12, v9
	v_lshl_add_u32 v30, v9, 1, v9
	v_ashrrev_i32_e32 v31, 31, v30
	s_waitcnt lgkmcnt(0)
	v_lshl_add_u64 v[34:35], v[30:31], 3, s[4:5]
	global_load_dwordx4 v[30:33], v[34:35], off
	global_load_dwordx2 v[36:37], v[34:35], off offset:16
	global_load_dword v38, v[12:13], off offset:32
	s_waitcnt vmcnt(3)
	v_mov_b32_e32 v16, v26
	v_mov_b32_e32 v19, v26
	v_lshl_add_u64 v[12:13], v[12:13], 0, s[10:11]
	s_waitcnt vmcnt(2)
	v_pk_fma_f32 v[14:15], v[30:31], v[16:17], v[14:15] op_sel_hi:[0,1,1]
	v_mov_b32_e32 v16, v29
	v_pk_fma_f32 v[14:15], v[30:31], v[18:19], v[14:15] op_sel:[1,0,0]
	v_mov_b32_e32 v26, v33
	v_mov_b32_e32 v19, v29
	v_pk_fma_f32 v[14:15], v[32:33], v[16:17], v[14:15] op_sel_hi:[0,1,1]
	v_mov_b32_e32 v16, v22
	v_pk_fma_f32 v[14:15], v[26:27], v[18:19], v[14:15] op_sel_hi:[0,1,1]
	v_mov_b32_e32 v19, v22
	s_waitcnt vmcnt(1)
	v_pk_fma_f32 v[14:15], v[36:37], v[16:17], v[14:15] op_sel_hi:[0,1,1]
	v_mov_b32_e32 v16, v27
	v_pk_fma_f32 v[14:15], v[36:37], v[18:19], v[14:15] op_sel:[1,0,0]
	v_pk_fma_f32 v[10:11], v[30:31], v[16:17], v[10:11] op_sel_hi:[0,1,1]
	v_mov_b32_e32 v19, v27
	v_mov_b32_e32 v16, v20
	v_pk_fma_f32 v[10:11], v[30:31], v[18:19], v[10:11] op_sel:[1,0,0]
	v_mov_b32_e32 v19, v20
	v_pk_fma_f32 v[10:11], v[32:33], v[16:17], v[10:11] op_sel_hi:[0,1,1]
	v_mov_b32_e32 v16, v23
	v_pk_fma_f32 v[10:11], v[26:27], v[18:19], v[10:11] op_sel_hi:[0,1,1]
	v_mov_b32_e32 v29, v17
	v_mov_b32_e32 v19, v23
	v_pk_fma_f32 v[10:11], v[36:37], v[16:17], v[10:11] op_sel_hi:[0,1,1]
	v_pk_fma_f32 v[0:1], v[30:31], v[28:29], v[0:1] op_sel_hi:[0,1,1]
	v_pk_fma_f32 v[10:11], v[36:37], v[18:19], v[10:11] op_sel:[1,0,0]
	v_mov_b32_e32 v19, v28
	v_mov_b32_e32 v16, v21
	v_pk_fma_f32 v[0:1], v[30:31], v[18:19], v[0:1] op_sel:[1,0,0]
	v_mov_b32_e32 v19, v21
	v_pk_fma_f32 v[0:1], v[32:33], v[16:17], v[0:1] op_sel_hi:[0,1,1]
	v_pk_fma_f32 v[0:1], v[26:27], v[18:19], v[0:1] op_sel_hi:[0,1,1]
	s_waitcnt vmcnt(0)
	v_mov_b32_e32 v19, v38
	v_pk_fma_f32 v[0:1], v[36:37], v[38:39], v[0:1] op_sel_hi:[0,1,1]
	v_pk_fma_f32 v[0:1], v[36:37], v[18:19], v[0:1] op_sel:[1,0,0]
	s_andn2_b64 exec, exec, s[2:3]
	s_cbranch_execnz .LBB123_28
; %bb.29:
	s_or_b64 exec, exec, s[2:3]
.LBB123_30:
	s_or_b64 exec, exec, s[6:7]
.LBB123_31:
	v_mov_b32_dpp v12, v15 row_shr:1 row_mask:0xf bank_mask:0xf
	v_add_f32_e32 v12, v15, v12
	v_mov_b32_dpp v8, v14 row_shr:1 row_mask:0xf bank_mask:0xf
	v_add_f32_e32 v8, v14, v8
	;; [unrolled: 2-line block ×10, first 2 shown]
	v_mov_b32_dpp v9, v8 row_bcast:15 row_mask:0xa bank_mask:0xf
	v_mov_b32_dpp v14, v13 row_bcast:15 row_mask:0xa bank_mask:0xf
	v_mov_b32_dpp v12, v10 row_shr:4 row_mask:0xf bank_mask:0xe
	v_add_f32_e32 v10, v10, v12
	v_cmp_eq_u32_e32 vcc, 31, v7
	s_nop 0
	v_mov_b32_dpp v12, v10 row_shr:8 row_mask:0xf bank_mask:0xc
	v_add_f32_e32 v10, v10, v12
	s_nop 0
	v_mov_b32_dpp v12, v11 row_shr:1 row_mask:0xf bank_mask:0xf
	v_add_f32_e32 v11, v11, v12
	v_mov_b32_dpp v15, v10 row_bcast:15 row_mask:0xa bank_mask:0xf
	s_nop 0
	v_mov_b32_dpp v12, v11 row_shr:2 row_mask:0xf bank_mask:0xf
	v_add_f32_e32 v11, v11, v12
	s_nop 1
	v_mov_b32_dpp v12, v11 row_shr:4 row_mask:0xf bank_mask:0xe
	v_add_f32_e32 v11, v11, v12
	s_nop 1
	v_mov_b32_dpp v12, v11 row_shr:8 row_mask:0xf bank_mask:0xc
	v_add_f32_e32 v11, v11, v12
	s_nop 0
	v_mov_b32_dpp v12, v0 row_shr:1 row_mask:0xf bank_mask:0xf
	v_add_f32_e32 v0, v0, v12
	v_mov_b32_dpp v17, v11 row_bcast:15 row_mask:0xa bank_mask:0xf
	s_nop 0
	v_mov_b32_dpp v12, v0 row_shr:2 row_mask:0xf bank_mask:0xf
	v_add_f32_e32 v0, v0, v12
	s_nop 1
	v_mov_b32_dpp v12, v0 row_shr:4 row_mask:0xf bank_mask:0xe
	v_add_f32_e32 v0, v0, v12
	;; [unrolled: 13-line block ×3, first 2 shown]
	s_nop 1
	v_mov_b32_dpp v12, v1 row_shr:8 row_mask:0xf bank_mask:0xc
	v_add_f32_e32 v1, v1, v12
	s_nop 1
	v_mov_b32_dpp v19, v1 row_bcast:15 row_mask:0xa bank_mask:0xf
	s_and_b64 exec, exec, vcc
	s_cbranch_execz .LBB123_14
; %bb.32:
	s_load_dwordx2 s[2:3], s[0:1], 0x50
	v_add_f32_e32 v12, v8, v9
	v_add_f32_e32 v8, v1, v19
	v_and_b32_e32 v1, 0x7fffffff, v4
	v_cmp_eq_u32_e32 vcc, 0, v1
	v_cmp_eq_f32_e64 s[0:1], 0, v5
	v_lshl_add_u32 v6, v6, 1, v6
	v_add_f32_e32 v16, v13, v14
	v_add_f32_e32 v10, v10, v15
	;; [unrolled: 1-line block ×4, first 2 shown]
	s_and_b64 s[0:1], vcc, s[0:1]
	v_ashrrev_i32_e32 v7, 31, v6
	s_waitcnt lgkmcnt(0)
	s_and_saveexec_b64 s[4:5], s[0:1]
	s_xor_b64 s[0:1], exec, s[4:5]
	s_cbranch_execz .LBB123_34
; %bb.33:
	v_xor_b32_e32 v18, 0x80000000, v3
	v_mov_b32_e32 v19, v2
	v_lshl_add_u64 v[20:21], v[6:7], 3, s[2:3]
	v_pk_mul_f32 v[4:5], v[16:17], v[18:19] op_sel_hi:[0,1]
	v_pk_mul_f32 v[6:7], v[14:15], v[18:19] op_sel_hi:[0,1]
	v_pk_fma_f32 v[4:5], v[2:3], v[12:13], v[4:5] op_sel_hi:[1,0,1]
	v_pk_fma_f32 v[6:7], v[2:3], v[10:11], v[6:7] op_sel_hi:[1,0,1]
	global_store_dwordx4 v[20:21], v[4:7], off
                                        ; implicit-def: $vgpr12
                                        ; implicit-def: $vgpr16
                                        ; implicit-def: $vgpr10
                                        ; implicit-def: $vgpr14
                                        ; implicit-def: $vgpr6
	s_nop 1
	v_pk_mul_f32 v[4:5], v[8:9], v[18:19] op_sel_hi:[0,1]
	v_pk_fma_f32 v[0:1], v[2:3], v[0:1], v[4:5] op_sel_hi:[1,0,1]
	global_store_dwordx2 v[20:21], v[0:1], off offset:16
                                        ; implicit-def: $vgpr3
                                        ; implicit-def: $vgpr4
                                        ; implicit-def: $vgpr0
                                        ; implicit-def: $vgpr8
.LBB123_34:
	s_andn2_saveexec_b64 s[0:1], s[0:1]
	s_cbranch_execz .LBB123_14
; %bb.35:
	v_lshl_add_u64 v[6:7], v[6:7], 3, s[2:3]
	global_load_dwordx4 v[18:21], v[6:7], off
	global_load_dwordx2 v[22:23], v[6:7], off offset:16
	v_xor_b32_e32 v24, 0x80000000, v3
	v_mov_b32_e32 v25, v2
	v_pk_mul_f32 v[16:17], v[16:17], v[24:25] op_sel_hi:[0,1]
	v_pk_mul_f32 v[14:15], v[14:15], v[24:25] op_sel_hi:[0,1]
	;; [unrolled: 1-line block ×3, first 2 shown]
	v_pk_fma_f32 v[12:13], v[2:3], v[12:13], v[16:17] op_sel_hi:[1,0,1]
	v_pk_fma_f32 v[10:11], v[2:3], v[10:11], v[14:15] op_sel_hi:[1,0,1]
	v_xor_b32_e32 v26, 0x80000000, v5
	v_mov_b32_e32 v27, v4
	v_pk_fma_f32 v[0:1], v[2:3], v[0:1], v[8:9] op_sel_hi:[1,0,1]
	s_waitcnt vmcnt(1)
	v_pk_fma_f32 v[2:3], v[4:5], v[18:19], v[12:13] op_sel_hi:[1,0,1]
	v_pk_fma_f32 v[8:9], v[4:5], v[20:21], v[10:11] op_sel_hi:[1,0,1]
	v_mov_b32_e32 v10, v21
	s_waitcnt vmcnt(0)
	v_pk_fma_f32 v[4:5], v[4:5], v[22:23], v[0:1] op_sel_hi:[1,0,1]
	v_pk_fma_f32 v[0:1], v[26:27], v[18:19], v[2:3] op_sel:[0,1,0]
	v_pk_fma_f32 v[2:3], v[26:27], v[10:11], v[8:9] op_sel_hi:[1,0,1]
	v_pk_fma_f32 v[4:5], v[26:27], v[22:23], v[4:5] op_sel:[0,1,0]
	global_store_dwordx4 v[6:7], v[0:3], off
	global_store_dwordx2 v[6:7], v[4:5], off offset:16
	s_endpgm
	.section	.rodata,"a",@progbits
	.p2align	6, 0x0
	.amdhsa_kernel _ZN9rocsparseL18bsrxmvn_3x3_kernelILj256ELj32E21rocsparse_complex_numIfEiifS2_S2_EEvT3_20rocsparse_direction_NS_24const_host_device_scalarIT1_EES3_PKS3_PKT2_SC_S9_PKT4_PKT5_S7_PT6_21rocsparse_index_base_b
		.amdhsa_group_segment_fixed_size 0
		.amdhsa_private_segment_fixed_size 0
		.amdhsa_kernarg_size 96
		.amdhsa_user_sgpr_count 2
		.amdhsa_user_sgpr_dispatch_ptr 0
		.amdhsa_user_sgpr_queue_ptr 0
		.amdhsa_user_sgpr_kernarg_segment_ptr 1
		.amdhsa_user_sgpr_dispatch_id 0
		.amdhsa_user_sgpr_kernarg_preload_length 0
		.amdhsa_user_sgpr_kernarg_preload_offset 0
		.amdhsa_user_sgpr_private_segment_size 0
		.amdhsa_uses_dynamic_stack 0
		.amdhsa_enable_private_segment 0
		.amdhsa_system_sgpr_workgroup_id_x 1
		.amdhsa_system_sgpr_workgroup_id_y 0
		.amdhsa_system_sgpr_workgroup_id_z 0
		.amdhsa_system_sgpr_workgroup_info 0
		.amdhsa_system_vgpr_workitem_id 0
		.amdhsa_next_free_vgpr 44
		.amdhsa_next_free_sgpr 16
		.amdhsa_accum_offset 44
		.amdhsa_reserve_vcc 1
		.amdhsa_float_round_mode_32 0
		.amdhsa_float_round_mode_16_64 0
		.amdhsa_float_denorm_mode_32 3
		.amdhsa_float_denorm_mode_16_64 3
		.amdhsa_dx10_clamp 1
		.amdhsa_ieee_mode 1
		.amdhsa_fp16_overflow 0
		.amdhsa_tg_split 0
		.amdhsa_exception_fp_ieee_invalid_op 0
		.amdhsa_exception_fp_denorm_src 0
		.amdhsa_exception_fp_ieee_div_zero 0
		.amdhsa_exception_fp_ieee_overflow 0
		.amdhsa_exception_fp_ieee_underflow 0
		.amdhsa_exception_fp_ieee_inexact 0
		.amdhsa_exception_int_div_zero 0
	.end_amdhsa_kernel
	.section	.text._ZN9rocsparseL18bsrxmvn_3x3_kernelILj256ELj32E21rocsparse_complex_numIfEiifS2_S2_EEvT3_20rocsparse_direction_NS_24const_host_device_scalarIT1_EES3_PKS3_PKT2_SC_S9_PKT4_PKT5_S7_PT6_21rocsparse_index_base_b,"axG",@progbits,_ZN9rocsparseL18bsrxmvn_3x3_kernelILj256ELj32E21rocsparse_complex_numIfEiifS2_S2_EEvT3_20rocsparse_direction_NS_24const_host_device_scalarIT1_EES3_PKS3_PKT2_SC_S9_PKT4_PKT5_S7_PT6_21rocsparse_index_base_b,comdat
.Lfunc_end123:
	.size	_ZN9rocsparseL18bsrxmvn_3x3_kernelILj256ELj32E21rocsparse_complex_numIfEiifS2_S2_EEvT3_20rocsparse_direction_NS_24const_host_device_scalarIT1_EES3_PKS3_PKT2_SC_S9_PKT4_PKT5_S7_PT6_21rocsparse_index_base_b, .Lfunc_end123-_ZN9rocsparseL18bsrxmvn_3x3_kernelILj256ELj32E21rocsparse_complex_numIfEiifS2_S2_EEvT3_20rocsparse_direction_NS_24const_host_device_scalarIT1_EES3_PKS3_PKT2_SC_S9_PKT4_PKT5_S7_PT6_21rocsparse_index_base_b
                                        ; -- End function
	.section	.AMDGPU.csdata,"",@progbits
; Kernel info:
; codeLenInByte = 2204
; NumSgprs: 22
; NumVgprs: 44
; NumAgprs: 0
; TotalNumVgprs: 44
; ScratchSize: 0
; MemoryBound: 0
; FloatMode: 240
; IeeeMode: 1
; LDSByteSize: 0 bytes/workgroup (compile time only)
; SGPRBlocks: 2
; VGPRBlocks: 5
; NumSGPRsForWavesPerEU: 22
; NumVGPRsForWavesPerEU: 44
; AccumOffset: 44
; Occupancy: 8
; WaveLimiterHint : 1
; COMPUTE_PGM_RSRC2:SCRATCH_EN: 0
; COMPUTE_PGM_RSRC2:USER_SGPR: 2
; COMPUTE_PGM_RSRC2:TRAP_HANDLER: 0
; COMPUTE_PGM_RSRC2:TGID_X_EN: 1
; COMPUTE_PGM_RSRC2:TGID_Y_EN: 0
; COMPUTE_PGM_RSRC2:TGID_Z_EN: 0
; COMPUTE_PGM_RSRC2:TIDIG_COMP_CNT: 0
; COMPUTE_PGM_RSRC3_GFX90A:ACCUM_OFFSET: 10
; COMPUTE_PGM_RSRC3_GFX90A:TG_SPLIT: 0
	.section	.text._ZN9rocsparseL18bsrxmvn_3x3_kernelILj256ELj64E21rocsparse_complex_numIfEiifS2_S2_EEvT3_20rocsparse_direction_NS_24const_host_device_scalarIT1_EES3_PKS3_PKT2_SC_S9_PKT4_PKT5_S7_PT6_21rocsparse_index_base_b,"axG",@progbits,_ZN9rocsparseL18bsrxmvn_3x3_kernelILj256ELj64E21rocsparse_complex_numIfEiifS2_S2_EEvT3_20rocsparse_direction_NS_24const_host_device_scalarIT1_EES3_PKS3_PKT2_SC_S9_PKT4_PKT5_S7_PT6_21rocsparse_index_base_b,comdat
	.globl	_ZN9rocsparseL18bsrxmvn_3x3_kernelILj256ELj64E21rocsparse_complex_numIfEiifS2_S2_EEvT3_20rocsparse_direction_NS_24const_host_device_scalarIT1_EES3_PKS3_PKT2_SC_S9_PKT4_PKT5_S7_PT6_21rocsparse_index_base_b ; -- Begin function _ZN9rocsparseL18bsrxmvn_3x3_kernelILj256ELj64E21rocsparse_complex_numIfEiifS2_S2_EEvT3_20rocsparse_direction_NS_24const_host_device_scalarIT1_EES3_PKS3_PKT2_SC_S9_PKT4_PKT5_S7_PT6_21rocsparse_index_base_b
	.p2align	8
	.type	_ZN9rocsparseL18bsrxmvn_3x3_kernelILj256ELj64E21rocsparse_complex_numIfEiifS2_S2_EEvT3_20rocsparse_direction_NS_24const_host_device_scalarIT1_EES3_PKS3_PKT2_SC_S9_PKT4_PKT5_S7_PT6_21rocsparse_index_base_b,@function
_ZN9rocsparseL18bsrxmvn_3x3_kernelILj256ELj64E21rocsparse_complex_numIfEiifS2_S2_EEvT3_20rocsparse_direction_NS_24const_host_device_scalarIT1_EES3_PKS3_PKT2_SC_S9_PKT4_PKT5_S7_PT6_21rocsparse_index_base_b: ; @_ZN9rocsparseL18bsrxmvn_3x3_kernelILj256ELj64E21rocsparse_complex_numIfEiifS2_S2_EEvT3_20rocsparse_direction_NS_24const_host_device_scalarIT1_EES3_PKS3_PKT2_SC_S9_PKT4_PKT5_S7_PT6_21rocsparse_index_base_b
; %bb.0:
	s_load_dwordx2 s[12:13], s[0:1], 0x58
	s_load_dwordx2 s[8:9], s[0:1], 0x8
	;; [unrolled: 1-line block ×3, first 2 shown]
	s_waitcnt lgkmcnt(0)
	s_bitcmp1_b32 s13, 0
	s_cselect_b64 s[4:5], -1, 0
	s_xor_b64 s[10:11], s[4:5], -1
	s_and_b64 vcc, exec, s[4:5]
	v_mov_b32_e32 v2, s8
	s_cbranch_vccnz .LBB124_2
; %bb.1:
	v_mov_b64_e32 v[2:3], s[8:9]
	flat_load_dword v2, v[2:3]
.LBB124_2:
	v_cndmask_b32_e64 v1, 0, 1, s[10:11]
	v_cmp_ne_u32_e64 s[4:5], 1, v1
	s_andn2_b64 vcc, exec, s[10:11]
	v_mov_b32_e32 v3, s9
	s_cbranch_vccz .LBB124_15
; %bb.3:
	s_and_b64 vcc, exec, s[4:5]
	v_mov_b32_e32 v4, s6
	s_cbranch_vccz .LBB124_16
.LBB124_4:
	s_and_b64 vcc, exec, s[4:5]
	v_mov_b32_e32 v5, s7
	s_cbranch_vccnz .LBB124_6
.LBB124_5:
	v_mov_b64_e32 v[6:7], s[6:7]
	flat_load_dword v5, v[6:7] offset:4
.LBB124_6:
	s_waitcnt vmcnt(0) lgkmcnt(0)
	v_and_b32_e32 v1, 0x7fffffff, v2
	v_cmp_eq_u32_e32 vcc, 0, v1
	v_cmp_eq_f32_e64 s[4:5], 0, v3
	s_and_b64 s[8:9], vcc, s[4:5]
	s_mov_b64 s[4:5], -1
	s_and_saveexec_b64 s[6:7], s[8:9]
; %bb.7:
	v_and_b32_e32 v1, 0x7fffffff, v5
	v_cmp_neq_f32_e32 vcc, 1.0, v4
	v_cmp_ne_u32_e64 s[4:5], 0, v1
	s_or_b64 s[4:5], vcc, s[4:5]
	s_orn2_b64 s[4:5], s[4:5], exec
; %bb.8:
	s_or_b64 exec, exec, s[6:7]
	s_and_saveexec_b64 s[6:7], s[4:5]
	s_cbranch_execz .LBB124_14
; %bb.9:
	s_load_dwordx2 s[4:5], s[0:1], 0x18
	s_load_dwordx2 s[14:15], s[0:1], 0x0
	v_lshrrev_b32_e32 v1, 6, v0
	v_lshl_or_b32 v6, s2, 2, v1
	s_mov_b64 s[2:3], 0
	s_waitcnt lgkmcnt(0)
	s_cmp_lg_u64 s[4:5], 0
	s_cbranch_scc0 .LBB124_17
; %bb.10:
	s_load_dword s6, s[0:1], 0x10
                                        ; implicit-def: $vgpr1
	s_waitcnt lgkmcnt(0)
	v_cmp_gt_i32_e32 vcc, s6, v6
	s_and_saveexec_b64 s[6:7], vcc
	s_xor_b64 s[6:7], exec, s[6:7]
	s_cbranch_execz .LBB124_12
; %bb.11:
	v_ashrrev_i32_e32 v7, 31, v6
	v_lshl_add_u64 v[8:9], v[6:7], 2, s[4:5]
	global_load_dword v1, v[8:9], off
	s_mov_b64 s[2:3], exec
	s_waitcnt vmcnt(0)
	v_subrev_u32_e32 v1, s12, v1
.LBB124_12:
	s_or_b64 exec, exec, s[6:7]
	s_branch .LBB124_18
.LBB124_13:
	v_cmp_gt_i32_e32 vcc, s14, v6
	s_andn2_b64 s[2:3], s[2:3], exec
	s_and_b64 s[4:5], vcc, exec
	s_or_b64 s[2:3], s[2:3], s[4:5]
	s_and_b64 exec, exec, s[2:3]
	s_cbranch_execnz .LBB124_19
.LBB124_14:
	s_endpgm
.LBB124_15:
	v_mov_b64_e32 v[4:5], s[8:9]
	flat_load_dword v3, v[4:5] offset:4
	s_and_b64 vcc, exec, s[4:5]
	v_mov_b32_e32 v4, s6
	s_cbranch_vccnz .LBB124_4
.LBB124_16:
	v_mov_b64_e32 v[4:5], s[6:7]
	flat_load_dword v4, v[4:5]
	s_and_b64 vcc, exec, s[4:5]
	v_mov_b32_e32 v5, s7
	s_cbranch_vccz .LBB124_5
	s_branch .LBB124_6
.LBB124_17:
                                        ; implicit-def: $vgpr1
	s_cbranch_execnz .LBB124_13
.LBB124_18:
	v_mov_b32_e32 v6, v1
	s_and_b64 exec, exec, s[2:3]
	s_cbranch_execz .LBB124_14
.LBB124_19:
	s_load_dwordx8 s[4:11], s[0:1], 0x20
	v_ashrrev_i32_e32 v7, 31, v6
	v_lshlrev_b64 v[8:9], 2, v[6:7]
	v_and_b32_e32 v7, 63, v0
	s_waitcnt lgkmcnt(0)
	v_lshl_add_u64 v[10:11], s[4:5], 0, v[8:9]
	s_cmp_eq_u64 s[6:7], 0
	global_load_dword v1, v[10:11], off
	v_lshl_add_u64 v[10:11], v[10:11], 0, 4
	v_lshl_add_u64 v[8:9], s[6:7], 0, v[8:9]
	s_cselect_b64 vcc, -1, 0
	v_cndmask_b32_e32 v9, v9, v11, vcc
	v_cndmask_b32_e32 v8, v8, v10, vcc
	global_load_dword v8, v[8:9], off
	s_load_dwordx2 s[4:5], s[0:1], 0x40
	s_cmp_eq_u32 s15, 1
	s_waitcnt vmcnt(1)
	v_subrev_u32_e32 v0, s12, v1
	v_add_u32_e32 v10, v0, v7
	v_mad_i64_i32 v[12:13], s[2:3], v10, 36, s[10:11]
	s_waitcnt vmcnt(0)
	v_subrev_u32_e32 v24, s12, v8
	v_cmp_lt_i32_e64 s[2:3], v10, v24
	s_cbranch_scc1 .LBB124_25
; %bb.20:
	v_mov_b32_e32 v15, 0
	v_mov_b32_e32 v14, v15
	;; [unrolled: 1-line block ×6, first 2 shown]
	s_and_saveexec_b64 s[6:7], s[2:3]
	s_cbranch_execz .LBB124_24
; %bb.21:
	v_mov_b32_e32 v17, 0
	s_mov_b64 s[10:11], 0
	s_mov_b64 s[14:15], 0x900
	v_bfrev_b32_e32 v18, 1
	v_mov_b32_e32 v20, v10
	v_mov_b64_e32 v[22:23], v[12:13]
	v_mov_b32_e32 v0, v17
	v_mov_b32_e32 v1, v17
	;; [unrolled: 1-line block ×6, first 2 shown]
.LBB124_22:                             ; =>This Inner Loop Header: Depth=1
	v_ashrrev_i32_e32 v21, 31, v20
	v_lshl_add_u64 v[34:35], v[20:21], 2, s[8:9]
	global_load_dword v11, v[34:35], off
	global_load_dwordx4 v[26:29], v[22:23], off offset:16
	global_load_dwordx4 v[30:33], v[22:23], off
	v_mov_b32_e32 v43, v17
	v_add_u32_e32 v20, 64, v20
	v_cmp_ge_i32_e32 vcc, v20, v24
	s_or_b64 s[10:11], vcc, s[10:11]
	s_waitcnt vmcnt(2)
	v_subrev_u32_e32 v11, s12, v11
	v_lshl_add_u32 v34, v11, 1, v11
	v_ashrrev_i32_e32 v35, 31, v34
	s_waitcnt lgkmcnt(0)
	v_lshl_add_u64 v[38:39], v[34:35], 3, s[4:5]
	global_load_dwordx4 v[34:37], v[38:39], off
	global_load_dwordx2 v[40:41], v[38:39], off offset:16
	global_load_dword v42, v[22:23], off offset:32
	s_waitcnt vmcnt(3)
	v_mov_b32_e32 v16, v30
	v_mov_b32_e32 v19, v30
	v_lshl_add_u64 v[22:23], v[22:23], 0, s[14:15]
	s_waitcnt vmcnt(2)
	v_pk_fma_f32 v[14:15], v[34:35], v[16:17], v[14:15] op_sel_hi:[0,1,1]
	v_mov_b32_e32 v16, v31
	v_pk_fma_f32 v[14:15], v[34:35], v[18:19], v[14:15] op_sel:[1,0,0]
	v_mov_b32_e32 v30, v37
	v_mov_b32_e32 v19, v31
	v_pk_fma_f32 v[14:15], v[36:37], v[16:17], v[14:15] op_sel_hi:[0,1,1]
	v_mov_b32_e32 v16, v32
	v_pk_fma_f32 v[14:15], v[30:31], v[18:19], v[14:15] op_sel_hi:[0,1,1]
	v_mov_b32_e32 v19, v32
	s_waitcnt vmcnt(1)
	v_pk_fma_f32 v[14:15], v[40:41], v[16:17], v[14:15] op_sel_hi:[0,1,1]
	v_mov_b32_e32 v16, v33
	v_pk_fma_f32 v[14:15], v[40:41], v[18:19], v[14:15] op_sel:[1,0,0]
	v_pk_fma_f32 v[8:9], v[34:35], v[16:17], v[8:9] op_sel_hi:[0,1,1]
	v_mov_b32_e32 v19, v33
	v_mov_b32_e32 v16, v26
	v_pk_fma_f32 v[8:9], v[34:35], v[18:19], v[8:9] op_sel:[1,0,0]
	v_mov_b32_e32 v19, v26
	v_pk_fma_f32 v[8:9], v[36:37], v[16:17], v[8:9] op_sel_hi:[0,1,1]
	v_mov_b32_e32 v16, v27
	v_pk_fma_f32 v[8:9], v[30:31], v[18:19], v[8:9] op_sel_hi:[0,1,1]
	;; [unrolled: 2-line block ×3, first 2 shown]
	v_mov_b32_e32 v16, v28
	v_pk_fma_f32 v[8:9], v[40:41], v[18:19], v[8:9] op_sel:[1,0,0]
	v_pk_fma_f32 v[0:1], v[34:35], v[16:17], v[0:1] op_sel_hi:[0,1,1]
	v_mov_b32_e32 v19, v28
	v_mov_b32_e32 v16, v29
	v_pk_fma_f32 v[0:1], v[34:35], v[18:19], v[0:1] op_sel:[1,0,0]
	v_mov_b32_e32 v19, v29
	v_pk_fma_f32 v[0:1], v[36:37], v[16:17], v[0:1] op_sel_hi:[0,1,1]
	v_pk_fma_f32 v[0:1], v[30:31], v[18:19], v[0:1] op_sel_hi:[0,1,1]
	s_waitcnt vmcnt(0)
	v_mov_b32_e32 v19, v42
	v_pk_fma_f32 v[0:1], v[40:41], v[42:43], v[0:1] op_sel_hi:[0,1,1]
	v_pk_fma_f32 v[0:1], v[40:41], v[18:19], v[0:1] op_sel:[1,0,0]
	s_andn2_b64 exec, exec, s[10:11]
	s_cbranch_execnz .LBB124_22
; %bb.23:
	s_or_b64 exec, exec, s[10:11]
.LBB124_24:
	s_or_b64 exec, exec, s[6:7]
	s_cbranch_execz .LBB124_26
	s_branch .LBB124_31
.LBB124_25:
                                        ; implicit-def: $vgpr15
                                        ; implicit-def: $vgpr9
                                        ; implicit-def: $vgpr1
.LBB124_26:
	v_mov_b32_e32 v15, 0
	v_mov_b32_e32 v14, v15
	;; [unrolled: 1-line block ×6, first 2 shown]
	s_and_saveexec_b64 s[6:7], s[2:3]
	s_cbranch_execz .LBB124_30
; %bb.27:
	v_mov_b32_e32 v17, 0
	s_mov_b64 s[2:3], 0
	s_mov_b64 s[10:11], 0x900
	v_bfrev_b32_e32 v18, 1
	v_mov_b32_e32 v0, v17
	v_mov_b32_e32 v1, v17
	;; [unrolled: 1-line block ×6, first 2 shown]
.LBB124_28:                             ; =>This Inner Loop Header: Depth=1
	v_ashrrev_i32_e32 v11, 31, v10
	v_lshl_add_u64 v[30:31], v[10:11], 2, s[8:9]
	global_load_dword v11, v[30:31], off
	global_load_dwordx4 v[20:23], v[12:13], off offset:16
	global_load_dwordx4 v[26:29], v[12:13], off
	v_mov_b32_e32 v39, v17
	v_add_u32_e32 v10, 64, v10
	v_cmp_ge_i32_e32 vcc, v10, v24
	s_or_b64 s[2:3], vcc, s[2:3]
	s_waitcnt vmcnt(2)
	v_subrev_u32_e32 v11, s12, v11
	v_lshl_add_u32 v30, v11, 1, v11
	v_ashrrev_i32_e32 v31, 31, v30
	s_waitcnt lgkmcnt(0)
	v_lshl_add_u64 v[34:35], v[30:31], 3, s[4:5]
	global_load_dwordx4 v[30:33], v[34:35], off
	global_load_dwordx2 v[36:37], v[34:35], off offset:16
	global_load_dword v38, v[12:13], off offset:32
	s_waitcnt vmcnt(3)
	v_mov_b32_e32 v16, v26
	v_mov_b32_e32 v19, v26
	v_lshl_add_u64 v[12:13], v[12:13], 0, s[10:11]
	s_waitcnt vmcnt(2)
	v_pk_fma_f32 v[14:15], v[30:31], v[16:17], v[14:15] op_sel_hi:[0,1,1]
	v_mov_b32_e32 v16, v29
	v_pk_fma_f32 v[14:15], v[30:31], v[18:19], v[14:15] op_sel:[1,0,0]
	v_mov_b32_e32 v26, v33
	v_mov_b32_e32 v19, v29
	v_pk_fma_f32 v[14:15], v[32:33], v[16:17], v[14:15] op_sel_hi:[0,1,1]
	v_mov_b32_e32 v16, v22
	v_pk_fma_f32 v[14:15], v[26:27], v[18:19], v[14:15] op_sel_hi:[0,1,1]
	v_mov_b32_e32 v19, v22
	s_waitcnt vmcnt(1)
	v_pk_fma_f32 v[14:15], v[36:37], v[16:17], v[14:15] op_sel_hi:[0,1,1]
	v_mov_b32_e32 v16, v27
	v_pk_fma_f32 v[14:15], v[36:37], v[18:19], v[14:15] op_sel:[1,0,0]
	v_pk_fma_f32 v[8:9], v[30:31], v[16:17], v[8:9] op_sel_hi:[0,1,1]
	v_mov_b32_e32 v19, v27
	v_mov_b32_e32 v16, v20
	v_pk_fma_f32 v[8:9], v[30:31], v[18:19], v[8:9] op_sel:[1,0,0]
	v_mov_b32_e32 v19, v20
	v_pk_fma_f32 v[8:9], v[32:33], v[16:17], v[8:9] op_sel_hi:[0,1,1]
	v_mov_b32_e32 v16, v23
	v_pk_fma_f32 v[8:9], v[26:27], v[18:19], v[8:9] op_sel_hi:[0,1,1]
	v_mov_b32_e32 v29, v17
	v_mov_b32_e32 v19, v23
	v_pk_fma_f32 v[8:9], v[36:37], v[16:17], v[8:9] op_sel_hi:[0,1,1]
	v_pk_fma_f32 v[0:1], v[30:31], v[28:29], v[0:1] op_sel_hi:[0,1,1]
	v_pk_fma_f32 v[8:9], v[36:37], v[18:19], v[8:9] op_sel:[1,0,0]
	v_mov_b32_e32 v19, v28
	v_mov_b32_e32 v16, v21
	v_pk_fma_f32 v[0:1], v[30:31], v[18:19], v[0:1] op_sel:[1,0,0]
	v_mov_b32_e32 v19, v21
	v_pk_fma_f32 v[0:1], v[32:33], v[16:17], v[0:1] op_sel_hi:[0,1,1]
	v_pk_fma_f32 v[0:1], v[26:27], v[18:19], v[0:1] op_sel_hi:[0,1,1]
	s_waitcnt vmcnt(0)
	v_mov_b32_e32 v19, v38
	v_pk_fma_f32 v[0:1], v[36:37], v[38:39], v[0:1] op_sel_hi:[0,1,1]
	v_pk_fma_f32 v[0:1], v[36:37], v[18:19], v[0:1] op_sel:[1,0,0]
	s_andn2_b64 exec, exec, s[2:3]
	s_cbranch_execnz .LBB124_28
; %bb.29:
	s_or_b64 exec, exec, s[2:3]
.LBB124_30:
	s_or_b64 exec, exec, s[6:7]
.LBB124_31:
	v_mov_b32_dpp v12, v15 row_shr:1 row_mask:0xf bank_mask:0xf
	v_add_f32_e32 v12, v15, v12
	v_mov_b32_dpp v10, v14 row_shr:1 row_mask:0xf bank_mask:0xf
	v_add_f32_e32 v10, v14, v10
	;; [unrolled: 2-line block ×8, first 2 shown]
	v_mov_b32_dpp v13, v12 row_bcast:15 row_mask:0xa bank_mask:0xf
	v_add_f32_e32 v13, v12, v13
	v_mov_b32_dpp v12, v8 row_shr:1 row_mask:0xf bank_mask:0xf
	v_add_f32_e32 v8, v8, v12
	v_mov_b32_dpp v11, v10 row_bcast:15 row_mask:0xa bank_mask:0xf
	v_add_f32_e32 v10, v10, v11
	v_mov_b32_dpp v12, v8 row_shr:2 row_mask:0xf bank_mask:0xf
	v_add_f32_e32 v8, v8, v12
	v_mov_b32_dpp v11, v10 row_bcast:31 row_mask:0xc bank_mask:0xf
	v_mov_b32_dpp v14, v13 row_bcast:31 row_mask:0xc bank_mask:0xf
	v_mov_b32_dpp v12, v8 row_shr:4 row_mask:0xf bank_mask:0xe
	v_add_f32_e32 v8, v8, v12
	v_cmp_eq_u32_e32 vcc, 63, v7
	s_nop 0
	v_mov_b32_dpp v12, v8 row_shr:8 row_mask:0xf bank_mask:0xc
	v_add_f32_e32 v8, v8, v12
	s_nop 1
	v_mov_b32_dpp v12, v8 row_bcast:15 row_mask:0xa bank_mask:0xf
	v_add_f32_e32 v8, v8, v12
	s_nop 0
	v_mov_b32_dpp v12, v9 row_shr:1 row_mask:0xf bank_mask:0xf
	v_add_f32_e32 v9, v9, v12
	v_mov_b32_dpp v15, v8 row_bcast:31 row_mask:0xc bank_mask:0xf
	s_nop 0
	v_mov_b32_dpp v12, v9 row_shr:2 row_mask:0xf bank_mask:0xf
	v_add_f32_e32 v9, v9, v12
	s_nop 1
	v_mov_b32_dpp v12, v9 row_shr:4 row_mask:0xf bank_mask:0xe
	v_add_f32_e32 v9, v9, v12
	s_nop 1
	v_mov_b32_dpp v12, v9 row_shr:8 row_mask:0xf bank_mask:0xc
	v_add_f32_e32 v9, v9, v12
	s_nop 1
	v_mov_b32_dpp v12, v9 row_bcast:15 row_mask:0xa bank_mask:0xf
	v_add_f32_e32 v9, v9, v12
	s_nop 0
	v_mov_b32_dpp v12, v0 row_shr:1 row_mask:0xf bank_mask:0xf
	v_add_f32_e32 v0, v0, v12
	v_mov_b32_dpp v17, v9 row_bcast:31 row_mask:0xc bank_mask:0xf
	s_nop 0
	v_mov_b32_dpp v12, v0 row_shr:2 row_mask:0xf bank_mask:0xf
	v_add_f32_e32 v0, v0, v12
	s_nop 1
	v_mov_b32_dpp v12, v0 row_shr:4 row_mask:0xf bank_mask:0xe
	v_add_f32_e32 v0, v0, v12
	;; [unrolled: 16-line block ×3, first 2 shown]
	s_nop 1
	v_mov_b32_dpp v12, v1 row_shr:8 row_mask:0xf bank_mask:0xc
	v_add_f32_e32 v1, v1, v12
	s_nop 1
	v_mov_b32_dpp v12, v1 row_bcast:15 row_mask:0xa bank_mask:0xf
	v_add_f32_e32 v1, v1, v12
	s_nop 1
	v_mov_b32_dpp v19, v1 row_bcast:31 row_mask:0xc bank_mask:0xf
	s_and_b64 exec, exec, vcc
	s_cbranch_execz .LBB124_14
; %bb.32:
	s_load_dwordx2 s[2:3], s[0:1], 0x50
	v_add_f32_e32 v12, v10, v11
	v_add_f32_e32 v10, v8, v15
	;; [unrolled: 1-line block ×3, first 2 shown]
	v_and_b32_e32 v1, 0x7fffffff, v4
	v_cmp_eq_u32_e32 vcc, 0, v1
	v_cmp_eq_f32_e64 s[0:1], 0, v5
	v_lshl_add_u32 v6, v6, 1, v6
	v_add_f32_e32 v16, v13, v14
	v_add_f32_e32 v14, v9, v17
	v_add_f32_e32 v0, v0, v18
	s_and_b64 s[0:1], vcc, s[0:1]
	v_ashrrev_i32_e32 v7, 31, v6
	s_waitcnt lgkmcnt(0)
	s_and_saveexec_b64 s[4:5], s[0:1]
	s_xor_b64 s[0:1], exec, s[4:5]
	s_cbranch_execz .LBB124_34
; %bb.33:
	v_xor_b32_e32 v18, 0x80000000, v3
	v_mov_b32_e32 v19, v2
	v_lshl_add_u64 v[20:21], v[6:7], 3, s[2:3]
	v_pk_mul_f32 v[4:5], v[16:17], v[18:19] op_sel_hi:[0,1]
	v_pk_mul_f32 v[6:7], v[14:15], v[18:19] op_sel_hi:[0,1]
	v_pk_fma_f32 v[4:5], v[2:3], v[12:13], v[4:5] op_sel_hi:[1,0,1]
	v_pk_fma_f32 v[6:7], v[2:3], v[10:11], v[6:7] op_sel_hi:[1,0,1]
	global_store_dwordx4 v[20:21], v[4:7], off
                                        ; implicit-def: $vgpr12
                                        ; implicit-def: $vgpr16
                                        ; implicit-def: $vgpr10
                                        ; implicit-def: $vgpr14
                                        ; implicit-def: $vgpr6
	s_nop 1
	v_pk_mul_f32 v[4:5], v[8:9], v[18:19] op_sel_hi:[0,1]
	v_pk_fma_f32 v[0:1], v[2:3], v[0:1], v[4:5] op_sel_hi:[1,0,1]
	global_store_dwordx2 v[20:21], v[0:1], off offset:16
                                        ; implicit-def: $vgpr3
                                        ; implicit-def: $vgpr4
                                        ; implicit-def: $vgpr0
                                        ; implicit-def: $vgpr8
.LBB124_34:
	s_andn2_saveexec_b64 s[0:1], s[0:1]
	s_cbranch_execz .LBB124_14
; %bb.35:
	v_lshl_add_u64 v[6:7], v[6:7], 3, s[2:3]
	global_load_dwordx4 v[18:21], v[6:7], off
	global_load_dwordx2 v[22:23], v[6:7], off offset:16
	v_xor_b32_e32 v24, 0x80000000, v3
	v_mov_b32_e32 v25, v2
	v_pk_mul_f32 v[16:17], v[16:17], v[24:25] op_sel_hi:[0,1]
	v_pk_mul_f32 v[14:15], v[14:15], v[24:25] op_sel_hi:[0,1]
	;; [unrolled: 1-line block ×3, first 2 shown]
	v_pk_fma_f32 v[12:13], v[2:3], v[12:13], v[16:17] op_sel_hi:[1,0,1]
	v_pk_fma_f32 v[10:11], v[2:3], v[10:11], v[14:15] op_sel_hi:[1,0,1]
	v_xor_b32_e32 v26, 0x80000000, v5
	v_mov_b32_e32 v27, v4
	v_pk_fma_f32 v[0:1], v[2:3], v[0:1], v[8:9] op_sel_hi:[1,0,1]
	s_waitcnt vmcnt(1)
	v_pk_fma_f32 v[2:3], v[4:5], v[18:19], v[12:13] op_sel_hi:[1,0,1]
	v_pk_fma_f32 v[8:9], v[4:5], v[20:21], v[10:11] op_sel_hi:[1,0,1]
	v_mov_b32_e32 v10, v21
	s_waitcnt vmcnt(0)
	v_pk_fma_f32 v[4:5], v[4:5], v[22:23], v[0:1] op_sel_hi:[1,0,1]
	v_pk_fma_f32 v[0:1], v[26:27], v[18:19], v[2:3] op_sel:[0,1,0]
	v_pk_fma_f32 v[2:3], v[26:27], v[10:11], v[8:9] op_sel_hi:[1,0,1]
	v_pk_fma_f32 v[4:5], v[26:27], v[22:23], v[4:5] op_sel:[0,1,0]
	global_store_dwordx4 v[6:7], v[0:3], off
	global_store_dwordx2 v[6:7], v[4:5], off offset:16
	s_endpgm
	.section	.rodata,"a",@progbits
	.p2align	6, 0x0
	.amdhsa_kernel _ZN9rocsparseL18bsrxmvn_3x3_kernelILj256ELj64E21rocsparse_complex_numIfEiifS2_S2_EEvT3_20rocsparse_direction_NS_24const_host_device_scalarIT1_EES3_PKS3_PKT2_SC_S9_PKT4_PKT5_S7_PT6_21rocsparse_index_base_b
		.amdhsa_group_segment_fixed_size 0
		.amdhsa_private_segment_fixed_size 0
		.amdhsa_kernarg_size 96
		.amdhsa_user_sgpr_count 2
		.amdhsa_user_sgpr_dispatch_ptr 0
		.amdhsa_user_sgpr_queue_ptr 0
		.amdhsa_user_sgpr_kernarg_segment_ptr 1
		.amdhsa_user_sgpr_dispatch_id 0
		.amdhsa_user_sgpr_kernarg_preload_length 0
		.amdhsa_user_sgpr_kernarg_preload_offset 0
		.amdhsa_user_sgpr_private_segment_size 0
		.amdhsa_uses_dynamic_stack 0
		.amdhsa_enable_private_segment 0
		.amdhsa_system_sgpr_workgroup_id_x 1
		.amdhsa_system_sgpr_workgroup_id_y 0
		.amdhsa_system_sgpr_workgroup_id_z 0
		.amdhsa_system_sgpr_workgroup_info 0
		.amdhsa_system_vgpr_workitem_id 0
		.amdhsa_next_free_vgpr 44
		.amdhsa_next_free_sgpr 16
		.amdhsa_accum_offset 44
		.amdhsa_reserve_vcc 1
		.amdhsa_float_round_mode_32 0
		.amdhsa_float_round_mode_16_64 0
		.amdhsa_float_denorm_mode_32 3
		.amdhsa_float_denorm_mode_16_64 3
		.amdhsa_dx10_clamp 1
		.amdhsa_ieee_mode 1
		.amdhsa_fp16_overflow 0
		.amdhsa_tg_split 0
		.amdhsa_exception_fp_ieee_invalid_op 0
		.amdhsa_exception_fp_denorm_src 0
		.amdhsa_exception_fp_ieee_div_zero 0
		.amdhsa_exception_fp_ieee_overflow 0
		.amdhsa_exception_fp_ieee_underflow 0
		.amdhsa_exception_fp_ieee_inexact 0
		.amdhsa_exception_int_div_zero 0
	.end_amdhsa_kernel
	.section	.text._ZN9rocsparseL18bsrxmvn_3x3_kernelILj256ELj64E21rocsparse_complex_numIfEiifS2_S2_EEvT3_20rocsparse_direction_NS_24const_host_device_scalarIT1_EES3_PKS3_PKT2_SC_S9_PKT4_PKT5_S7_PT6_21rocsparse_index_base_b,"axG",@progbits,_ZN9rocsparseL18bsrxmvn_3x3_kernelILj256ELj64E21rocsparse_complex_numIfEiifS2_S2_EEvT3_20rocsparse_direction_NS_24const_host_device_scalarIT1_EES3_PKS3_PKT2_SC_S9_PKT4_PKT5_S7_PT6_21rocsparse_index_base_b,comdat
.Lfunc_end124:
	.size	_ZN9rocsparseL18bsrxmvn_3x3_kernelILj256ELj64E21rocsparse_complex_numIfEiifS2_S2_EEvT3_20rocsparse_direction_NS_24const_host_device_scalarIT1_EES3_PKS3_PKT2_SC_S9_PKT4_PKT5_S7_PT6_21rocsparse_index_base_b, .Lfunc_end124-_ZN9rocsparseL18bsrxmvn_3x3_kernelILj256ELj64E21rocsparse_complex_numIfEiifS2_S2_EEvT3_20rocsparse_direction_NS_24const_host_device_scalarIT1_EES3_PKS3_PKT2_SC_S9_PKT4_PKT5_S7_PT6_21rocsparse_index_base_b
                                        ; -- End function
	.section	.AMDGPU.csdata,"",@progbits
; Kernel info:
; codeLenInByte = 2292
; NumSgprs: 22
; NumVgprs: 44
; NumAgprs: 0
; TotalNumVgprs: 44
; ScratchSize: 0
; MemoryBound: 0
; FloatMode: 240
; IeeeMode: 1
; LDSByteSize: 0 bytes/workgroup (compile time only)
; SGPRBlocks: 2
; VGPRBlocks: 5
; NumSGPRsForWavesPerEU: 22
; NumVGPRsForWavesPerEU: 44
; AccumOffset: 44
; Occupancy: 8
; WaveLimiterHint : 1
; COMPUTE_PGM_RSRC2:SCRATCH_EN: 0
; COMPUTE_PGM_RSRC2:USER_SGPR: 2
; COMPUTE_PGM_RSRC2:TRAP_HANDLER: 0
; COMPUTE_PGM_RSRC2:TGID_X_EN: 1
; COMPUTE_PGM_RSRC2:TGID_Y_EN: 0
; COMPUTE_PGM_RSRC2:TGID_Z_EN: 0
; COMPUTE_PGM_RSRC2:TIDIG_COMP_CNT: 0
; COMPUTE_PGM_RSRC3_GFX90A:ACCUM_OFFSET: 10
; COMPUTE_PGM_RSRC3_GFX90A:TG_SPLIT: 0
	.section	.text._ZN9rocsparseL18bsrxmvn_3x3_kernelILj256ELj4E21rocsparse_complex_numIfElifS2_S2_EEvT3_20rocsparse_direction_NS_24const_host_device_scalarIT1_EES3_PKS3_PKT2_SC_S9_PKT4_PKT5_S7_PT6_21rocsparse_index_base_b,"axG",@progbits,_ZN9rocsparseL18bsrxmvn_3x3_kernelILj256ELj4E21rocsparse_complex_numIfElifS2_S2_EEvT3_20rocsparse_direction_NS_24const_host_device_scalarIT1_EES3_PKS3_PKT2_SC_S9_PKT4_PKT5_S7_PT6_21rocsparse_index_base_b,comdat
	.globl	_ZN9rocsparseL18bsrxmvn_3x3_kernelILj256ELj4E21rocsparse_complex_numIfElifS2_S2_EEvT3_20rocsparse_direction_NS_24const_host_device_scalarIT1_EES3_PKS3_PKT2_SC_S9_PKT4_PKT5_S7_PT6_21rocsparse_index_base_b ; -- Begin function _ZN9rocsparseL18bsrxmvn_3x3_kernelILj256ELj4E21rocsparse_complex_numIfElifS2_S2_EEvT3_20rocsparse_direction_NS_24const_host_device_scalarIT1_EES3_PKS3_PKT2_SC_S9_PKT4_PKT5_S7_PT6_21rocsparse_index_base_b
	.p2align	8
	.type	_ZN9rocsparseL18bsrxmvn_3x3_kernelILj256ELj4E21rocsparse_complex_numIfElifS2_S2_EEvT3_20rocsparse_direction_NS_24const_host_device_scalarIT1_EES3_PKS3_PKT2_SC_S9_PKT4_PKT5_S7_PT6_21rocsparse_index_base_b,@function
_ZN9rocsparseL18bsrxmvn_3x3_kernelILj256ELj4E21rocsparse_complex_numIfElifS2_S2_EEvT3_20rocsparse_direction_NS_24const_host_device_scalarIT1_EES3_PKS3_PKT2_SC_S9_PKT4_PKT5_S7_PT6_21rocsparse_index_base_b: ; @_ZN9rocsparseL18bsrxmvn_3x3_kernelILj256ELj4E21rocsparse_complex_numIfElifS2_S2_EEvT3_20rocsparse_direction_NS_24const_host_device_scalarIT1_EES3_PKS3_PKT2_SC_S9_PKT4_PKT5_S7_PT6_21rocsparse_index_base_b
; %bb.0:
	s_load_dwordx2 s[12:13], s[0:1], 0x58
	s_load_dwordx2 s[8:9], s[0:1], 0x8
	;; [unrolled: 1-line block ×3, first 2 shown]
	s_waitcnt lgkmcnt(0)
	s_bitcmp1_b32 s13, 0
	s_cselect_b64 s[4:5], -1, 0
	s_xor_b64 s[10:11], s[4:5], -1
	s_and_b64 vcc, exec, s[4:5]
	v_mov_b32_e32 v2, s8
	s_cbranch_vccnz .LBB125_2
; %bb.1:
	v_mov_b64_e32 v[2:3], s[8:9]
	flat_load_dword v2, v[2:3]
.LBB125_2:
	v_cndmask_b32_e64 v1, 0, 1, s[10:11]
	v_cmp_ne_u32_e64 s[4:5], 1, v1
	s_andn2_b64 vcc, exec, s[10:11]
	v_mov_b32_e32 v3, s9
	s_cbranch_vccz .LBB125_15
; %bb.3:
	s_and_b64 vcc, exec, s[4:5]
	v_mov_b32_e32 v4, s6
	s_cbranch_vccz .LBB125_16
.LBB125_4:
	s_and_b64 vcc, exec, s[4:5]
	v_mov_b32_e32 v5, s7
	s_cbranch_vccnz .LBB125_6
.LBB125_5:
	v_mov_b64_e32 v[6:7], s[6:7]
	flat_load_dword v5, v[6:7] offset:4
.LBB125_6:
	s_waitcnt vmcnt(0) lgkmcnt(0)
	v_and_b32_e32 v1, 0x7fffffff, v2
	v_cmp_eq_u32_e32 vcc, 0, v1
	v_cmp_eq_f32_e64 s[4:5], 0, v3
	s_and_b64 s[8:9], vcc, s[4:5]
	s_mov_b64 s[4:5], -1
	s_and_saveexec_b64 s[6:7], s[8:9]
; %bb.7:
	v_and_b32_e32 v1, 0x7fffffff, v5
	v_cmp_neq_f32_e32 vcc, 1.0, v4
	v_cmp_ne_u32_e64 s[4:5], 0, v1
	s_or_b64 s[4:5], vcc, s[4:5]
	s_orn2_b64 s[4:5], s[4:5], exec
; %bb.8:
	s_or_b64 exec, exec, s[6:7]
	s_and_saveexec_b64 s[6:7], s[4:5]
	s_cbranch_execz .LBB125_14
; %bb.9:
	s_load_dwordx2 s[4:5], s[0:1], 0x18
	s_load_dwordx2 s[14:15], s[0:1], 0x0
	v_lshrrev_b32_e32 v1, 2, v0
	v_lshl_or_b32 v6, s2, 6, v1
	s_mov_b64 s[2:3], 0
	s_waitcnt lgkmcnt(0)
	s_cmp_lg_u64 s[4:5], 0
	s_cbranch_scc0 .LBB125_17
; %bb.10:
	s_load_dword s6, s[0:1], 0x10
                                        ; implicit-def: $vgpr1
	s_waitcnt lgkmcnt(0)
	v_cmp_gt_i32_e32 vcc, s6, v6
	s_and_saveexec_b64 s[6:7], vcc
	s_xor_b64 s[6:7], exec, s[6:7]
	s_cbranch_execz .LBB125_12
; %bb.11:
	v_ashrrev_i32_e32 v7, 31, v6
	v_lshl_add_u64 v[8:9], v[6:7], 2, s[4:5]
	global_load_dword v1, v[8:9], off
	s_mov_b64 s[2:3], exec
	s_waitcnt vmcnt(0)
	v_subrev_u32_e32 v1, s12, v1
.LBB125_12:
	s_or_b64 exec, exec, s[6:7]
	s_branch .LBB125_18
.LBB125_13:
	v_cmp_gt_i32_e32 vcc, s14, v6
	s_andn2_b64 s[2:3], s[2:3], exec
	s_and_b64 s[4:5], vcc, exec
	s_or_b64 s[2:3], s[2:3], s[4:5]
	s_and_b64 exec, exec, s[2:3]
	s_cbranch_execnz .LBB125_19
.LBB125_14:
	s_endpgm
.LBB125_15:
	v_mov_b64_e32 v[4:5], s[8:9]
	flat_load_dword v3, v[4:5] offset:4
	s_and_b64 vcc, exec, s[4:5]
	v_mov_b32_e32 v4, s6
	s_cbranch_vccnz .LBB125_4
.LBB125_16:
	v_mov_b64_e32 v[4:5], s[6:7]
	flat_load_dword v4, v[4:5]
	s_and_b64 vcc, exec, s[4:5]
	v_mov_b32_e32 v5, s7
	s_cbranch_vccz .LBB125_5
	s_branch .LBB125_6
.LBB125_17:
                                        ; implicit-def: $vgpr1
	s_cbranch_execnz .LBB125_13
.LBB125_18:
	v_mov_b32_e32 v6, v1
	s_and_b64 exec, exec, s[2:3]
	s_cbranch_execz .LBB125_14
.LBB125_19:
	s_load_dwordx8 s[4:11], s[0:1], 0x20
	v_ashrrev_i32_e32 v7, 31, v6
	v_lshlrev_b64 v[8:9], 3, v[6:7]
	v_mov_b32_e32 v15, 0
	v_and_b32_e32 v0, 3, v0
	s_waitcnt lgkmcnt(0)
	v_lshl_add_u64 v[10:11], s[4:5], 0, v[8:9]
	global_load_dwordx2 v[12:13], v[10:11], off
	s_cmp_eq_u64 s[6:7], 0
	v_lshl_add_u64 v[8:9], s[6:7], 0, v[8:9]
	v_lshl_add_u64 v[10:11], v[10:11], 0, 8
	s_cselect_b64 vcc, -1, 0
	v_cndmask_b32_e32 v9, v9, v11, vcc
	v_cndmask_b32_e32 v8, v8, v10, vcc
	global_load_dwordx2 v[10:11], v[8:9], off
	v_mov_b32_e32 v1, v15
	s_load_dwordx2 s[4:5], s[0:1], 0x40
	s_cmp_eq_u32 s15, 1
	s_waitcnt vmcnt(1)
	v_subrev_co_u32_e32 v8, vcc, s12, v12
	s_nop 1
	v_subbrev_co_u32_e32 v9, vcc, 0, v13, vcc
	v_lshl_add_u64 v[8:9], v[8:9], 0, v[0:1]
	v_mad_u64_u32 v[12:13], s[2:3], v8, 36, s[10:11]
	s_waitcnt vmcnt(0)
	v_subrev_co_u32_e32 v10, vcc, s12, v10
	v_mov_b32_e32 v14, v13
	s_nop 0
	v_subbrev_co_u32_e32 v11, vcc, 0, v11, vcc
	v_mad_u64_u32 v[16:17], s[2:3], v9, 36, v[14:15]
	v_mov_b32_e32 v13, v16
	v_cmp_lt_i64_e64 s[2:3], v[8:9], v[10:11]
	s_cbranch_scc1 .LBB125_25
; %bb.20:
	v_mov_b32_e32 v14, 0
	v_mov_b32_e32 v17, 0
	;; [unrolled: 1-line block ×5, first 2 shown]
	s_and_saveexec_b64 s[6:7], s[2:3]
	s_cbranch_execz .LBB125_24
; %bb.21:
	v_mov_b32_e32 v23, 0
	v_lshl_add_u64 v[20:21], v[8:9], 2, s[8:9]
	s_mov_b64 s[10:11], 0
	s_mov_b64 s[14:15], 0x90
	v_bfrev_b32_e32 v24, 1
	v_mov_b64_e32 v[26:27], v[8:9]
	v_mov_b64_e32 v[28:29], v[12:13]
	v_mov_b32_e32 v18, v23
	v_mov_b32_e32 v19, v23
	;; [unrolled: 1-line block ×6, first 2 shown]
.LBB125_22:                             ; =>This Inner Loop Header: Depth=1
	global_load_dword v1, v[20:21], off
	global_load_dwordx4 v[30:33], v[28:29], off offset:16
	global_load_dwordx4 v[34:37], v[28:29], off
	v_mov_b32_e32 v47, v23
	v_lshl_add_u64 v[26:27], v[26:27], 0, 4
	v_cmp_ge_i64_e32 vcc, v[26:27], v[10:11]
	v_lshl_add_u64 v[20:21], v[20:21], 0, 16
	s_or_b64 s[10:11], vcc, s[10:11]
	s_waitcnt vmcnt(2)
	v_subrev_u32_e32 v1, s12, v1
	v_lshl_add_u32 v38, v1, 1, v1
	v_ashrrev_i32_e32 v39, 31, v38
	s_waitcnt lgkmcnt(0)
	v_lshl_add_u64 v[42:43], v[38:39], 3, s[4:5]
	global_load_dwordx4 v[38:41], v[42:43], off
	global_load_dwordx2 v[44:45], v[42:43], off offset:16
	global_load_dword v46, v[28:29], off offset:32
	s_waitcnt vmcnt(3)
	v_mov_b32_e32 v22, v34
	v_mov_b32_e32 v25, v34
	v_lshl_add_u64 v[28:29], v[28:29], 0, s[14:15]
	s_waitcnt vmcnt(2)
	v_pk_fma_f32 v[14:15], v[38:39], v[22:23], v[14:15] op_sel_hi:[0,1,1]
	v_mov_b32_e32 v22, v35
	v_pk_fma_f32 v[14:15], v[38:39], v[24:25], v[14:15] op_sel:[1,0,0]
	v_mov_b32_e32 v34, v41
	v_mov_b32_e32 v25, v35
	v_pk_fma_f32 v[14:15], v[40:41], v[22:23], v[14:15] op_sel_hi:[0,1,1]
	v_mov_b32_e32 v22, v36
	v_pk_fma_f32 v[14:15], v[34:35], v[24:25], v[14:15] op_sel_hi:[0,1,1]
	v_mov_b32_e32 v25, v36
	s_waitcnt vmcnt(1)
	v_pk_fma_f32 v[14:15], v[44:45], v[22:23], v[14:15] op_sel_hi:[0,1,1]
	v_mov_b32_e32 v22, v37
	v_pk_fma_f32 v[14:15], v[44:45], v[24:25], v[14:15] op_sel:[1,0,0]
	v_pk_fma_f32 v[16:17], v[38:39], v[22:23], v[16:17] op_sel_hi:[0,1,1]
	v_mov_b32_e32 v25, v37
	v_mov_b32_e32 v22, v30
	v_pk_fma_f32 v[16:17], v[38:39], v[24:25], v[16:17] op_sel:[1,0,0]
	v_mov_b32_e32 v25, v30
	v_pk_fma_f32 v[16:17], v[40:41], v[22:23], v[16:17] op_sel_hi:[0,1,1]
	v_mov_b32_e32 v22, v31
	v_pk_fma_f32 v[16:17], v[34:35], v[24:25], v[16:17] op_sel_hi:[0,1,1]
	;; [unrolled: 2-line block ×3, first 2 shown]
	v_mov_b32_e32 v22, v32
	v_pk_fma_f32 v[16:17], v[44:45], v[24:25], v[16:17] op_sel:[1,0,0]
	v_pk_fma_f32 v[18:19], v[38:39], v[22:23], v[18:19] op_sel_hi:[0,1,1]
	v_mov_b32_e32 v25, v32
	v_mov_b32_e32 v22, v33
	v_pk_fma_f32 v[18:19], v[38:39], v[24:25], v[18:19] op_sel:[1,0,0]
	v_mov_b32_e32 v25, v33
	v_pk_fma_f32 v[18:19], v[40:41], v[22:23], v[18:19] op_sel_hi:[0,1,1]
	v_pk_fma_f32 v[18:19], v[34:35], v[24:25], v[18:19] op_sel_hi:[0,1,1]
	s_waitcnt vmcnt(0)
	v_mov_b32_e32 v25, v46
	v_pk_fma_f32 v[18:19], v[44:45], v[46:47], v[18:19] op_sel_hi:[0,1,1]
	v_pk_fma_f32 v[18:19], v[44:45], v[24:25], v[18:19] op_sel:[1,0,0]
	s_andn2_b64 exec, exec, s[10:11]
	s_cbranch_execnz .LBB125_22
; %bb.23:
	s_or_b64 exec, exec, s[10:11]
.LBB125_24:
	s_or_b64 exec, exec, s[6:7]
	s_cbranch_execz .LBB125_26
	s_branch .LBB125_31
.LBB125_25:
                                        ; implicit-def: $vgpr15
                                        ; implicit-def: $vgpr17
                                        ; implicit-def: $vgpr19
.LBB125_26:
	v_mov_b32_e32 v15, 0
	v_mov_b32_e32 v14, v15
	;; [unrolled: 1-line block ×6, first 2 shown]
	s_and_saveexec_b64 s[6:7], s[2:3]
	s_cbranch_execz .LBB125_30
; %bb.27:
	v_mov_b32_e32 v23, 0
	v_lshl_add_u64 v[20:21], v[8:9], 2, s[8:9]
	s_mov_b64 s[2:3], 0
	s_mov_b64 s[8:9], 0x90
	v_bfrev_b32_e32 v24, 1
	v_mov_b32_e32 v18, v23
	v_mov_b32_e32 v19, v23
	;; [unrolled: 1-line block ×6, first 2 shown]
.LBB125_28:                             ; =>This Inner Loop Header: Depth=1
	global_load_dword v1, v[20:21], off
	global_load_dwordx4 v[26:29], v[12:13], off offset:16
	global_load_dwordx4 v[30:33], v[12:13], off
	v_mov_b32_e32 v43, v23
	v_lshl_add_u64 v[8:9], v[8:9], 0, 4
	v_cmp_ge_i64_e32 vcc, v[8:9], v[10:11]
	v_lshl_add_u64 v[20:21], v[20:21], 0, 16
	s_or_b64 s[2:3], vcc, s[2:3]
	s_waitcnt vmcnt(2)
	v_subrev_u32_e32 v1, s12, v1
	v_lshl_add_u32 v34, v1, 1, v1
	v_ashrrev_i32_e32 v35, 31, v34
	s_waitcnt lgkmcnt(0)
	v_lshl_add_u64 v[38:39], v[34:35], 3, s[4:5]
	global_load_dwordx4 v[34:37], v[38:39], off
	global_load_dwordx2 v[40:41], v[38:39], off offset:16
	global_load_dword v42, v[12:13], off offset:32
	s_waitcnt vmcnt(3)
	v_mov_b32_e32 v22, v30
	v_mov_b32_e32 v25, v30
	v_lshl_add_u64 v[12:13], v[12:13], 0, s[8:9]
	s_waitcnt vmcnt(2)
	v_pk_fma_f32 v[14:15], v[34:35], v[22:23], v[14:15] op_sel_hi:[0,1,1]
	v_mov_b32_e32 v22, v33
	v_pk_fma_f32 v[14:15], v[34:35], v[24:25], v[14:15] op_sel:[1,0,0]
	v_mov_b32_e32 v30, v37
	v_mov_b32_e32 v25, v33
	v_pk_fma_f32 v[14:15], v[36:37], v[22:23], v[14:15] op_sel_hi:[0,1,1]
	v_mov_b32_e32 v22, v28
	v_pk_fma_f32 v[14:15], v[30:31], v[24:25], v[14:15] op_sel_hi:[0,1,1]
	v_mov_b32_e32 v25, v28
	s_waitcnt vmcnt(1)
	v_pk_fma_f32 v[14:15], v[40:41], v[22:23], v[14:15] op_sel_hi:[0,1,1]
	v_mov_b32_e32 v22, v31
	v_pk_fma_f32 v[14:15], v[40:41], v[24:25], v[14:15] op_sel:[1,0,0]
	v_pk_fma_f32 v[16:17], v[34:35], v[22:23], v[16:17] op_sel_hi:[0,1,1]
	v_mov_b32_e32 v25, v31
	v_mov_b32_e32 v22, v26
	v_pk_fma_f32 v[16:17], v[34:35], v[24:25], v[16:17] op_sel:[1,0,0]
	v_mov_b32_e32 v25, v26
	v_pk_fma_f32 v[16:17], v[36:37], v[22:23], v[16:17] op_sel_hi:[0,1,1]
	v_mov_b32_e32 v22, v29
	v_pk_fma_f32 v[16:17], v[30:31], v[24:25], v[16:17] op_sel_hi:[0,1,1]
	v_mov_b32_e32 v33, v23
	v_mov_b32_e32 v25, v29
	v_pk_fma_f32 v[16:17], v[40:41], v[22:23], v[16:17] op_sel_hi:[0,1,1]
	v_pk_fma_f32 v[18:19], v[34:35], v[32:33], v[18:19] op_sel_hi:[0,1,1]
	v_pk_fma_f32 v[16:17], v[40:41], v[24:25], v[16:17] op_sel:[1,0,0]
	v_mov_b32_e32 v25, v32
	v_mov_b32_e32 v22, v27
	v_pk_fma_f32 v[18:19], v[34:35], v[24:25], v[18:19] op_sel:[1,0,0]
	v_mov_b32_e32 v25, v27
	v_pk_fma_f32 v[18:19], v[36:37], v[22:23], v[18:19] op_sel_hi:[0,1,1]
	v_pk_fma_f32 v[18:19], v[30:31], v[24:25], v[18:19] op_sel_hi:[0,1,1]
	s_waitcnt vmcnt(0)
	v_mov_b32_e32 v25, v42
	v_pk_fma_f32 v[18:19], v[40:41], v[42:43], v[18:19] op_sel_hi:[0,1,1]
	v_pk_fma_f32 v[18:19], v[40:41], v[24:25], v[18:19] op_sel:[1,0,0]
	s_andn2_b64 exec, exec, s[2:3]
	s_cbranch_execnz .LBB125_28
; %bb.29:
	s_or_b64 exec, exec, s[2:3]
.LBB125_30:
	s_or_b64 exec, exec, s[6:7]
.LBB125_31:
	v_mov_b32_dpp v12, v17 row_shr:1 row_mask:0xf bank_mask:0xf
	v_mov_b32_dpp v8, v15 row_shr:1 row_mask:0xf bank_mask:0xf
	v_add_f32_e32 v13, v17, v12
	v_mov_b32_dpp v12, v18 row_shr:1 row_mask:0xf bank_mask:0xf
	v_mov_b32_dpp v1, v14 row_shr:1 row_mask:0xf bank_mask:0xf
	v_add_f32_e32 v8, v15, v8
	v_mov_b32_dpp v10, v16 row_shr:1 row_mask:0xf bank_mask:0xf
	v_add_f32_e32 v15, v18, v12
	;; [unrolled: 2-line block ×3, first 2 shown]
	v_add_f32_e32 v10, v16, v10
	v_add_f32_e32 v18, v19, v12
	v_mov_b32_dpp v7, v1 row_shr:2 row_mask:0xf bank_mask:0xf
	v_mov_b32_dpp v9, v8 row_shr:2 row_mask:0xf bank_mask:0xf
	;; [unrolled: 1-line block ×6, first 2 shown]
	v_cmp_eq_u32_e32 vcc, 3, v0
	s_and_b64 exec, exec, vcc
	s_cbranch_execz .LBB125_14
; %bb.32:
	s_load_dwordx2 s[2:3], s[0:1], 0x50
	v_add_f32_e32 v12, v1, v7
	v_and_b32_e32 v1, 0x7fffffff, v4
	v_cmp_eq_u32_e32 vcc, 0, v1
	v_cmp_eq_f32_e64 s[0:1], 0, v5
	v_lshl_add_u32 v6, v6, 1, v6
	v_add_f32_e32 v16, v8, v9
	v_add_f32_e32 v10, v10, v11
	;; [unrolled: 1-line block ×5, first 2 shown]
	s_and_b64 s[0:1], vcc, s[0:1]
	v_ashrrev_i32_e32 v7, 31, v6
	s_waitcnt lgkmcnt(0)
	s_and_saveexec_b64 s[4:5], s[0:1]
	s_xor_b64 s[0:1], exec, s[4:5]
	s_cbranch_execz .LBB125_34
; %bb.33:
	v_xor_b32_e32 v18, 0x80000000, v3
	v_mov_b32_e32 v19, v2
	v_lshl_add_u64 v[20:21], v[6:7], 3, s[2:3]
	v_pk_mul_f32 v[4:5], v[16:17], v[18:19] op_sel_hi:[0,1]
	v_pk_mul_f32 v[6:7], v[14:15], v[18:19] op_sel_hi:[0,1]
	v_pk_fma_f32 v[4:5], v[2:3], v[12:13], v[4:5] op_sel_hi:[1,0,1]
	v_pk_fma_f32 v[6:7], v[2:3], v[10:11], v[6:7] op_sel_hi:[1,0,1]
	global_store_dwordx4 v[20:21], v[4:7], off
                                        ; implicit-def: $vgpr12
                                        ; implicit-def: $vgpr16
                                        ; implicit-def: $vgpr10
                                        ; implicit-def: $vgpr14
                                        ; implicit-def: $vgpr6
	s_nop 1
	v_pk_mul_f32 v[4:5], v[8:9], v[18:19] op_sel_hi:[0,1]
	v_pk_fma_f32 v[0:1], v[2:3], v[0:1], v[4:5] op_sel_hi:[1,0,1]
	global_store_dwordx2 v[20:21], v[0:1], off offset:16
                                        ; implicit-def: $vgpr3
                                        ; implicit-def: $vgpr4
                                        ; implicit-def: $vgpr0
                                        ; implicit-def: $vgpr8
.LBB125_34:
	s_andn2_saveexec_b64 s[0:1], s[0:1]
	s_cbranch_execz .LBB125_14
; %bb.35:
	v_lshl_add_u64 v[6:7], v[6:7], 3, s[2:3]
	global_load_dwordx4 v[18:21], v[6:7], off
	global_load_dwordx2 v[22:23], v[6:7], off offset:16
	v_xor_b32_e32 v24, 0x80000000, v3
	v_mov_b32_e32 v25, v2
	v_pk_mul_f32 v[16:17], v[16:17], v[24:25] op_sel_hi:[0,1]
	v_pk_mul_f32 v[14:15], v[14:15], v[24:25] op_sel_hi:[0,1]
	;; [unrolled: 1-line block ×3, first 2 shown]
	v_pk_fma_f32 v[12:13], v[2:3], v[12:13], v[16:17] op_sel_hi:[1,0,1]
	v_pk_fma_f32 v[10:11], v[2:3], v[10:11], v[14:15] op_sel_hi:[1,0,1]
	v_xor_b32_e32 v26, 0x80000000, v5
	v_mov_b32_e32 v27, v4
	v_pk_fma_f32 v[0:1], v[2:3], v[0:1], v[8:9] op_sel_hi:[1,0,1]
	s_waitcnt vmcnt(1)
	v_pk_fma_f32 v[2:3], v[4:5], v[18:19], v[12:13] op_sel_hi:[1,0,1]
	v_pk_fma_f32 v[8:9], v[4:5], v[20:21], v[10:11] op_sel_hi:[1,0,1]
	v_mov_b32_e32 v10, v21
	s_waitcnt vmcnt(0)
	v_pk_fma_f32 v[4:5], v[4:5], v[22:23], v[0:1] op_sel_hi:[1,0,1]
	v_pk_fma_f32 v[0:1], v[26:27], v[18:19], v[2:3] op_sel:[0,1,0]
	v_pk_fma_f32 v[2:3], v[26:27], v[10:11], v[8:9] op_sel_hi:[1,0,1]
	v_pk_fma_f32 v[4:5], v[26:27], v[22:23], v[4:5] op_sel:[0,1,0]
	global_store_dwordx4 v[6:7], v[0:3], off
	global_store_dwordx2 v[6:7], v[4:5], off offset:16
	s_endpgm
	.section	.rodata,"a",@progbits
	.p2align	6, 0x0
	.amdhsa_kernel _ZN9rocsparseL18bsrxmvn_3x3_kernelILj256ELj4E21rocsparse_complex_numIfElifS2_S2_EEvT3_20rocsparse_direction_NS_24const_host_device_scalarIT1_EES3_PKS3_PKT2_SC_S9_PKT4_PKT5_S7_PT6_21rocsparse_index_base_b
		.amdhsa_group_segment_fixed_size 0
		.amdhsa_private_segment_fixed_size 0
		.amdhsa_kernarg_size 96
		.amdhsa_user_sgpr_count 2
		.amdhsa_user_sgpr_dispatch_ptr 0
		.amdhsa_user_sgpr_queue_ptr 0
		.amdhsa_user_sgpr_kernarg_segment_ptr 1
		.amdhsa_user_sgpr_dispatch_id 0
		.amdhsa_user_sgpr_kernarg_preload_length 0
		.amdhsa_user_sgpr_kernarg_preload_offset 0
		.amdhsa_user_sgpr_private_segment_size 0
		.amdhsa_uses_dynamic_stack 0
		.amdhsa_enable_private_segment 0
		.amdhsa_system_sgpr_workgroup_id_x 1
		.amdhsa_system_sgpr_workgroup_id_y 0
		.amdhsa_system_sgpr_workgroup_id_z 0
		.amdhsa_system_sgpr_workgroup_info 0
		.amdhsa_system_vgpr_workitem_id 0
		.amdhsa_next_free_vgpr 48
		.amdhsa_next_free_sgpr 16
		.amdhsa_accum_offset 48
		.amdhsa_reserve_vcc 1
		.amdhsa_float_round_mode_32 0
		.amdhsa_float_round_mode_16_64 0
		.amdhsa_float_denorm_mode_32 3
		.amdhsa_float_denorm_mode_16_64 3
		.amdhsa_dx10_clamp 1
		.amdhsa_ieee_mode 1
		.amdhsa_fp16_overflow 0
		.amdhsa_tg_split 0
		.amdhsa_exception_fp_ieee_invalid_op 0
		.amdhsa_exception_fp_denorm_src 0
		.amdhsa_exception_fp_ieee_div_zero 0
		.amdhsa_exception_fp_ieee_overflow 0
		.amdhsa_exception_fp_ieee_underflow 0
		.amdhsa_exception_fp_ieee_inexact 0
		.amdhsa_exception_int_div_zero 0
	.end_amdhsa_kernel
	.section	.text._ZN9rocsparseL18bsrxmvn_3x3_kernelILj256ELj4E21rocsparse_complex_numIfElifS2_S2_EEvT3_20rocsparse_direction_NS_24const_host_device_scalarIT1_EES3_PKS3_PKT2_SC_S9_PKT4_PKT5_S7_PT6_21rocsparse_index_base_b,"axG",@progbits,_ZN9rocsparseL18bsrxmvn_3x3_kernelILj256ELj4E21rocsparse_complex_numIfElifS2_S2_EEvT3_20rocsparse_direction_NS_24const_host_device_scalarIT1_EES3_PKS3_PKT2_SC_S9_PKT4_PKT5_S7_PT6_21rocsparse_index_base_b,comdat
.Lfunc_end125:
	.size	_ZN9rocsparseL18bsrxmvn_3x3_kernelILj256ELj4E21rocsparse_complex_numIfElifS2_S2_EEvT3_20rocsparse_direction_NS_24const_host_device_scalarIT1_EES3_PKS3_PKT2_SC_S9_PKT4_PKT5_S7_PT6_21rocsparse_index_base_b, .Lfunc_end125-_ZN9rocsparseL18bsrxmvn_3x3_kernelILj256ELj4E21rocsparse_complex_numIfElifS2_S2_EEvT3_20rocsparse_direction_NS_24const_host_device_scalarIT1_EES3_PKS3_PKT2_SC_S9_PKT4_PKT5_S7_PT6_21rocsparse_index_base_b
                                        ; -- End function
	.section	.AMDGPU.csdata,"",@progbits
; Kernel info:
; codeLenInByte = 1988
; NumSgprs: 22
; NumVgprs: 48
; NumAgprs: 0
; TotalNumVgprs: 48
; ScratchSize: 0
; MemoryBound: 0
; FloatMode: 240
; IeeeMode: 1
; LDSByteSize: 0 bytes/workgroup (compile time only)
; SGPRBlocks: 2
; VGPRBlocks: 5
; NumSGPRsForWavesPerEU: 22
; NumVGPRsForWavesPerEU: 48
; AccumOffset: 48
; Occupancy: 8
; WaveLimiterHint : 1
; COMPUTE_PGM_RSRC2:SCRATCH_EN: 0
; COMPUTE_PGM_RSRC2:USER_SGPR: 2
; COMPUTE_PGM_RSRC2:TRAP_HANDLER: 0
; COMPUTE_PGM_RSRC2:TGID_X_EN: 1
; COMPUTE_PGM_RSRC2:TGID_Y_EN: 0
; COMPUTE_PGM_RSRC2:TGID_Z_EN: 0
; COMPUTE_PGM_RSRC2:TIDIG_COMP_CNT: 0
; COMPUTE_PGM_RSRC3_GFX90A:ACCUM_OFFSET: 11
; COMPUTE_PGM_RSRC3_GFX90A:TG_SPLIT: 0
	.section	.text._ZN9rocsparseL18bsrxmvn_3x3_kernelILj256ELj8E21rocsparse_complex_numIfElifS2_S2_EEvT3_20rocsparse_direction_NS_24const_host_device_scalarIT1_EES3_PKS3_PKT2_SC_S9_PKT4_PKT5_S7_PT6_21rocsparse_index_base_b,"axG",@progbits,_ZN9rocsparseL18bsrxmvn_3x3_kernelILj256ELj8E21rocsparse_complex_numIfElifS2_S2_EEvT3_20rocsparse_direction_NS_24const_host_device_scalarIT1_EES3_PKS3_PKT2_SC_S9_PKT4_PKT5_S7_PT6_21rocsparse_index_base_b,comdat
	.globl	_ZN9rocsparseL18bsrxmvn_3x3_kernelILj256ELj8E21rocsparse_complex_numIfElifS2_S2_EEvT3_20rocsparse_direction_NS_24const_host_device_scalarIT1_EES3_PKS3_PKT2_SC_S9_PKT4_PKT5_S7_PT6_21rocsparse_index_base_b ; -- Begin function _ZN9rocsparseL18bsrxmvn_3x3_kernelILj256ELj8E21rocsparse_complex_numIfElifS2_S2_EEvT3_20rocsparse_direction_NS_24const_host_device_scalarIT1_EES3_PKS3_PKT2_SC_S9_PKT4_PKT5_S7_PT6_21rocsparse_index_base_b
	.p2align	8
	.type	_ZN9rocsparseL18bsrxmvn_3x3_kernelILj256ELj8E21rocsparse_complex_numIfElifS2_S2_EEvT3_20rocsparse_direction_NS_24const_host_device_scalarIT1_EES3_PKS3_PKT2_SC_S9_PKT4_PKT5_S7_PT6_21rocsparse_index_base_b,@function
_ZN9rocsparseL18bsrxmvn_3x3_kernelILj256ELj8E21rocsparse_complex_numIfElifS2_S2_EEvT3_20rocsparse_direction_NS_24const_host_device_scalarIT1_EES3_PKS3_PKT2_SC_S9_PKT4_PKT5_S7_PT6_21rocsparse_index_base_b: ; @_ZN9rocsparseL18bsrxmvn_3x3_kernelILj256ELj8E21rocsparse_complex_numIfElifS2_S2_EEvT3_20rocsparse_direction_NS_24const_host_device_scalarIT1_EES3_PKS3_PKT2_SC_S9_PKT4_PKT5_S7_PT6_21rocsparse_index_base_b
; %bb.0:
	s_load_dwordx2 s[12:13], s[0:1], 0x58
	s_load_dwordx2 s[8:9], s[0:1], 0x8
	;; [unrolled: 1-line block ×3, first 2 shown]
	s_waitcnt lgkmcnt(0)
	s_bitcmp1_b32 s13, 0
	s_cselect_b64 s[4:5], -1, 0
	s_xor_b64 s[10:11], s[4:5], -1
	s_and_b64 vcc, exec, s[4:5]
	v_mov_b32_e32 v2, s8
	s_cbranch_vccnz .LBB126_2
; %bb.1:
	v_mov_b64_e32 v[2:3], s[8:9]
	flat_load_dword v2, v[2:3]
.LBB126_2:
	v_cndmask_b32_e64 v1, 0, 1, s[10:11]
	v_cmp_ne_u32_e64 s[4:5], 1, v1
	s_andn2_b64 vcc, exec, s[10:11]
	v_mov_b32_e32 v3, s9
	s_cbranch_vccz .LBB126_15
; %bb.3:
	s_and_b64 vcc, exec, s[4:5]
	v_mov_b32_e32 v4, s6
	s_cbranch_vccz .LBB126_16
.LBB126_4:
	s_and_b64 vcc, exec, s[4:5]
	v_mov_b32_e32 v5, s7
	s_cbranch_vccnz .LBB126_6
.LBB126_5:
	v_mov_b64_e32 v[6:7], s[6:7]
	flat_load_dword v5, v[6:7] offset:4
.LBB126_6:
	s_waitcnt vmcnt(0) lgkmcnt(0)
	v_and_b32_e32 v1, 0x7fffffff, v2
	v_cmp_eq_u32_e32 vcc, 0, v1
	v_cmp_eq_f32_e64 s[4:5], 0, v3
	s_and_b64 s[8:9], vcc, s[4:5]
	s_mov_b64 s[4:5], -1
	s_and_saveexec_b64 s[6:7], s[8:9]
; %bb.7:
	v_and_b32_e32 v1, 0x7fffffff, v5
	v_cmp_neq_f32_e32 vcc, 1.0, v4
	v_cmp_ne_u32_e64 s[4:5], 0, v1
	s_or_b64 s[4:5], vcc, s[4:5]
	s_orn2_b64 s[4:5], s[4:5], exec
; %bb.8:
	s_or_b64 exec, exec, s[6:7]
	s_and_saveexec_b64 s[6:7], s[4:5]
	s_cbranch_execz .LBB126_14
; %bb.9:
	s_load_dwordx2 s[4:5], s[0:1], 0x18
	s_load_dwordx2 s[14:15], s[0:1], 0x0
	v_lshrrev_b32_e32 v1, 3, v0
	v_lshl_or_b32 v6, s2, 5, v1
	s_mov_b64 s[2:3], 0
	s_waitcnt lgkmcnt(0)
	s_cmp_lg_u64 s[4:5], 0
	s_cbranch_scc0 .LBB126_17
; %bb.10:
	s_load_dword s6, s[0:1], 0x10
                                        ; implicit-def: $vgpr1
	s_waitcnt lgkmcnt(0)
	v_cmp_gt_i32_e32 vcc, s6, v6
	s_and_saveexec_b64 s[6:7], vcc
	s_xor_b64 s[6:7], exec, s[6:7]
	s_cbranch_execz .LBB126_12
; %bb.11:
	v_ashrrev_i32_e32 v7, 31, v6
	v_lshl_add_u64 v[8:9], v[6:7], 2, s[4:5]
	global_load_dword v1, v[8:9], off
	s_mov_b64 s[2:3], exec
	s_waitcnt vmcnt(0)
	v_subrev_u32_e32 v1, s12, v1
.LBB126_12:
	s_or_b64 exec, exec, s[6:7]
	s_branch .LBB126_18
.LBB126_13:
	v_cmp_gt_i32_e32 vcc, s14, v6
	s_andn2_b64 s[2:3], s[2:3], exec
	s_and_b64 s[4:5], vcc, exec
	s_or_b64 s[2:3], s[2:3], s[4:5]
	s_and_b64 exec, exec, s[2:3]
	s_cbranch_execnz .LBB126_19
.LBB126_14:
	s_endpgm
.LBB126_15:
	v_mov_b64_e32 v[4:5], s[8:9]
	flat_load_dword v3, v[4:5] offset:4
	s_and_b64 vcc, exec, s[4:5]
	v_mov_b32_e32 v4, s6
	s_cbranch_vccnz .LBB126_4
.LBB126_16:
	v_mov_b64_e32 v[4:5], s[6:7]
	flat_load_dword v4, v[4:5]
	s_and_b64 vcc, exec, s[4:5]
	v_mov_b32_e32 v5, s7
	s_cbranch_vccz .LBB126_5
	s_branch .LBB126_6
.LBB126_17:
                                        ; implicit-def: $vgpr1
	s_cbranch_execnz .LBB126_13
.LBB126_18:
	v_mov_b32_e32 v6, v1
	s_and_b64 exec, exec, s[2:3]
	s_cbranch_execz .LBB126_14
.LBB126_19:
	s_load_dwordx8 s[4:11], s[0:1], 0x20
	v_ashrrev_i32_e32 v7, 31, v6
	v_lshlrev_b64 v[8:9], 3, v[6:7]
	v_mov_b32_e32 v15, 0
	v_and_b32_e32 v0, 7, v0
	s_waitcnt lgkmcnt(0)
	v_lshl_add_u64 v[10:11], s[4:5], 0, v[8:9]
	global_load_dwordx2 v[12:13], v[10:11], off
	s_cmp_eq_u64 s[6:7], 0
	v_lshl_add_u64 v[8:9], s[6:7], 0, v[8:9]
	v_lshl_add_u64 v[10:11], v[10:11], 0, 8
	s_cselect_b64 vcc, -1, 0
	v_cndmask_b32_e32 v9, v9, v11, vcc
	v_cndmask_b32_e32 v8, v8, v10, vcc
	global_load_dwordx2 v[10:11], v[8:9], off
	v_mov_b32_e32 v1, v15
	s_load_dwordx2 s[4:5], s[0:1], 0x40
	s_cmp_eq_u32 s15, 1
	s_waitcnt vmcnt(1)
	v_subrev_co_u32_e32 v8, vcc, s12, v12
	s_nop 1
	v_subbrev_co_u32_e32 v9, vcc, 0, v13, vcc
	v_lshl_add_u64 v[8:9], v[8:9], 0, v[0:1]
	v_mad_u64_u32 v[12:13], s[2:3], v8, 36, s[10:11]
	s_waitcnt vmcnt(0)
	v_subrev_co_u32_e32 v10, vcc, s12, v10
	v_mov_b32_e32 v14, v13
	s_nop 0
	v_subbrev_co_u32_e32 v11, vcc, 0, v11, vcc
	v_mad_u64_u32 v[16:17], s[2:3], v9, 36, v[14:15]
	v_mov_b32_e32 v13, v16
	v_cmp_lt_i64_e64 s[2:3], v[8:9], v[10:11]
	s_cbranch_scc1 .LBB126_25
; %bb.20:
	v_mov_b32_e32 v14, 0
	v_mov_b32_e32 v17, 0
	;; [unrolled: 1-line block ×5, first 2 shown]
	s_and_saveexec_b64 s[6:7], s[2:3]
	s_cbranch_execz .LBB126_24
; %bb.21:
	v_mov_b32_e32 v23, 0
	v_lshl_add_u64 v[20:21], v[8:9], 2, s[8:9]
	s_mov_b64 s[10:11], 0
	s_mov_b64 s[14:15], 0x120
	v_bfrev_b32_e32 v24, 1
	v_mov_b64_e32 v[26:27], v[8:9]
	v_mov_b64_e32 v[28:29], v[12:13]
	v_mov_b32_e32 v18, v23
	v_mov_b32_e32 v19, v23
	;; [unrolled: 1-line block ×6, first 2 shown]
.LBB126_22:                             ; =>This Inner Loop Header: Depth=1
	global_load_dword v1, v[20:21], off
	global_load_dwordx4 v[30:33], v[28:29], off offset:16
	global_load_dwordx4 v[34:37], v[28:29], off
	v_mov_b32_e32 v47, v23
	v_lshl_add_u64 v[26:27], v[26:27], 0, 8
	v_cmp_ge_i64_e32 vcc, v[26:27], v[10:11]
	v_lshl_add_u64 v[20:21], v[20:21], 0, 32
	s_or_b64 s[10:11], vcc, s[10:11]
	s_waitcnt vmcnt(2)
	v_subrev_u32_e32 v1, s12, v1
	v_lshl_add_u32 v38, v1, 1, v1
	v_ashrrev_i32_e32 v39, 31, v38
	s_waitcnt lgkmcnt(0)
	v_lshl_add_u64 v[42:43], v[38:39], 3, s[4:5]
	global_load_dwordx4 v[38:41], v[42:43], off
	global_load_dwordx2 v[44:45], v[42:43], off offset:16
	global_load_dword v46, v[28:29], off offset:32
	s_waitcnt vmcnt(3)
	v_mov_b32_e32 v22, v34
	v_mov_b32_e32 v25, v34
	v_lshl_add_u64 v[28:29], v[28:29], 0, s[14:15]
	s_waitcnt vmcnt(2)
	v_pk_fma_f32 v[14:15], v[38:39], v[22:23], v[14:15] op_sel_hi:[0,1,1]
	v_mov_b32_e32 v22, v35
	v_pk_fma_f32 v[14:15], v[38:39], v[24:25], v[14:15] op_sel:[1,0,0]
	v_mov_b32_e32 v34, v41
	v_mov_b32_e32 v25, v35
	v_pk_fma_f32 v[14:15], v[40:41], v[22:23], v[14:15] op_sel_hi:[0,1,1]
	v_mov_b32_e32 v22, v36
	v_pk_fma_f32 v[14:15], v[34:35], v[24:25], v[14:15] op_sel_hi:[0,1,1]
	v_mov_b32_e32 v25, v36
	s_waitcnt vmcnt(1)
	v_pk_fma_f32 v[14:15], v[44:45], v[22:23], v[14:15] op_sel_hi:[0,1,1]
	v_mov_b32_e32 v22, v37
	v_pk_fma_f32 v[14:15], v[44:45], v[24:25], v[14:15] op_sel:[1,0,0]
	v_pk_fma_f32 v[16:17], v[38:39], v[22:23], v[16:17] op_sel_hi:[0,1,1]
	v_mov_b32_e32 v25, v37
	v_mov_b32_e32 v22, v30
	v_pk_fma_f32 v[16:17], v[38:39], v[24:25], v[16:17] op_sel:[1,0,0]
	v_mov_b32_e32 v25, v30
	v_pk_fma_f32 v[16:17], v[40:41], v[22:23], v[16:17] op_sel_hi:[0,1,1]
	v_mov_b32_e32 v22, v31
	v_pk_fma_f32 v[16:17], v[34:35], v[24:25], v[16:17] op_sel_hi:[0,1,1]
	;; [unrolled: 2-line block ×3, first 2 shown]
	v_mov_b32_e32 v22, v32
	v_pk_fma_f32 v[16:17], v[44:45], v[24:25], v[16:17] op_sel:[1,0,0]
	v_pk_fma_f32 v[18:19], v[38:39], v[22:23], v[18:19] op_sel_hi:[0,1,1]
	v_mov_b32_e32 v25, v32
	v_mov_b32_e32 v22, v33
	v_pk_fma_f32 v[18:19], v[38:39], v[24:25], v[18:19] op_sel:[1,0,0]
	v_mov_b32_e32 v25, v33
	v_pk_fma_f32 v[18:19], v[40:41], v[22:23], v[18:19] op_sel_hi:[0,1,1]
	v_pk_fma_f32 v[18:19], v[34:35], v[24:25], v[18:19] op_sel_hi:[0,1,1]
	s_waitcnt vmcnt(0)
	v_mov_b32_e32 v25, v46
	v_pk_fma_f32 v[18:19], v[44:45], v[46:47], v[18:19] op_sel_hi:[0,1,1]
	v_pk_fma_f32 v[18:19], v[44:45], v[24:25], v[18:19] op_sel:[1,0,0]
	s_andn2_b64 exec, exec, s[10:11]
	s_cbranch_execnz .LBB126_22
; %bb.23:
	s_or_b64 exec, exec, s[10:11]
.LBB126_24:
	s_or_b64 exec, exec, s[6:7]
	s_cbranch_execz .LBB126_26
	s_branch .LBB126_31
.LBB126_25:
                                        ; implicit-def: $vgpr15
                                        ; implicit-def: $vgpr17
                                        ; implicit-def: $vgpr19
.LBB126_26:
	v_mov_b32_e32 v15, 0
	v_mov_b32_e32 v14, v15
	;; [unrolled: 1-line block ×6, first 2 shown]
	s_and_saveexec_b64 s[6:7], s[2:3]
	s_cbranch_execz .LBB126_30
; %bb.27:
	v_mov_b32_e32 v23, 0
	v_lshl_add_u64 v[20:21], v[8:9], 2, s[8:9]
	s_mov_b64 s[2:3], 0
	s_mov_b64 s[8:9], 0x120
	v_bfrev_b32_e32 v24, 1
	v_mov_b32_e32 v18, v23
	v_mov_b32_e32 v19, v23
	;; [unrolled: 1-line block ×6, first 2 shown]
.LBB126_28:                             ; =>This Inner Loop Header: Depth=1
	global_load_dword v1, v[20:21], off
	global_load_dwordx4 v[26:29], v[12:13], off offset:16
	global_load_dwordx4 v[30:33], v[12:13], off
	v_mov_b32_e32 v43, v23
	v_lshl_add_u64 v[8:9], v[8:9], 0, 8
	v_cmp_ge_i64_e32 vcc, v[8:9], v[10:11]
	v_lshl_add_u64 v[20:21], v[20:21], 0, 32
	s_or_b64 s[2:3], vcc, s[2:3]
	s_waitcnt vmcnt(2)
	v_subrev_u32_e32 v1, s12, v1
	v_lshl_add_u32 v34, v1, 1, v1
	v_ashrrev_i32_e32 v35, 31, v34
	s_waitcnt lgkmcnt(0)
	v_lshl_add_u64 v[38:39], v[34:35], 3, s[4:5]
	global_load_dwordx4 v[34:37], v[38:39], off
	global_load_dwordx2 v[40:41], v[38:39], off offset:16
	global_load_dword v42, v[12:13], off offset:32
	s_waitcnt vmcnt(3)
	v_mov_b32_e32 v22, v30
	v_mov_b32_e32 v25, v30
	v_lshl_add_u64 v[12:13], v[12:13], 0, s[8:9]
	s_waitcnt vmcnt(2)
	v_pk_fma_f32 v[14:15], v[34:35], v[22:23], v[14:15] op_sel_hi:[0,1,1]
	v_mov_b32_e32 v22, v33
	v_pk_fma_f32 v[14:15], v[34:35], v[24:25], v[14:15] op_sel:[1,0,0]
	v_mov_b32_e32 v30, v37
	v_mov_b32_e32 v25, v33
	v_pk_fma_f32 v[14:15], v[36:37], v[22:23], v[14:15] op_sel_hi:[0,1,1]
	v_mov_b32_e32 v22, v28
	v_pk_fma_f32 v[14:15], v[30:31], v[24:25], v[14:15] op_sel_hi:[0,1,1]
	v_mov_b32_e32 v25, v28
	s_waitcnt vmcnt(1)
	v_pk_fma_f32 v[14:15], v[40:41], v[22:23], v[14:15] op_sel_hi:[0,1,1]
	v_mov_b32_e32 v22, v31
	v_pk_fma_f32 v[14:15], v[40:41], v[24:25], v[14:15] op_sel:[1,0,0]
	v_pk_fma_f32 v[16:17], v[34:35], v[22:23], v[16:17] op_sel_hi:[0,1,1]
	v_mov_b32_e32 v25, v31
	v_mov_b32_e32 v22, v26
	v_pk_fma_f32 v[16:17], v[34:35], v[24:25], v[16:17] op_sel:[1,0,0]
	v_mov_b32_e32 v25, v26
	v_pk_fma_f32 v[16:17], v[36:37], v[22:23], v[16:17] op_sel_hi:[0,1,1]
	v_mov_b32_e32 v22, v29
	v_pk_fma_f32 v[16:17], v[30:31], v[24:25], v[16:17] op_sel_hi:[0,1,1]
	v_mov_b32_e32 v33, v23
	v_mov_b32_e32 v25, v29
	v_pk_fma_f32 v[16:17], v[40:41], v[22:23], v[16:17] op_sel_hi:[0,1,1]
	v_pk_fma_f32 v[18:19], v[34:35], v[32:33], v[18:19] op_sel_hi:[0,1,1]
	v_pk_fma_f32 v[16:17], v[40:41], v[24:25], v[16:17] op_sel:[1,0,0]
	v_mov_b32_e32 v25, v32
	v_mov_b32_e32 v22, v27
	v_pk_fma_f32 v[18:19], v[34:35], v[24:25], v[18:19] op_sel:[1,0,0]
	v_mov_b32_e32 v25, v27
	v_pk_fma_f32 v[18:19], v[36:37], v[22:23], v[18:19] op_sel_hi:[0,1,1]
	v_pk_fma_f32 v[18:19], v[30:31], v[24:25], v[18:19] op_sel_hi:[0,1,1]
	s_waitcnt vmcnt(0)
	v_mov_b32_e32 v25, v42
	v_pk_fma_f32 v[18:19], v[40:41], v[42:43], v[18:19] op_sel_hi:[0,1,1]
	v_pk_fma_f32 v[18:19], v[40:41], v[24:25], v[18:19] op_sel:[1,0,0]
	s_andn2_b64 exec, exec, s[2:3]
	s_cbranch_execnz .LBB126_28
; %bb.29:
	s_or_b64 exec, exec, s[2:3]
.LBB126_30:
	s_or_b64 exec, exec, s[6:7]
.LBB126_31:
	v_mov_b32_dpp v12, v17 row_shr:1 row_mask:0xf bank_mask:0xf
	v_add_f32_e32 v12, v17, v12
	v_mov_b32_dpp v8, v15 row_shr:1 row_mask:0xf bank_mask:0xf
	v_add_f32_e32 v8, v15, v8
	;; [unrolled: 2-line block ×4, first 2 shown]
	v_mov_b32_dpp v1, v14 row_shr:1 row_mask:0xf bank_mask:0xf
	v_mov_b32_dpp v10, v16 row_shr:1 row_mask:0xf bank_mask:0xf
	;; [unrolled: 1-line block ×3, first 2 shown]
	v_add_f32_e32 v15, v12, v15
	v_mov_b32_dpp v12, v19 row_shr:1 row_mask:0xf bank_mask:0xf
	v_add_f32_e32 v1, v14, v1
	v_add_f32_e32 v10, v16, v10
	;; [unrolled: 1-line block ×3, first 2 shown]
	v_mov_b32_dpp v7, v1 row_shr:2 row_mask:0xf bank_mask:0xf
	v_mov_b32_dpp v9, v8 row_shr:2 row_mask:0xf bank_mask:0xf
	;; [unrolled: 1-line block ×4, first 2 shown]
	v_add_f32_e32 v1, v1, v7
	v_add_f32_e32 v8, v8, v9
	;; [unrolled: 1-line block ×4, first 2 shown]
	v_mov_b32_dpp v7, v1 row_shr:4 row_mask:0xf bank_mask:0xe
	v_mov_b32_dpp v9, v8 row_shr:4 row_mask:0xf bank_mask:0xe
	;; [unrolled: 1-line block ×6, first 2 shown]
	v_cmp_eq_u32_e32 vcc, 7, v0
	s_and_b64 exec, exec, vcc
	s_cbranch_execz .LBB126_14
; %bb.32:
	s_load_dwordx2 s[2:3], s[0:1], 0x50
	v_add_f32_e32 v12, v1, v7
	v_and_b32_e32 v1, 0x7fffffff, v4
	v_cmp_eq_u32_e32 vcc, 0, v1
	v_cmp_eq_f32_e64 s[0:1], 0, v5
	v_lshl_add_u32 v6, v6, 1, v6
	v_add_f32_e32 v16, v8, v9
	v_add_f32_e32 v10, v10, v11
	;; [unrolled: 1-line block ×5, first 2 shown]
	s_and_b64 s[0:1], vcc, s[0:1]
	v_ashrrev_i32_e32 v7, 31, v6
	s_waitcnt lgkmcnt(0)
	s_and_saveexec_b64 s[4:5], s[0:1]
	s_xor_b64 s[0:1], exec, s[4:5]
	s_cbranch_execz .LBB126_34
; %bb.33:
	v_xor_b32_e32 v18, 0x80000000, v3
	v_mov_b32_e32 v19, v2
	v_lshl_add_u64 v[20:21], v[6:7], 3, s[2:3]
	v_pk_mul_f32 v[4:5], v[16:17], v[18:19] op_sel_hi:[0,1]
	v_pk_mul_f32 v[6:7], v[14:15], v[18:19] op_sel_hi:[0,1]
	v_pk_fma_f32 v[4:5], v[2:3], v[12:13], v[4:5] op_sel_hi:[1,0,1]
	v_pk_fma_f32 v[6:7], v[2:3], v[10:11], v[6:7] op_sel_hi:[1,0,1]
	global_store_dwordx4 v[20:21], v[4:7], off
                                        ; implicit-def: $vgpr12
                                        ; implicit-def: $vgpr16
                                        ; implicit-def: $vgpr10
                                        ; implicit-def: $vgpr14
                                        ; implicit-def: $vgpr6
	s_nop 1
	v_pk_mul_f32 v[4:5], v[8:9], v[18:19] op_sel_hi:[0,1]
	v_pk_fma_f32 v[0:1], v[2:3], v[0:1], v[4:5] op_sel_hi:[1,0,1]
	global_store_dwordx2 v[20:21], v[0:1], off offset:16
                                        ; implicit-def: $vgpr3
                                        ; implicit-def: $vgpr4
                                        ; implicit-def: $vgpr0
                                        ; implicit-def: $vgpr8
.LBB126_34:
	s_andn2_saveexec_b64 s[0:1], s[0:1]
	s_cbranch_execz .LBB126_14
; %bb.35:
	v_lshl_add_u64 v[6:7], v[6:7], 3, s[2:3]
	global_load_dwordx4 v[18:21], v[6:7], off
	global_load_dwordx2 v[22:23], v[6:7], off offset:16
	v_xor_b32_e32 v24, 0x80000000, v3
	v_mov_b32_e32 v25, v2
	v_pk_mul_f32 v[16:17], v[16:17], v[24:25] op_sel_hi:[0,1]
	v_pk_mul_f32 v[14:15], v[14:15], v[24:25] op_sel_hi:[0,1]
	v_pk_mul_f32 v[8:9], v[8:9], v[24:25] op_sel_hi:[0,1]
	v_pk_fma_f32 v[12:13], v[2:3], v[12:13], v[16:17] op_sel_hi:[1,0,1]
	v_pk_fma_f32 v[10:11], v[2:3], v[10:11], v[14:15] op_sel_hi:[1,0,1]
	v_xor_b32_e32 v26, 0x80000000, v5
	v_mov_b32_e32 v27, v4
	v_pk_fma_f32 v[0:1], v[2:3], v[0:1], v[8:9] op_sel_hi:[1,0,1]
	s_waitcnt vmcnt(1)
	v_pk_fma_f32 v[2:3], v[4:5], v[18:19], v[12:13] op_sel_hi:[1,0,1]
	v_pk_fma_f32 v[8:9], v[4:5], v[20:21], v[10:11] op_sel_hi:[1,0,1]
	v_mov_b32_e32 v10, v21
	s_waitcnt vmcnt(0)
	v_pk_fma_f32 v[4:5], v[4:5], v[22:23], v[0:1] op_sel_hi:[1,0,1]
	v_pk_fma_f32 v[0:1], v[26:27], v[18:19], v[2:3] op_sel:[0,1,0]
	v_pk_fma_f32 v[2:3], v[26:27], v[10:11], v[8:9] op_sel_hi:[1,0,1]
	v_pk_fma_f32 v[4:5], v[26:27], v[22:23], v[4:5] op_sel:[0,1,0]
	global_store_dwordx4 v[6:7], v[0:3], off
	global_store_dwordx2 v[6:7], v[4:5], off offset:16
	s_endpgm
	.section	.rodata,"a",@progbits
	.p2align	6, 0x0
	.amdhsa_kernel _ZN9rocsparseL18bsrxmvn_3x3_kernelILj256ELj8E21rocsparse_complex_numIfElifS2_S2_EEvT3_20rocsparse_direction_NS_24const_host_device_scalarIT1_EES3_PKS3_PKT2_SC_S9_PKT4_PKT5_S7_PT6_21rocsparse_index_base_b
		.amdhsa_group_segment_fixed_size 0
		.amdhsa_private_segment_fixed_size 0
		.amdhsa_kernarg_size 96
		.amdhsa_user_sgpr_count 2
		.amdhsa_user_sgpr_dispatch_ptr 0
		.amdhsa_user_sgpr_queue_ptr 0
		.amdhsa_user_sgpr_kernarg_segment_ptr 1
		.amdhsa_user_sgpr_dispatch_id 0
		.amdhsa_user_sgpr_kernarg_preload_length 0
		.amdhsa_user_sgpr_kernarg_preload_offset 0
		.amdhsa_user_sgpr_private_segment_size 0
		.amdhsa_uses_dynamic_stack 0
		.amdhsa_enable_private_segment 0
		.amdhsa_system_sgpr_workgroup_id_x 1
		.amdhsa_system_sgpr_workgroup_id_y 0
		.amdhsa_system_sgpr_workgroup_id_z 0
		.amdhsa_system_sgpr_workgroup_info 0
		.amdhsa_system_vgpr_workitem_id 0
		.amdhsa_next_free_vgpr 48
		.amdhsa_next_free_sgpr 16
		.amdhsa_accum_offset 48
		.amdhsa_reserve_vcc 1
		.amdhsa_float_round_mode_32 0
		.amdhsa_float_round_mode_16_64 0
		.amdhsa_float_denorm_mode_32 3
		.amdhsa_float_denorm_mode_16_64 3
		.amdhsa_dx10_clamp 1
		.amdhsa_ieee_mode 1
		.amdhsa_fp16_overflow 0
		.amdhsa_tg_split 0
		.amdhsa_exception_fp_ieee_invalid_op 0
		.amdhsa_exception_fp_denorm_src 0
		.amdhsa_exception_fp_ieee_div_zero 0
		.amdhsa_exception_fp_ieee_overflow 0
		.amdhsa_exception_fp_ieee_underflow 0
		.amdhsa_exception_fp_ieee_inexact 0
		.amdhsa_exception_int_div_zero 0
	.end_amdhsa_kernel
	.section	.text._ZN9rocsparseL18bsrxmvn_3x3_kernelILj256ELj8E21rocsparse_complex_numIfElifS2_S2_EEvT3_20rocsparse_direction_NS_24const_host_device_scalarIT1_EES3_PKS3_PKT2_SC_S9_PKT4_PKT5_S7_PT6_21rocsparse_index_base_b,"axG",@progbits,_ZN9rocsparseL18bsrxmvn_3x3_kernelILj256ELj8E21rocsparse_complex_numIfElifS2_S2_EEvT3_20rocsparse_direction_NS_24const_host_device_scalarIT1_EES3_PKS3_PKT2_SC_S9_PKT4_PKT5_S7_PT6_21rocsparse_index_base_b,comdat
.Lfunc_end126:
	.size	_ZN9rocsparseL18bsrxmvn_3x3_kernelILj256ELj8E21rocsparse_complex_numIfElifS2_S2_EEvT3_20rocsparse_direction_NS_24const_host_device_scalarIT1_EES3_PKS3_PKT2_SC_S9_PKT4_PKT5_S7_PT6_21rocsparse_index_base_b, .Lfunc_end126-_ZN9rocsparseL18bsrxmvn_3x3_kernelILj256ELj8E21rocsparse_complex_numIfElifS2_S2_EEvT3_20rocsparse_direction_NS_24const_host_device_scalarIT1_EES3_PKS3_PKT2_SC_S9_PKT4_PKT5_S7_PT6_21rocsparse_index_base_b
                                        ; -- End function
	.section	.AMDGPU.csdata,"",@progbits
; Kernel info:
; codeLenInByte = 2060
; NumSgprs: 22
; NumVgprs: 48
; NumAgprs: 0
; TotalNumVgprs: 48
; ScratchSize: 0
; MemoryBound: 0
; FloatMode: 240
; IeeeMode: 1
; LDSByteSize: 0 bytes/workgroup (compile time only)
; SGPRBlocks: 2
; VGPRBlocks: 5
; NumSGPRsForWavesPerEU: 22
; NumVGPRsForWavesPerEU: 48
; AccumOffset: 48
; Occupancy: 8
; WaveLimiterHint : 1
; COMPUTE_PGM_RSRC2:SCRATCH_EN: 0
; COMPUTE_PGM_RSRC2:USER_SGPR: 2
; COMPUTE_PGM_RSRC2:TRAP_HANDLER: 0
; COMPUTE_PGM_RSRC2:TGID_X_EN: 1
; COMPUTE_PGM_RSRC2:TGID_Y_EN: 0
; COMPUTE_PGM_RSRC2:TGID_Z_EN: 0
; COMPUTE_PGM_RSRC2:TIDIG_COMP_CNT: 0
; COMPUTE_PGM_RSRC3_GFX90A:ACCUM_OFFSET: 11
; COMPUTE_PGM_RSRC3_GFX90A:TG_SPLIT: 0
	.section	.text._ZN9rocsparseL18bsrxmvn_3x3_kernelILj256ELj16E21rocsparse_complex_numIfElifS2_S2_EEvT3_20rocsparse_direction_NS_24const_host_device_scalarIT1_EES3_PKS3_PKT2_SC_S9_PKT4_PKT5_S7_PT6_21rocsparse_index_base_b,"axG",@progbits,_ZN9rocsparseL18bsrxmvn_3x3_kernelILj256ELj16E21rocsparse_complex_numIfElifS2_S2_EEvT3_20rocsparse_direction_NS_24const_host_device_scalarIT1_EES3_PKS3_PKT2_SC_S9_PKT4_PKT5_S7_PT6_21rocsparse_index_base_b,comdat
	.globl	_ZN9rocsparseL18bsrxmvn_3x3_kernelILj256ELj16E21rocsparse_complex_numIfElifS2_S2_EEvT3_20rocsparse_direction_NS_24const_host_device_scalarIT1_EES3_PKS3_PKT2_SC_S9_PKT4_PKT5_S7_PT6_21rocsparse_index_base_b ; -- Begin function _ZN9rocsparseL18bsrxmvn_3x3_kernelILj256ELj16E21rocsparse_complex_numIfElifS2_S2_EEvT3_20rocsparse_direction_NS_24const_host_device_scalarIT1_EES3_PKS3_PKT2_SC_S9_PKT4_PKT5_S7_PT6_21rocsparse_index_base_b
	.p2align	8
	.type	_ZN9rocsparseL18bsrxmvn_3x3_kernelILj256ELj16E21rocsparse_complex_numIfElifS2_S2_EEvT3_20rocsparse_direction_NS_24const_host_device_scalarIT1_EES3_PKS3_PKT2_SC_S9_PKT4_PKT5_S7_PT6_21rocsparse_index_base_b,@function
_ZN9rocsparseL18bsrxmvn_3x3_kernelILj256ELj16E21rocsparse_complex_numIfElifS2_S2_EEvT3_20rocsparse_direction_NS_24const_host_device_scalarIT1_EES3_PKS3_PKT2_SC_S9_PKT4_PKT5_S7_PT6_21rocsparse_index_base_b: ; @_ZN9rocsparseL18bsrxmvn_3x3_kernelILj256ELj16E21rocsparse_complex_numIfElifS2_S2_EEvT3_20rocsparse_direction_NS_24const_host_device_scalarIT1_EES3_PKS3_PKT2_SC_S9_PKT4_PKT5_S7_PT6_21rocsparse_index_base_b
; %bb.0:
	s_load_dwordx2 s[12:13], s[0:1], 0x58
	s_load_dwordx2 s[8:9], s[0:1], 0x8
	;; [unrolled: 1-line block ×3, first 2 shown]
	s_waitcnt lgkmcnt(0)
	s_bitcmp1_b32 s13, 0
	s_cselect_b64 s[4:5], -1, 0
	s_xor_b64 s[10:11], s[4:5], -1
	s_and_b64 vcc, exec, s[4:5]
	v_mov_b32_e32 v2, s8
	s_cbranch_vccnz .LBB127_2
; %bb.1:
	v_mov_b64_e32 v[2:3], s[8:9]
	flat_load_dword v2, v[2:3]
.LBB127_2:
	v_cndmask_b32_e64 v1, 0, 1, s[10:11]
	v_cmp_ne_u32_e64 s[4:5], 1, v1
	s_andn2_b64 vcc, exec, s[10:11]
	v_mov_b32_e32 v3, s9
	s_cbranch_vccz .LBB127_15
; %bb.3:
	s_and_b64 vcc, exec, s[4:5]
	v_mov_b32_e32 v4, s6
	s_cbranch_vccz .LBB127_16
.LBB127_4:
	s_and_b64 vcc, exec, s[4:5]
	v_mov_b32_e32 v5, s7
	s_cbranch_vccnz .LBB127_6
.LBB127_5:
	v_mov_b64_e32 v[6:7], s[6:7]
	flat_load_dword v5, v[6:7] offset:4
.LBB127_6:
	s_waitcnt vmcnt(0) lgkmcnt(0)
	v_and_b32_e32 v1, 0x7fffffff, v2
	v_cmp_eq_u32_e32 vcc, 0, v1
	v_cmp_eq_f32_e64 s[4:5], 0, v3
	s_and_b64 s[8:9], vcc, s[4:5]
	s_mov_b64 s[4:5], -1
	s_and_saveexec_b64 s[6:7], s[8:9]
; %bb.7:
	v_and_b32_e32 v1, 0x7fffffff, v5
	v_cmp_neq_f32_e32 vcc, 1.0, v4
	v_cmp_ne_u32_e64 s[4:5], 0, v1
	s_or_b64 s[4:5], vcc, s[4:5]
	s_orn2_b64 s[4:5], s[4:5], exec
; %bb.8:
	s_or_b64 exec, exec, s[6:7]
	s_and_saveexec_b64 s[6:7], s[4:5]
	s_cbranch_execz .LBB127_14
; %bb.9:
	s_load_dwordx2 s[4:5], s[0:1], 0x18
	s_load_dwordx2 s[14:15], s[0:1], 0x0
	v_lshrrev_b32_e32 v1, 4, v0
	v_lshl_or_b32 v6, s2, 4, v1
	s_mov_b64 s[2:3], 0
	s_waitcnt lgkmcnt(0)
	s_cmp_lg_u64 s[4:5], 0
	s_cbranch_scc0 .LBB127_17
; %bb.10:
	s_load_dword s6, s[0:1], 0x10
                                        ; implicit-def: $vgpr1
	s_waitcnt lgkmcnt(0)
	v_cmp_gt_i32_e32 vcc, s6, v6
	s_and_saveexec_b64 s[6:7], vcc
	s_xor_b64 s[6:7], exec, s[6:7]
	s_cbranch_execz .LBB127_12
; %bb.11:
	v_ashrrev_i32_e32 v7, 31, v6
	v_lshl_add_u64 v[8:9], v[6:7], 2, s[4:5]
	global_load_dword v1, v[8:9], off
	s_mov_b64 s[2:3], exec
	s_waitcnt vmcnt(0)
	v_subrev_u32_e32 v1, s12, v1
.LBB127_12:
	s_or_b64 exec, exec, s[6:7]
	s_branch .LBB127_18
.LBB127_13:
	v_cmp_gt_i32_e32 vcc, s14, v6
	s_andn2_b64 s[2:3], s[2:3], exec
	s_and_b64 s[4:5], vcc, exec
	s_or_b64 s[2:3], s[2:3], s[4:5]
	s_and_b64 exec, exec, s[2:3]
	s_cbranch_execnz .LBB127_19
.LBB127_14:
	s_endpgm
.LBB127_15:
	v_mov_b64_e32 v[4:5], s[8:9]
	flat_load_dword v3, v[4:5] offset:4
	s_and_b64 vcc, exec, s[4:5]
	v_mov_b32_e32 v4, s6
	s_cbranch_vccnz .LBB127_4
.LBB127_16:
	v_mov_b64_e32 v[4:5], s[6:7]
	flat_load_dword v4, v[4:5]
	s_and_b64 vcc, exec, s[4:5]
	v_mov_b32_e32 v5, s7
	s_cbranch_vccz .LBB127_5
	s_branch .LBB127_6
.LBB127_17:
                                        ; implicit-def: $vgpr1
	s_cbranch_execnz .LBB127_13
.LBB127_18:
	v_mov_b32_e32 v6, v1
	s_and_b64 exec, exec, s[2:3]
	s_cbranch_execz .LBB127_14
.LBB127_19:
	s_load_dwordx8 s[4:11], s[0:1], 0x20
	v_ashrrev_i32_e32 v7, 31, v6
	v_lshlrev_b64 v[8:9], 3, v[6:7]
	v_mov_b32_e32 v15, 0
	v_and_b32_e32 v0, 15, v0
	s_waitcnt lgkmcnt(0)
	v_lshl_add_u64 v[10:11], s[4:5], 0, v[8:9]
	global_load_dwordx2 v[12:13], v[10:11], off
	s_cmp_eq_u64 s[6:7], 0
	v_lshl_add_u64 v[8:9], s[6:7], 0, v[8:9]
	v_lshl_add_u64 v[10:11], v[10:11], 0, 8
	s_cselect_b64 vcc, -1, 0
	v_cndmask_b32_e32 v9, v9, v11, vcc
	v_cndmask_b32_e32 v8, v8, v10, vcc
	global_load_dwordx2 v[10:11], v[8:9], off
	v_mov_b32_e32 v1, v15
	s_load_dwordx2 s[4:5], s[0:1], 0x40
	s_cmp_eq_u32 s15, 1
	s_waitcnt vmcnt(1)
	v_subrev_co_u32_e32 v8, vcc, s12, v12
	s_nop 1
	v_subbrev_co_u32_e32 v9, vcc, 0, v13, vcc
	v_lshl_add_u64 v[8:9], v[8:9], 0, v[0:1]
	v_mad_u64_u32 v[12:13], s[2:3], v8, 36, s[10:11]
	s_waitcnt vmcnt(0)
	v_subrev_co_u32_e32 v10, vcc, s12, v10
	v_mov_b32_e32 v14, v13
	s_nop 0
	v_subbrev_co_u32_e32 v11, vcc, 0, v11, vcc
	v_mad_u64_u32 v[16:17], s[2:3], v9, 36, v[14:15]
	v_mov_b32_e32 v13, v16
	v_cmp_lt_i64_e64 s[2:3], v[8:9], v[10:11]
	s_cbranch_scc1 .LBB127_25
; %bb.20:
	v_mov_b32_e32 v14, 0
	v_mov_b32_e32 v19, 0
	;; [unrolled: 1-line block ×5, first 2 shown]
	s_and_saveexec_b64 s[6:7], s[2:3]
	s_cbranch_execz .LBB127_24
; %bb.21:
	v_mov_b32_e32 v23, 0
	v_lshl_add_u64 v[20:21], v[8:9], 2, s[8:9]
	s_mov_b64 s[10:11], 0
	s_mov_b64 s[14:15], 0x240
	v_bfrev_b32_e32 v24, 1
	v_mov_b64_e32 v[26:27], v[8:9]
	v_mov_b64_e32 v[28:29], v[12:13]
	v_mov_b32_e32 v16, v23
	v_mov_b32_e32 v17, v23
	;; [unrolled: 1-line block ×6, first 2 shown]
.LBB127_22:                             ; =>This Inner Loop Header: Depth=1
	global_load_dword v1, v[20:21], off
	global_load_dwordx4 v[30:33], v[28:29], off offset:16
	global_load_dwordx4 v[34:37], v[28:29], off
	v_mov_b32_e32 v47, v23
	v_lshl_add_u64 v[26:27], v[26:27], 0, 16
	v_cmp_ge_i64_e32 vcc, v[26:27], v[10:11]
	v_lshl_add_u64 v[20:21], v[20:21], 0, 64
	s_or_b64 s[10:11], vcc, s[10:11]
	s_waitcnt vmcnt(2)
	v_subrev_u32_e32 v1, s12, v1
	v_lshl_add_u32 v38, v1, 1, v1
	v_ashrrev_i32_e32 v39, 31, v38
	s_waitcnt lgkmcnt(0)
	v_lshl_add_u64 v[42:43], v[38:39], 3, s[4:5]
	global_load_dwordx4 v[38:41], v[42:43], off
	global_load_dwordx2 v[44:45], v[42:43], off offset:16
	global_load_dword v46, v[28:29], off offset:32
	s_waitcnt vmcnt(3)
	v_mov_b32_e32 v22, v34
	v_mov_b32_e32 v25, v34
	v_lshl_add_u64 v[28:29], v[28:29], 0, s[14:15]
	s_waitcnt vmcnt(2)
	v_pk_fma_f32 v[14:15], v[38:39], v[22:23], v[14:15] op_sel_hi:[0,1,1]
	v_mov_b32_e32 v22, v35
	v_pk_fma_f32 v[14:15], v[38:39], v[24:25], v[14:15] op_sel:[1,0,0]
	v_mov_b32_e32 v34, v41
	v_mov_b32_e32 v25, v35
	v_pk_fma_f32 v[14:15], v[40:41], v[22:23], v[14:15] op_sel_hi:[0,1,1]
	v_mov_b32_e32 v22, v36
	v_pk_fma_f32 v[14:15], v[34:35], v[24:25], v[14:15] op_sel_hi:[0,1,1]
	v_mov_b32_e32 v25, v36
	s_waitcnt vmcnt(1)
	v_pk_fma_f32 v[14:15], v[44:45], v[22:23], v[14:15] op_sel_hi:[0,1,1]
	v_mov_b32_e32 v22, v37
	v_pk_fma_f32 v[14:15], v[44:45], v[24:25], v[14:15] op_sel:[1,0,0]
	v_pk_fma_f32 v[18:19], v[38:39], v[22:23], v[18:19] op_sel_hi:[0,1,1]
	v_mov_b32_e32 v25, v37
	v_mov_b32_e32 v22, v30
	v_pk_fma_f32 v[18:19], v[38:39], v[24:25], v[18:19] op_sel:[1,0,0]
	v_mov_b32_e32 v25, v30
	v_pk_fma_f32 v[18:19], v[40:41], v[22:23], v[18:19] op_sel_hi:[0,1,1]
	v_mov_b32_e32 v22, v31
	v_pk_fma_f32 v[18:19], v[34:35], v[24:25], v[18:19] op_sel_hi:[0,1,1]
	;; [unrolled: 2-line block ×3, first 2 shown]
	v_mov_b32_e32 v22, v32
	v_pk_fma_f32 v[18:19], v[44:45], v[24:25], v[18:19] op_sel:[1,0,0]
	v_pk_fma_f32 v[16:17], v[38:39], v[22:23], v[16:17] op_sel_hi:[0,1,1]
	v_mov_b32_e32 v25, v32
	v_mov_b32_e32 v22, v33
	v_pk_fma_f32 v[16:17], v[38:39], v[24:25], v[16:17] op_sel:[1,0,0]
	v_mov_b32_e32 v25, v33
	v_pk_fma_f32 v[16:17], v[40:41], v[22:23], v[16:17] op_sel_hi:[0,1,1]
	v_pk_fma_f32 v[16:17], v[34:35], v[24:25], v[16:17] op_sel_hi:[0,1,1]
	s_waitcnt vmcnt(0)
	v_mov_b32_e32 v25, v46
	v_pk_fma_f32 v[16:17], v[44:45], v[46:47], v[16:17] op_sel_hi:[0,1,1]
	v_pk_fma_f32 v[16:17], v[44:45], v[24:25], v[16:17] op_sel:[1,0,0]
	s_andn2_b64 exec, exec, s[10:11]
	s_cbranch_execnz .LBB127_22
; %bb.23:
	s_or_b64 exec, exec, s[10:11]
.LBB127_24:
	s_or_b64 exec, exec, s[6:7]
	s_cbranch_execz .LBB127_26
	s_branch .LBB127_31
.LBB127_25:
                                        ; implicit-def: $vgpr15
                                        ; implicit-def: $vgpr19
                                        ; implicit-def: $vgpr17
.LBB127_26:
	v_mov_b32_e32 v15, 0
	v_mov_b32_e32 v14, v15
	;; [unrolled: 1-line block ×6, first 2 shown]
	s_and_saveexec_b64 s[6:7], s[2:3]
	s_cbranch_execz .LBB127_30
; %bb.27:
	v_mov_b32_e32 v23, 0
	v_lshl_add_u64 v[20:21], v[8:9], 2, s[8:9]
	s_mov_b64 s[2:3], 0
	s_mov_b64 s[8:9], 0x240
	v_bfrev_b32_e32 v24, 1
	v_mov_b32_e32 v16, v23
	v_mov_b32_e32 v17, v23
	;; [unrolled: 1-line block ×6, first 2 shown]
.LBB127_28:                             ; =>This Inner Loop Header: Depth=1
	global_load_dword v1, v[20:21], off
	global_load_dwordx4 v[26:29], v[12:13], off offset:16
	global_load_dwordx4 v[30:33], v[12:13], off
	v_mov_b32_e32 v43, v23
	v_lshl_add_u64 v[8:9], v[8:9], 0, 16
	v_cmp_ge_i64_e32 vcc, v[8:9], v[10:11]
	v_lshl_add_u64 v[20:21], v[20:21], 0, 64
	s_or_b64 s[2:3], vcc, s[2:3]
	s_waitcnt vmcnt(2)
	v_subrev_u32_e32 v1, s12, v1
	v_lshl_add_u32 v34, v1, 1, v1
	v_ashrrev_i32_e32 v35, 31, v34
	s_waitcnt lgkmcnt(0)
	v_lshl_add_u64 v[38:39], v[34:35], 3, s[4:5]
	global_load_dwordx4 v[34:37], v[38:39], off
	global_load_dwordx2 v[40:41], v[38:39], off offset:16
	global_load_dword v42, v[12:13], off offset:32
	s_waitcnt vmcnt(3)
	v_mov_b32_e32 v22, v30
	v_mov_b32_e32 v25, v30
	v_lshl_add_u64 v[12:13], v[12:13], 0, s[8:9]
	s_waitcnt vmcnt(2)
	v_pk_fma_f32 v[14:15], v[34:35], v[22:23], v[14:15] op_sel_hi:[0,1,1]
	v_mov_b32_e32 v22, v33
	v_pk_fma_f32 v[14:15], v[34:35], v[24:25], v[14:15] op_sel:[1,0,0]
	v_mov_b32_e32 v30, v37
	v_mov_b32_e32 v25, v33
	v_pk_fma_f32 v[14:15], v[36:37], v[22:23], v[14:15] op_sel_hi:[0,1,1]
	v_mov_b32_e32 v22, v28
	v_pk_fma_f32 v[14:15], v[30:31], v[24:25], v[14:15] op_sel_hi:[0,1,1]
	v_mov_b32_e32 v25, v28
	s_waitcnt vmcnt(1)
	v_pk_fma_f32 v[14:15], v[40:41], v[22:23], v[14:15] op_sel_hi:[0,1,1]
	v_mov_b32_e32 v22, v31
	v_pk_fma_f32 v[14:15], v[40:41], v[24:25], v[14:15] op_sel:[1,0,0]
	v_pk_fma_f32 v[18:19], v[34:35], v[22:23], v[18:19] op_sel_hi:[0,1,1]
	v_mov_b32_e32 v25, v31
	v_mov_b32_e32 v22, v26
	v_pk_fma_f32 v[18:19], v[34:35], v[24:25], v[18:19] op_sel:[1,0,0]
	v_mov_b32_e32 v25, v26
	v_pk_fma_f32 v[18:19], v[36:37], v[22:23], v[18:19] op_sel_hi:[0,1,1]
	v_mov_b32_e32 v22, v29
	v_pk_fma_f32 v[18:19], v[30:31], v[24:25], v[18:19] op_sel_hi:[0,1,1]
	v_mov_b32_e32 v33, v23
	v_mov_b32_e32 v25, v29
	v_pk_fma_f32 v[18:19], v[40:41], v[22:23], v[18:19] op_sel_hi:[0,1,1]
	v_pk_fma_f32 v[16:17], v[34:35], v[32:33], v[16:17] op_sel_hi:[0,1,1]
	v_pk_fma_f32 v[18:19], v[40:41], v[24:25], v[18:19] op_sel:[1,0,0]
	v_mov_b32_e32 v25, v32
	v_mov_b32_e32 v22, v27
	v_pk_fma_f32 v[16:17], v[34:35], v[24:25], v[16:17] op_sel:[1,0,0]
	v_mov_b32_e32 v25, v27
	v_pk_fma_f32 v[16:17], v[36:37], v[22:23], v[16:17] op_sel_hi:[0,1,1]
	v_pk_fma_f32 v[16:17], v[30:31], v[24:25], v[16:17] op_sel_hi:[0,1,1]
	s_waitcnt vmcnt(0)
	v_mov_b32_e32 v25, v42
	v_pk_fma_f32 v[16:17], v[40:41], v[42:43], v[16:17] op_sel_hi:[0,1,1]
	v_pk_fma_f32 v[16:17], v[40:41], v[24:25], v[16:17] op_sel:[1,0,0]
	s_andn2_b64 exec, exec, s[2:3]
	s_cbranch_execnz .LBB127_28
; %bb.29:
	s_or_b64 exec, exec, s[2:3]
.LBB127_30:
	s_or_b64 exec, exec, s[6:7]
.LBB127_31:
	v_mov_b32_dpp v12, v19 row_shr:1 row_mask:0xf bank_mask:0xf
	v_add_f32_e32 v12, v19, v12
	v_mov_b32_dpp v8, v15 row_shr:1 row_mask:0xf bank_mask:0xf
	v_add_f32_e32 v8, v15, v8
	;; [unrolled: 2-line block ×3, first 2 shown]
	v_mov_b32_dpp v1, v14 row_shr:1 row_mask:0xf bank_mask:0xf
	v_mov_b32_dpp v10, v18 row_shr:1 row_mask:0xf bank_mask:0xf
	;; [unrolled: 1-line block ×3, first 2 shown]
	v_add_f32_e32 v13, v12, v13
	v_mov_b32_dpp v12, v16 row_shr:1 row_mask:0xf bank_mask:0xf
	v_add_f32_e32 v12, v16, v12
	v_add_f32_e32 v1, v14, v1
	;; [unrolled: 1-line block ×3, first 2 shown]
	v_mov_b32_dpp v15, v12 row_shr:2 row_mask:0xf bank_mask:0xf
	v_add_f32_e32 v12, v12, v15
	v_mov_b32_dpp v7, v1 row_shr:2 row_mask:0xf bank_mask:0xf
	v_mov_b32_dpp v9, v8 row_shr:2 row_mask:0xf bank_mask:0xf
	v_mov_b32_dpp v15, v12 row_shr:4 row_mask:0xf bank_mask:0xe
	v_add_f32_e32 v15, v12, v15
	v_mov_b32_dpp v12, v17 row_shr:1 row_mask:0xf bank_mask:0xf
	v_add_f32_e32 v12, v17, v12
	v_mov_b32_dpp v11, v10 row_shr:2 row_mask:0xf bank_mask:0xf
	;; [unrolled: 2-line block ×3, first 2 shown]
	v_add_f32_e32 v8, v8, v9
	v_add_f32_e32 v10, v10, v11
	;; [unrolled: 1-line block ×3, first 2 shown]
	v_mov_b32_dpp v7, v1 row_shr:4 row_mask:0xf bank_mask:0xe
	v_mov_b32_dpp v9, v8 row_shr:4 row_mask:0xf bank_mask:0xe
	;; [unrolled: 1-line block ×4, first 2 shown]
	v_add_f32_e32 v1, v1, v7
	v_add_f32_e32 v8, v8, v9
	;; [unrolled: 1-line block ×4, first 2 shown]
	v_mov_b32_dpp v7, v1 row_shr:8 row_mask:0xf bank_mask:0xc
	v_mov_b32_dpp v9, v8 row_shr:8 row_mask:0xf bank_mask:0xc
	;; [unrolled: 1-line block ×6, first 2 shown]
	v_cmp_eq_u32_e32 vcc, 15, v0
	s_and_b64 exec, exec, vcc
	s_cbranch_execz .LBB127_14
; %bb.32:
	s_load_dwordx2 s[2:3], s[0:1], 0x50
	v_add_f32_e32 v12, v1, v7
	v_and_b32_e32 v1, 0x7fffffff, v4
	v_cmp_eq_u32_e32 vcc, 0, v1
	v_cmp_eq_f32_e64 s[0:1], 0, v5
	v_lshl_add_u32 v6, v6, 1, v6
	v_add_f32_e32 v16, v8, v9
	v_add_f32_e32 v10, v10, v11
	;; [unrolled: 1-line block ×5, first 2 shown]
	s_and_b64 s[0:1], vcc, s[0:1]
	v_ashrrev_i32_e32 v7, 31, v6
	s_waitcnt lgkmcnt(0)
	s_and_saveexec_b64 s[4:5], s[0:1]
	s_xor_b64 s[0:1], exec, s[4:5]
	s_cbranch_execz .LBB127_34
; %bb.33:
	v_xor_b32_e32 v18, 0x80000000, v3
	v_mov_b32_e32 v19, v2
	v_lshl_add_u64 v[20:21], v[6:7], 3, s[2:3]
	v_pk_mul_f32 v[4:5], v[16:17], v[18:19] op_sel_hi:[0,1]
	v_pk_mul_f32 v[6:7], v[14:15], v[18:19] op_sel_hi:[0,1]
	v_pk_fma_f32 v[4:5], v[2:3], v[12:13], v[4:5] op_sel_hi:[1,0,1]
	v_pk_fma_f32 v[6:7], v[2:3], v[10:11], v[6:7] op_sel_hi:[1,0,1]
	global_store_dwordx4 v[20:21], v[4:7], off
                                        ; implicit-def: $vgpr12
                                        ; implicit-def: $vgpr16
                                        ; implicit-def: $vgpr10
                                        ; implicit-def: $vgpr14
                                        ; implicit-def: $vgpr6
	s_nop 1
	v_pk_mul_f32 v[4:5], v[8:9], v[18:19] op_sel_hi:[0,1]
	v_pk_fma_f32 v[0:1], v[2:3], v[0:1], v[4:5] op_sel_hi:[1,0,1]
	global_store_dwordx2 v[20:21], v[0:1], off offset:16
                                        ; implicit-def: $vgpr3
                                        ; implicit-def: $vgpr4
                                        ; implicit-def: $vgpr0
                                        ; implicit-def: $vgpr8
.LBB127_34:
	s_andn2_saveexec_b64 s[0:1], s[0:1]
	s_cbranch_execz .LBB127_14
; %bb.35:
	v_lshl_add_u64 v[6:7], v[6:7], 3, s[2:3]
	global_load_dwordx4 v[18:21], v[6:7], off
	global_load_dwordx2 v[22:23], v[6:7], off offset:16
	v_xor_b32_e32 v24, 0x80000000, v3
	v_mov_b32_e32 v25, v2
	v_pk_mul_f32 v[16:17], v[16:17], v[24:25] op_sel_hi:[0,1]
	v_pk_mul_f32 v[14:15], v[14:15], v[24:25] op_sel_hi:[0,1]
	;; [unrolled: 1-line block ×3, first 2 shown]
	v_pk_fma_f32 v[12:13], v[2:3], v[12:13], v[16:17] op_sel_hi:[1,0,1]
	v_pk_fma_f32 v[10:11], v[2:3], v[10:11], v[14:15] op_sel_hi:[1,0,1]
	v_xor_b32_e32 v26, 0x80000000, v5
	v_mov_b32_e32 v27, v4
	v_pk_fma_f32 v[0:1], v[2:3], v[0:1], v[8:9] op_sel_hi:[1,0,1]
	s_waitcnt vmcnt(1)
	v_pk_fma_f32 v[2:3], v[4:5], v[18:19], v[12:13] op_sel_hi:[1,0,1]
	v_pk_fma_f32 v[8:9], v[4:5], v[20:21], v[10:11] op_sel_hi:[1,0,1]
	v_mov_b32_e32 v10, v21
	s_waitcnt vmcnt(0)
	v_pk_fma_f32 v[4:5], v[4:5], v[22:23], v[0:1] op_sel_hi:[1,0,1]
	v_pk_fma_f32 v[0:1], v[26:27], v[18:19], v[2:3] op_sel:[0,1,0]
	v_pk_fma_f32 v[2:3], v[26:27], v[10:11], v[8:9] op_sel_hi:[1,0,1]
	v_pk_fma_f32 v[4:5], v[26:27], v[22:23], v[4:5] op_sel:[0,1,0]
	global_store_dwordx4 v[6:7], v[0:3], off
	global_store_dwordx2 v[6:7], v[4:5], off offset:16
	s_endpgm
	.section	.rodata,"a",@progbits
	.p2align	6, 0x0
	.amdhsa_kernel _ZN9rocsparseL18bsrxmvn_3x3_kernelILj256ELj16E21rocsparse_complex_numIfElifS2_S2_EEvT3_20rocsparse_direction_NS_24const_host_device_scalarIT1_EES3_PKS3_PKT2_SC_S9_PKT4_PKT5_S7_PT6_21rocsparse_index_base_b
		.amdhsa_group_segment_fixed_size 0
		.amdhsa_private_segment_fixed_size 0
		.amdhsa_kernarg_size 96
		.amdhsa_user_sgpr_count 2
		.amdhsa_user_sgpr_dispatch_ptr 0
		.amdhsa_user_sgpr_queue_ptr 0
		.amdhsa_user_sgpr_kernarg_segment_ptr 1
		.amdhsa_user_sgpr_dispatch_id 0
		.amdhsa_user_sgpr_kernarg_preload_length 0
		.amdhsa_user_sgpr_kernarg_preload_offset 0
		.amdhsa_user_sgpr_private_segment_size 0
		.amdhsa_uses_dynamic_stack 0
		.amdhsa_enable_private_segment 0
		.amdhsa_system_sgpr_workgroup_id_x 1
		.amdhsa_system_sgpr_workgroup_id_y 0
		.amdhsa_system_sgpr_workgroup_id_z 0
		.amdhsa_system_sgpr_workgroup_info 0
		.amdhsa_system_vgpr_workitem_id 0
		.amdhsa_next_free_vgpr 48
		.amdhsa_next_free_sgpr 16
		.amdhsa_accum_offset 48
		.amdhsa_reserve_vcc 1
		.amdhsa_float_round_mode_32 0
		.amdhsa_float_round_mode_16_64 0
		.amdhsa_float_denorm_mode_32 3
		.amdhsa_float_denorm_mode_16_64 3
		.amdhsa_dx10_clamp 1
		.amdhsa_ieee_mode 1
		.amdhsa_fp16_overflow 0
		.amdhsa_tg_split 0
		.amdhsa_exception_fp_ieee_invalid_op 0
		.amdhsa_exception_fp_denorm_src 0
		.amdhsa_exception_fp_ieee_div_zero 0
		.amdhsa_exception_fp_ieee_overflow 0
		.amdhsa_exception_fp_ieee_underflow 0
		.amdhsa_exception_fp_ieee_inexact 0
		.amdhsa_exception_int_div_zero 0
	.end_amdhsa_kernel
	.section	.text._ZN9rocsparseL18bsrxmvn_3x3_kernelILj256ELj16E21rocsparse_complex_numIfElifS2_S2_EEvT3_20rocsparse_direction_NS_24const_host_device_scalarIT1_EES3_PKS3_PKT2_SC_S9_PKT4_PKT5_S7_PT6_21rocsparse_index_base_b,"axG",@progbits,_ZN9rocsparseL18bsrxmvn_3x3_kernelILj256ELj16E21rocsparse_complex_numIfElifS2_S2_EEvT3_20rocsparse_direction_NS_24const_host_device_scalarIT1_EES3_PKS3_PKT2_SC_S9_PKT4_PKT5_S7_PT6_21rocsparse_index_base_b,comdat
.Lfunc_end127:
	.size	_ZN9rocsparseL18bsrxmvn_3x3_kernelILj256ELj16E21rocsparse_complex_numIfElifS2_S2_EEvT3_20rocsparse_direction_NS_24const_host_device_scalarIT1_EES3_PKS3_PKT2_SC_S9_PKT4_PKT5_S7_PT6_21rocsparse_index_base_b, .Lfunc_end127-_ZN9rocsparseL18bsrxmvn_3x3_kernelILj256ELj16E21rocsparse_complex_numIfElifS2_S2_EEvT3_20rocsparse_direction_NS_24const_host_device_scalarIT1_EES3_PKS3_PKT2_SC_S9_PKT4_PKT5_S7_PT6_21rocsparse_index_base_b
                                        ; -- End function
	.section	.AMDGPU.csdata,"",@progbits
; Kernel info:
; codeLenInByte = 2132
; NumSgprs: 22
; NumVgprs: 48
; NumAgprs: 0
; TotalNumVgprs: 48
; ScratchSize: 0
; MemoryBound: 0
; FloatMode: 240
; IeeeMode: 1
; LDSByteSize: 0 bytes/workgroup (compile time only)
; SGPRBlocks: 2
; VGPRBlocks: 5
; NumSGPRsForWavesPerEU: 22
; NumVGPRsForWavesPerEU: 48
; AccumOffset: 48
; Occupancy: 8
; WaveLimiterHint : 1
; COMPUTE_PGM_RSRC2:SCRATCH_EN: 0
; COMPUTE_PGM_RSRC2:USER_SGPR: 2
; COMPUTE_PGM_RSRC2:TRAP_HANDLER: 0
; COMPUTE_PGM_RSRC2:TGID_X_EN: 1
; COMPUTE_PGM_RSRC2:TGID_Y_EN: 0
; COMPUTE_PGM_RSRC2:TGID_Z_EN: 0
; COMPUTE_PGM_RSRC2:TIDIG_COMP_CNT: 0
; COMPUTE_PGM_RSRC3_GFX90A:ACCUM_OFFSET: 11
; COMPUTE_PGM_RSRC3_GFX90A:TG_SPLIT: 0
	.section	.text._ZN9rocsparseL18bsrxmvn_3x3_kernelILj256ELj32E21rocsparse_complex_numIfElifS2_S2_EEvT3_20rocsparse_direction_NS_24const_host_device_scalarIT1_EES3_PKS3_PKT2_SC_S9_PKT4_PKT5_S7_PT6_21rocsparse_index_base_b,"axG",@progbits,_ZN9rocsparseL18bsrxmvn_3x3_kernelILj256ELj32E21rocsparse_complex_numIfElifS2_S2_EEvT3_20rocsparse_direction_NS_24const_host_device_scalarIT1_EES3_PKS3_PKT2_SC_S9_PKT4_PKT5_S7_PT6_21rocsparse_index_base_b,comdat
	.globl	_ZN9rocsparseL18bsrxmvn_3x3_kernelILj256ELj32E21rocsparse_complex_numIfElifS2_S2_EEvT3_20rocsparse_direction_NS_24const_host_device_scalarIT1_EES3_PKS3_PKT2_SC_S9_PKT4_PKT5_S7_PT6_21rocsparse_index_base_b ; -- Begin function _ZN9rocsparseL18bsrxmvn_3x3_kernelILj256ELj32E21rocsparse_complex_numIfElifS2_S2_EEvT3_20rocsparse_direction_NS_24const_host_device_scalarIT1_EES3_PKS3_PKT2_SC_S9_PKT4_PKT5_S7_PT6_21rocsparse_index_base_b
	.p2align	8
	.type	_ZN9rocsparseL18bsrxmvn_3x3_kernelILj256ELj32E21rocsparse_complex_numIfElifS2_S2_EEvT3_20rocsparse_direction_NS_24const_host_device_scalarIT1_EES3_PKS3_PKT2_SC_S9_PKT4_PKT5_S7_PT6_21rocsparse_index_base_b,@function
_ZN9rocsparseL18bsrxmvn_3x3_kernelILj256ELj32E21rocsparse_complex_numIfElifS2_S2_EEvT3_20rocsparse_direction_NS_24const_host_device_scalarIT1_EES3_PKS3_PKT2_SC_S9_PKT4_PKT5_S7_PT6_21rocsparse_index_base_b: ; @_ZN9rocsparseL18bsrxmvn_3x3_kernelILj256ELj32E21rocsparse_complex_numIfElifS2_S2_EEvT3_20rocsparse_direction_NS_24const_host_device_scalarIT1_EES3_PKS3_PKT2_SC_S9_PKT4_PKT5_S7_PT6_21rocsparse_index_base_b
; %bb.0:
	s_load_dwordx2 s[12:13], s[0:1], 0x58
	s_load_dwordx2 s[8:9], s[0:1], 0x8
	;; [unrolled: 1-line block ×3, first 2 shown]
	s_waitcnt lgkmcnt(0)
	s_bitcmp1_b32 s13, 0
	s_cselect_b64 s[4:5], -1, 0
	s_xor_b64 s[10:11], s[4:5], -1
	s_and_b64 vcc, exec, s[4:5]
	v_mov_b32_e32 v2, s8
	s_cbranch_vccnz .LBB128_2
; %bb.1:
	v_mov_b64_e32 v[2:3], s[8:9]
	flat_load_dword v2, v[2:3]
.LBB128_2:
	v_cndmask_b32_e64 v1, 0, 1, s[10:11]
	v_cmp_ne_u32_e64 s[4:5], 1, v1
	s_andn2_b64 vcc, exec, s[10:11]
	v_mov_b32_e32 v3, s9
	s_cbranch_vccz .LBB128_15
; %bb.3:
	s_and_b64 vcc, exec, s[4:5]
	v_mov_b32_e32 v4, s6
	s_cbranch_vccz .LBB128_16
.LBB128_4:
	s_and_b64 vcc, exec, s[4:5]
	v_mov_b32_e32 v5, s7
	s_cbranch_vccnz .LBB128_6
.LBB128_5:
	v_mov_b64_e32 v[6:7], s[6:7]
	flat_load_dword v5, v[6:7] offset:4
.LBB128_6:
	s_waitcnt vmcnt(0) lgkmcnt(0)
	v_and_b32_e32 v1, 0x7fffffff, v2
	v_cmp_eq_u32_e32 vcc, 0, v1
	v_cmp_eq_f32_e64 s[4:5], 0, v3
	s_and_b64 s[8:9], vcc, s[4:5]
	s_mov_b64 s[4:5], -1
	s_and_saveexec_b64 s[6:7], s[8:9]
; %bb.7:
	v_and_b32_e32 v1, 0x7fffffff, v5
	v_cmp_neq_f32_e32 vcc, 1.0, v4
	v_cmp_ne_u32_e64 s[4:5], 0, v1
	s_or_b64 s[4:5], vcc, s[4:5]
	s_orn2_b64 s[4:5], s[4:5], exec
; %bb.8:
	s_or_b64 exec, exec, s[6:7]
	s_and_saveexec_b64 s[6:7], s[4:5]
	s_cbranch_execz .LBB128_14
; %bb.9:
	s_load_dwordx2 s[4:5], s[0:1], 0x18
	s_load_dwordx2 s[14:15], s[0:1], 0x0
	v_lshrrev_b32_e32 v1, 5, v0
	v_lshl_or_b32 v6, s2, 3, v1
	s_mov_b64 s[2:3], 0
	s_waitcnt lgkmcnt(0)
	s_cmp_lg_u64 s[4:5], 0
	s_cbranch_scc0 .LBB128_17
; %bb.10:
	s_load_dword s6, s[0:1], 0x10
                                        ; implicit-def: $vgpr1
	s_waitcnt lgkmcnt(0)
	v_cmp_gt_i32_e32 vcc, s6, v6
	s_and_saveexec_b64 s[6:7], vcc
	s_xor_b64 s[6:7], exec, s[6:7]
	s_cbranch_execz .LBB128_12
; %bb.11:
	v_ashrrev_i32_e32 v7, 31, v6
	v_lshl_add_u64 v[8:9], v[6:7], 2, s[4:5]
	global_load_dword v1, v[8:9], off
	s_mov_b64 s[2:3], exec
	s_waitcnt vmcnt(0)
	v_subrev_u32_e32 v1, s12, v1
.LBB128_12:
	s_or_b64 exec, exec, s[6:7]
	s_branch .LBB128_18
.LBB128_13:
	v_cmp_gt_i32_e32 vcc, s14, v6
	s_andn2_b64 s[2:3], s[2:3], exec
	s_and_b64 s[4:5], vcc, exec
	s_or_b64 s[2:3], s[2:3], s[4:5]
	s_and_b64 exec, exec, s[2:3]
	s_cbranch_execnz .LBB128_19
.LBB128_14:
	s_endpgm
.LBB128_15:
	v_mov_b64_e32 v[4:5], s[8:9]
	flat_load_dword v3, v[4:5] offset:4
	s_and_b64 vcc, exec, s[4:5]
	v_mov_b32_e32 v4, s6
	s_cbranch_vccnz .LBB128_4
.LBB128_16:
	v_mov_b64_e32 v[4:5], s[6:7]
	flat_load_dword v4, v[4:5]
	s_and_b64 vcc, exec, s[4:5]
	v_mov_b32_e32 v5, s7
	s_cbranch_vccz .LBB128_5
	s_branch .LBB128_6
.LBB128_17:
                                        ; implicit-def: $vgpr1
	s_cbranch_execnz .LBB128_13
.LBB128_18:
	v_mov_b32_e32 v6, v1
	s_and_b64 exec, exec, s[2:3]
	s_cbranch_execz .LBB128_14
.LBB128_19:
	s_load_dwordx8 s[4:11], s[0:1], 0x20
	v_ashrrev_i32_e32 v7, 31, v6
	v_lshlrev_b64 v[8:9], 3, v[6:7]
	v_mov_b32_e32 v15, 0
	v_and_b32_e32 v0, 31, v0
	s_waitcnt lgkmcnt(0)
	v_lshl_add_u64 v[10:11], s[4:5], 0, v[8:9]
	global_load_dwordx2 v[12:13], v[10:11], off
	s_cmp_eq_u64 s[6:7], 0
	v_lshl_add_u64 v[8:9], s[6:7], 0, v[8:9]
	v_lshl_add_u64 v[10:11], v[10:11], 0, 8
	s_cselect_b64 vcc, -1, 0
	v_cndmask_b32_e32 v9, v9, v11, vcc
	v_cndmask_b32_e32 v8, v8, v10, vcc
	global_load_dwordx2 v[10:11], v[8:9], off
	v_mov_b32_e32 v1, v15
	s_load_dwordx2 s[4:5], s[0:1], 0x40
	s_cmp_eq_u32 s15, 1
	s_waitcnt vmcnt(1)
	v_subrev_co_u32_e32 v8, vcc, s12, v12
	s_nop 1
	v_subbrev_co_u32_e32 v9, vcc, 0, v13, vcc
	v_lshl_add_u64 v[8:9], v[8:9], 0, v[0:1]
	v_mad_u64_u32 v[12:13], s[2:3], v8, 36, s[10:11]
	s_waitcnt vmcnt(0)
	v_subrev_co_u32_e32 v10, vcc, s12, v10
	v_mov_b32_e32 v14, v13
	s_nop 0
	v_subbrev_co_u32_e32 v11, vcc, 0, v11, vcc
	v_mad_u64_u32 v[16:17], s[2:3], v9, 36, v[14:15]
	v_mov_b32_e32 v13, v16
	v_cmp_lt_i64_e64 s[2:3], v[8:9], v[10:11]
	s_cbranch_scc1 .LBB128_25
; %bb.20:
	v_mov_b32_e32 v14, 0
	v_mov_b32_e32 v19, 0
	v_mov_b32_e32 v18, 0
	v_mov_b32_e32 v17, 0
	v_mov_b32_e32 v16, 0
	s_and_saveexec_b64 s[6:7], s[2:3]
	s_cbranch_execz .LBB128_24
; %bb.21:
	v_mov_b32_e32 v23, 0
	v_lshl_add_u64 v[20:21], v[8:9], 2, s[8:9]
	s_mov_b64 s[10:11], 0
	s_mov_b64 s[14:15], 0x80
	s_mov_b64 s[16:17], 0x480
	v_bfrev_b32_e32 v24, 1
	v_mov_b64_e32 v[26:27], v[8:9]
	v_mov_b64_e32 v[28:29], v[12:13]
	v_mov_b32_e32 v16, v23
	v_mov_b32_e32 v17, v23
	;; [unrolled: 1-line block ×6, first 2 shown]
.LBB128_22:                             ; =>This Inner Loop Header: Depth=1
	global_load_dword v1, v[20:21], off
	global_load_dwordx4 v[30:33], v[28:29], off offset:16
	global_load_dwordx4 v[34:37], v[28:29], off
	v_mov_b32_e32 v47, v23
	v_lshl_add_u64 v[26:27], v[26:27], 0, 32
	v_cmp_ge_i64_e32 vcc, v[26:27], v[10:11]
	v_lshl_add_u64 v[20:21], v[20:21], 0, s[14:15]
	s_or_b64 s[10:11], vcc, s[10:11]
	s_waitcnt vmcnt(2)
	v_subrev_u32_e32 v1, s12, v1
	v_lshl_add_u32 v38, v1, 1, v1
	v_ashrrev_i32_e32 v39, 31, v38
	s_waitcnt lgkmcnt(0)
	v_lshl_add_u64 v[42:43], v[38:39], 3, s[4:5]
	global_load_dwordx4 v[38:41], v[42:43], off
	global_load_dwordx2 v[44:45], v[42:43], off offset:16
	global_load_dword v46, v[28:29], off offset:32
	s_waitcnt vmcnt(3)
	v_mov_b32_e32 v22, v34
	v_mov_b32_e32 v25, v34
	v_lshl_add_u64 v[28:29], v[28:29], 0, s[16:17]
	s_waitcnt vmcnt(2)
	v_pk_fma_f32 v[14:15], v[38:39], v[22:23], v[14:15] op_sel_hi:[0,1,1]
	v_mov_b32_e32 v22, v35
	v_pk_fma_f32 v[14:15], v[38:39], v[24:25], v[14:15] op_sel:[1,0,0]
	v_mov_b32_e32 v34, v41
	v_mov_b32_e32 v25, v35
	v_pk_fma_f32 v[14:15], v[40:41], v[22:23], v[14:15] op_sel_hi:[0,1,1]
	v_mov_b32_e32 v22, v36
	v_pk_fma_f32 v[14:15], v[34:35], v[24:25], v[14:15] op_sel_hi:[0,1,1]
	v_mov_b32_e32 v25, v36
	s_waitcnt vmcnt(1)
	v_pk_fma_f32 v[14:15], v[44:45], v[22:23], v[14:15] op_sel_hi:[0,1,1]
	v_mov_b32_e32 v22, v37
	v_pk_fma_f32 v[14:15], v[44:45], v[24:25], v[14:15] op_sel:[1,0,0]
	v_pk_fma_f32 v[18:19], v[38:39], v[22:23], v[18:19] op_sel_hi:[0,1,1]
	v_mov_b32_e32 v25, v37
	v_mov_b32_e32 v22, v30
	v_pk_fma_f32 v[18:19], v[38:39], v[24:25], v[18:19] op_sel:[1,0,0]
	v_mov_b32_e32 v25, v30
	v_pk_fma_f32 v[18:19], v[40:41], v[22:23], v[18:19] op_sel_hi:[0,1,1]
	v_mov_b32_e32 v22, v31
	v_pk_fma_f32 v[18:19], v[34:35], v[24:25], v[18:19] op_sel_hi:[0,1,1]
	;; [unrolled: 2-line block ×3, first 2 shown]
	v_mov_b32_e32 v22, v32
	v_pk_fma_f32 v[18:19], v[44:45], v[24:25], v[18:19] op_sel:[1,0,0]
	v_pk_fma_f32 v[16:17], v[38:39], v[22:23], v[16:17] op_sel_hi:[0,1,1]
	v_mov_b32_e32 v25, v32
	v_mov_b32_e32 v22, v33
	v_pk_fma_f32 v[16:17], v[38:39], v[24:25], v[16:17] op_sel:[1,0,0]
	v_mov_b32_e32 v25, v33
	v_pk_fma_f32 v[16:17], v[40:41], v[22:23], v[16:17] op_sel_hi:[0,1,1]
	v_pk_fma_f32 v[16:17], v[34:35], v[24:25], v[16:17] op_sel_hi:[0,1,1]
	s_waitcnt vmcnt(0)
	v_mov_b32_e32 v25, v46
	v_pk_fma_f32 v[16:17], v[44:45], v[46:47], v[16:17] op_sel_hi:[0,1,1]
	v_pk_fma_f32 v[16:17], v[44:45], v[24:25], v[16:17] op_sel:[1,0,0]
	s_andn2_b64 exec, exec, s[10:11]
	s_cbranch_execnz .LBB128_22
; %bb.23:
	s_or_b64 exec, exec, s[10:11]
.LBB128_24:
	s_or_b64 exec, exec, s[6:7]
	s_cbranch_execz .LBB128_26
	s_branch .LBB128_31
.LBB128_25:
                                        ; implicit-def: $vgpr15
                                        ; implicit-def: $vgpr19
                                        ; implicit-def: $vgpr17
.LBB128_26:
	v_mov_b32_e32 v15, 0
	v_mov_b32_e32 v14, v15
	;; [unrolled: 1-line block ×6, first 2 shown]
	s_and_saveexec_b64 s[6:7], s[2:3]
	s_cbranch_execz .LBB128_30
; %bb.27:
	v_mov_b32_e32 v23, 0
	v_lshl_add_u64 v[20:21], v[8:9], 2, s[8:9]
	s_mov_b64 s[2:3], 0
	s_mov_b64 s[8:9], 0x80
	;; [unrolled: 1-line block ×3, first 2 shown]
	v_bfrev_b32_e32 v24, 1
	v_mov_b32_e32 v16, v23
	v_mov_b32_e32 v17, v23
	;; [unrolled: 1-line block ×6, first 2 shown]
.LBB128_28:                             ; =>This Inner Loop Header: Depth=1
	global_load_dword v1, v[20:21], off
	global_load_dwordx4 v[26:29], v[12:13], off offset:16
	global_load_dwordx4 v[30:33], v[12:13], off
	v_mov_b32_e32 v43, v23
	v_lshl_add_u64 v[8:9], v[8:9], 0, 32
	v_cmp_ge_i64_e32 vcc, v[8:9], v[10:11]
	v_lshl_add_u64 v[20:21], v[20:21], 0, s[8:9]
	s_or_b64 s[2:3], vcc, s[2:3]
	s_waitcnt vmcnt(2)
	v_subrev_u32_e32 v1, s12, v1
	v_lshl_add_u32 v34, v1, 1, v1
	v_ashrrev_i32_e32 v35, 31, v34
	s_waitcnt lgkmcnt(0)
	v_lshl_add_u64 v[38:39], v[34:35], 3, s[4:5]
	global_load_dwordx4 v[34:37], v[38:39], off
	global_load_dwordx2 v[40:41], v[38:39], off offset:16
	global_load_dword v42, v[12:13], off offset:32
	s_waitcnt vmcnt(3)
	v_mov_b32_e32 v22, v30
	v_mov_b32_e32 v25, v30
	v_lshl_add_u64 v[12:13], v[12:13], 0, s[10:11]
	s_waitcnt vmcnt(2)
	v_pk_fma_f32 v[14:15], v[34:35], v[22:23], v[14:15] op_sel_hi:[0,1,1]
	v_mov_b32_e32 v22, v33
	v_pk_fma_f32 v[14:15], v[34:35], v[24:25], v[14:15] op_sel:[1,0,0]
	v_mov_b32_e32 v30, v37
	v_mov_b32_e32 v25, v33
	v_pk_fma_f32 v[14:15], v[36:37], v[22:23], v[14:15] op_sel_hi:[0,1,1]
	v_mov_b32_e32 v22, v28
	v_pk_fma_f32 v[14:15], v[30:31], v[24:25], v[14:15] op_sel_hi:[0,1,1]
	v_mov_b32_e32 v25, v28
	s_waitcnt vmcnt(1)
	v_pk_fma_f32 v[14:15], v[40:41], v[22:23], v[14:15] op_sel_hi:[0,1,1]
	v_mov_b32_e32 v22, v31
	v_pk_fma_f32 v[14:15], v[40:41], v[24:25], v[14:15] op_sel:[1,0,0]
	v_pk_fma_f32 v[18:19], v[34:35], v[22:23], v[18:19] op_sel_hi:[0,1,1]
	v_mov_b32_e32 v25, v31
	v_mov_b32_e32 v22, v26
	v_pk_fma_f32 v[18:19], v[34:35], v[24:25], v[18:19] op_sel:[1,0,0]
	v_mov_b32_e32 v25, v26
	v_pk_fma_f32 v[18:19], v[36:37], v[22:23], v[18:19] op_sel_hi:[0,1,1]
	v_mov_b32_e32 v22, v29
	v_pk_fma_f32 v[18:19], v[30:31], v[24:25], v[18:19] op_sel_hi:[0,1,1]
	v_mov_b32_e32 v33, v23
	v_mov_b32_e32 v25, v29
	v_pk_fma_f32 v[18:19], v[40:41], v[22:23], v[18:19] op_sel_hi:[0,1,1]
	v_pk_fma_f32 v[16:17], v[34:35], v[32:33], v[16:17] op_sel_hi:[0,1,1]
	v_pk_fma_f32 v[18:19], v[40:41], v[24:25], v[18:19] op_sel:[1,0,0]
	v_mov_b32_e32 v25, v32
	v_mov_b32_e32 v22, v27
	v_pk_fma_f32 v[16:17], v[34:35], v[24:25], v[16:17] op_sel:[1,0,0]
	v_mov_b32_e32 v25, v27
	v_pk_fma_f32 v[16:17], v[36:37], v[22:23], v[16:17] op_sel_hi:[0,1,1]
	v_pk_fma_f32 v[16:17], v[30:31], v[24:25], v[16:17] op_sel_hi:[0,1,1]
	s_waitcnt vmcnt(0)
	v_mov_b32_e32 v25, v42
	v_pk_fma_f32 v[16:17], v[40:41], v[42:43], v[16:17] op_sel_hi:[0,1,1]
	v_pk_fma_f32 v[16:17], v[40:41], v[24:25], v[16:17] op_sel:[1,0,0]
	s_andn2_b64 exec, exec, s[2:3]
	s_cbranch_execnz .LBB128_28
; %bb.29:
	s_or_b64 exec, exec, s[2:3]
.LBB128_30:
	s_or_b64 exec, exec, s[6:7]
.LBB128_31:
	v_mov_b32_dpp v12, v19 row_shr:1 row_mask:0xf bank_mask:0xf
	v_add_f32_e32 v12, v19, v12
	v_mov_b32_dpp v8, v15 row_shr:1 row_mask:0xf bank_mask:0xf
	v_add_f32_e32 v8, v15, v8
	;; [unrolled: 2-line block ×3, first 2 shown]
	v_mov_b32_dpp v1, v14 row_shr:1 row_mask:0xf bank_mask:0xf
	v_mov_b32_dpp v10, v18 row_shr:1 row_mask:0xf bank_mask:0xf
	;; [unrolled: 1-line block ×3, first 2 shown]
	v_add_f32_e32 v12, v12, v13
	v_add_f32_e32 v1, v14, v1
	;; [unrolled: 1-line block ×3, first 2 shown]
	v_mov_b32_dpp v13, v12 row_shr:8 row_mask:0xf bank_mask:0xc
	v_add_f32_e32 v13, v12, v13
	v_mov_b32_dpp v12, v16 row_shr:1 row_mask:0xf bank_mask:0xf
	v_add_f32_e32 v12, v16, v12
	v_mov_b32_dpp v7, v1 row_shr:2 row_mask:0xf bank_mask:0xf
	v_mov_b32_dpp v9, v8 row_shr:2 row_mask:0xf bank_mask:0xf
	;; [unrolled: 1-line block ×3, first 2 shown]
	v_add_f32_e32 v12, v12, v15
	v_mov_b32_dpp v11, v10 row_shr:2 row_mask:0xf bank_mask:0xf
	v_add_f32_e32 v1, v1, v7
	v_mov_b32_dpp v15, v12 row_shr:4 row_mask:0xf bank_mask:0xe
	v_add_f32_e32 v12, v12, v15
	v_add_f32_e32 v8, v8, v9
	;; [unrolled: 1-line block ×3, first 2 shown]
	v_mov_b32_dpp v15, v12 row_shr:8 row_mask:0xf bank_mask:0xc
	v_add_f32_e32 v15, v12, v15
	v_mov_b32_dpp v12, v17 row_shr:1 row_mask:0xf bank_mask:0xf
	v_add_f32_e32 v12, v17, v12
	v_mov_b32_dpp v7, v1 row_shr:4 row_mask:0xf bank_mask:0xe
	v_mov_b32_dpp v9, v8 row_shr:4 row_mask:0xf bank_mask:0xe
	;; [unrolled: 1-line block ×3, first 2 shown]
	v_add_f32_e32 v12, v12, v16
	v_mov_b32_dpp v11, v10 row_shr:4 row_mask:0xf bank_mask:0xe
	v_add_f32_e32 v1, v1, v7
	v_mov_b32_dpp v16, v12 row_shr:4 row_mask:0xf bank_mask:0xe
	v_add_f32_e32 v8, v8, v9
	v_add_f32_e32 v10, v10, v11
	;; [unrolled: 1-line block ×3, first 2 shown]
	v_mov_b32_dpp v7, v1 row_shr:8 row_mask:0xf bank_mask:0xc
	v_mov_b32_dpp v9, v8 row_shr:8 row_mask:0xf bank_mask:0xc
	;; [unrolled: 1-line block ×4, first 2 shown]
	v_add_f32_e32 v1, v1, v7
	v_add_f32_e32 v8, v8, v9
	;; [unrolled: 1-line block ×4, first 2 shown]
	v_mov_b32_dpp v7, v1 row_bcast:15 row_mask:0xa bank_mask:0xf
	v_mov_b32_dpp v9, v8 row_bcast:15 row_mask:0xa bank_mask:0xf
	v_mov_b32_dpp v11, v10 row_bcast:15 row_mask:0xa bank_mask:0xf
	v_mov_b32_dpp v14, v13 row_bcast:15 row_mask:0xa bank_mask:0xf
	v_mov_b32_dpp v18, v15 row_bcast:15 row_mask:0xa bank_mask:0xf
	v_mov_b32_dpp v19, v17 row_bcast:15 row_mask:0xa bank_mask:0xf
	v_cmp_eq_u32_e32 vcc, 31, v0
	s_and_b64 exec, exec, vcc
	s_cbranch_execz .LBB128_14
; %bb.32:
	s_load_dwordx2 s[2:3], s[0:1], 0x50
	v_add_f32_e32 v12, v1, v7
	v_and_b32_e32 v1, 0x7fffffff, v4
	v_cmp_eq_u32_e32 vcc, 0, v1
	v_cmp_eq_f32_e64 s[0:1], 0, v5
	v_lshl_add_u32 v6, v6, 1, v6
	v_add_f32_e32 v16, v8, v9
	v_add_f32_e32 v10, v10, v11
	;; [unrolled: 1-line block ×5, first 2 shown]
	s_and_b64 s[0:1], vcc, s[0:1]
	v_ashrrev_i32_e32 v7, 31, v6
	s_waitcnt lgkmcnt(0)
	s_and_saveexec_b64 s[4:5], s[0:1]
	s_xor_b64 s[0:1], exec, s[4:5]
	s_cbranch_execz .LBB128_34
; %bb.33:
	v_xor_b32_e32 v18, 0x80000000, v3
	v_mov_b32_e32 v19, v2
	v_lshl_add_u64 v[20:21], v[6:7], 3, s[2:3]
	v_pk_mul_f32 v[4:5], v[16:17], v[18:19] op_sel_hi:[0,1]
	v_pk_mul_f32 v[6:7], v[14:15], v[18:19] op_sel_hi:[0,1]
	v_pk_fma_f32 v[4:5], v[2:3], v[12:13], v[4:5] op_sel_hi:[1,0,1]
	v_pk_fma_f32 v[6:7], v[2:3], v[10:11], v[6:7] op_sel_hi:[1,0,1]
	global_store_dwordx4 v[20:21], v[4:7], off
                                        ; implicit-def: $vgpr12
                                        ; implicit-def: $vgpr16
                                        ; implicit-def: $vgpr10
                                        ; implicit-def: $vgpr14
                                        ; implicit-def: $vgpr6
	s_nop 1
	v_pk_mul_f32 v[4:5], v[8:9], v[18:19] op_sel_hi:[0,1]
	v_pk_fma_f32 v[0:1], v[2:3], v[0:1], v[4:5] op_sel_hi:[1,0,1]
	global_store_dwordx2 v[20:21], v[0:1], off offset:16
                                        ; implicit-def: $vgpr3
                                        ; implicit-def: $vgpr4
                                        ; implicit-def: $vgpr0
                                        ; implicit-def: $vgpr8
.LBB128_34:
	s_andn2_saveexec_b64 s[0:1], s[0:1]
	s_cbranch_execz .LBB128_14
; %bb.35:
	v_lshl_add_u64 v[6:7], v[6:7], 3, s[2:3]
	global_load_dwordx4 v[18:21], v[6:7], off
	global_load_dwordx2 v[22:23], v[6:7], off offset:16
	v_xor_b32_e32 v24, 0x80000000, v3
	v_mov_b32_e32 v25, v2
	v_pk_mul_f32 v[16:17], v[16:17], v[24:25] op_sel_hi:[0,1]
	v_pk_mul_f32 v[14:15], v[14:15], v[24:25] op_sel_hi:[0,1]
	;; [unrolled: 1-line block ×3, first 2 shown]
	v_pk_fma_f32 v[12:13], v[2:3], v[12:13], v[16:17] op_sel_hi:[1,0,1]
	v_pk_fma_f32 v[10:11], v[2:3], v[10:11], v[14:15] op_sel_hi:[1,0,1]
	v_xor_b32_e32 v26, 0x80000000, v5
	v_mov_b32_e32 v27, v4
	v_pk_fma_f32 v[0:1], v[2:3], v[0:1], v[8:9] op_sel_hi:[1,0,1]
	s_waitcnt vmcnt(1)
	v_pk_fma_f32 v[2:3], v[4:5], v[18:19], v[12:13] op_sel_hi:[1,0,1]
	v_pk_fma_f32 v[8:9], v[4:5], v[20:21], v[10:11] op_sel_hi:[1,0,1]
	v_mov_b32_e32 v10, v21
	s_waitcnt vmcnt(0)
	v_pk_fma_f32 v[4:5], v[4:5], v[22:23], v[0:1] op_sel_hi:[1,0,1]
	v_pk_fma_f32 v[0:1], v[26:27], v[18:19], v[2:3] op_sel:[0,1,0]
	v_pk_fma_f32 v[2:3], v[26:27], v[10:11], v[8:9] op_sel_hi:[1,0,1]
	v_pk_fma_f32 v[4:5], v[26:27], v[22:23], v[4:5] op_sel:[0,1,0]
	global_store_dwordx4 v[6:7], v[0:3], off
	global_store_dwordx2 v[6:7], v[4:5], off offset:16
	s_endpgm
	.section	.rodata,"a",@progbits
	.p2align	6, 0x0
	.amdhsa_kernel _ZN9rocsparseL18bsrxmvn_3x3_kernelILj256ELj32E21rocsparse_complex_numIfElifS2_S2_EEvT3_20rocsparse_direction_NS_24const_host_device_scalarIT1_EES3_PKS3_PKT2_SC_S9_PKT4_PKT5_S7_PT6_21rocsparse_index_base_b
		.amdhsa_group_segment_fixed_size 0
		.amdhsa_private_segment_fixed_size 0
		.amdhsa_kernarg_size 96
		.amdhsa_user_sgpr_count 2
		.amdhsa_user_sgpr_dispatch_ptr 0
		.amdhsa_user_sgpr_queue_ptr 0
		.amdhsa_user_sgpr_kernarg_segment_ptr 1
		.amdhsa_user_sgpr_dispatch_id 0
		.amdhsa_user_sgpr_kernarg_preload_length 0
		.amdhsa_user_sgpr_kernarg_preload_offset 0
		.amdhsa_user_sgpr_private_segment_size 0
		.amdhsa_uses_dynamic_stack 0
		.amdhsa_enable_private_segment 0
		.amdhsa_system_sgpr_workgroup_id_x 1
		.amdhsa_system_sgpr_workgroup_id_y 0
		.amdhsa_system_sgpr_workgroup_id_z 0
		.amdhsa_system_sgpr_workgroup_info 0
		.amdhsa_system_vgpr_workitem_id 0
		.amdhsa_next_free_vgpr 48
		.amdhsa_next_free_sgpr 18
		.amdhsa_accum_offset 48
		.amdhsa_reserve_vcc 1
		.amdhsa_float_round_mode_32 0
		.amdhsa_float_round_mode_16_64 0
		.amdhsa_float_denorm_mode_32 3
		.amdhsa_float_denorm_mode_16_64 3
		.amdhsa_dx10_clamp 1
		.amdhsa_ieee_mode 1
		.amdhsa_fp16_overflow 0
		.amdhsa_tg_split 0
		.amdhsa_exception_fp_ieee_invalid_op 0
		.amdhsa_exception_fp_denorm_src 0
		.amdhsa_exception_fp_ieee_div_zero 0
		.amdhsa_exception_fp_ieee_overflow 0
		.amdhsa_exception_fp_ieee_underflow 0
		.amdhsa_exception_fp_ieee_inexact 0
		.amdhsa_exception_int_div_zero 0
	.end_amdhsa_kernel
	.section	.text._ZN9rocsparseL18bsrxmvn_3x3_kernelILj256ELj32E21rocsparse_complex_numIfElifS2_S2_EEvT3_20rocsparse_direction_NS_24const_host_device_scalarIT1_EES3_PKS3_PKT2_SC_S9_PKT4_PKT5_S7_PT6_21rocsparse_index_base_b,"axG",@progbits,_ZN9rocsparseL18bsrxmvn_3x3_kernelILj256ELj32E21rocsparse_complex_numIfElifS2_S2_EEvT3_20rocsparse_direction_NS_24const_host_device_scalarIT1_EES3_PKS3_PKT2_SC_S9_PKT4_PKT5_S7_PT6_21rocsparse_index_base_b,comdat
.Lfunc_end128:
	.size	_ZN9rocsparseL18bsrxmvn_3x3_kernelILj256ELj32E21rocsparse_complex_numIfElifS2_S2_EEvT3_20rocsparse_direction_NS_24const_host_device_scalarIT1_EES3_PKS3_PKT2_SC_S9_PKT4_PKT5_S7_PT6_21rocsparse_index_base_b, .Lfunc_end128-_ZN9rocsparseL18bsrxmvn_3x3_kernelILj256ELj32E21rocsparse_complex_numIfElifS2_S2_EEvT3_20rocsparse_direction_NS_24const_host_device_scalarIT1_EES3_PKS3_PKT2_SC_S9_PKT4_PKT5_S7_PT6_21rocsparse_index_base_b
                                        ; -- End function
	.section	.AMDGPU.csdata,"",@progbits
; Kernel info:
; codeLenInByte = 2220
; NumSgprs: 24
; NumVgprs: 48
; NumAgprs: 0
; TotalNumVgprs: 48
; ScratchSize: 0
; MemoryBound: 0
; FloatMode: 240
; IeeeMode: 1
; LDSByteSize: 0 bytes/workgroup (compile time only)
; SGPRBlocks: 2
; VGPRBlocks: 5
; NumSGPRsForWavesPerEU: 24
; NumVGPRsForWavesPerEU: 48
; AccumOffset: 48
; Occupancy: 8
; WaveLimiterHint : 1
; COMPUTE_PGM_RSRC2:SCRATCH_EN: 0
; COMPUTE_PGM_RSRC2:USER_SGPR: 2
; COMPUTE_PGM_RSRC2:TRAP_HANDLER: 0
; COMPUTE_PGM_RSRC2:TGID_X_EN: 1
; COMPUTE_PGM_RSRC2:TGID_Y_EN: 0
; COMPUTE_PGM_RSRC2:TGID_Z_EN: 0
; COMPUTE_PGM_RSRC2:TIDIG_COMP_CNT: 0
; COMPUTE_PGM_RSRC3_GFX90A:ACCUM_OFFSET: 11
; COMPUTE_PGM_RSRC3_GFX90A:TG_SPLIT: 0
	.section	.text._ZN9rocsparseL18bsrxmvn_3x3_kernelILj256ELj64E21rocsparse_complex_numIfElifS2_S2_EEvT3_20rocsparse_direction_NS_24const_host_device_scalarIT1_EES3_PKS3_PKT2_SC_S9_PKT4_PKT5_S7_PT6_21rocsparse_index_base_b,"axG",@progbits,_ZN9rocsparseL18bsrxmvn_3x3_kernelILj256ELj64E21rocsparse_complex_numIfElifS2_S2_EEvT3_20rocsparse_direction_NS_24const_host_device_scalarIT1_EES3_PKS3_PKT2_SC_S9_PKT4_PKT5_S7_PT6_21rocsparse_index_base_b,comdat
	.globl	_ZN9rocsparseL18bsrxmvn_3x3_kernelILj256ELj64E21rocsparse_complex_numIfElifS2_S2_EEvT3_20rocsparse_direction_NS_24const_host_device_scalarIT1_EES3_PKS3_PKT2_SC_S9_PKT4_PKT5_S7_PT6_21rocsparse_index_base_b ; -- Begin function _ZN9rocsparseL18bsrxmvn_3x3_kernelILj256ELj64E21rocsparse_complex_numIfElifS2_S2_EEvT3_20rocsparse_direction_NS_24const_host_device_scalarIT1_EES3_PKS3_PKT2_SC_S9_PKT4_PKT5_S7_PT6_21rocsparse_index_base_b
	.p2align	8
	.type	_ZN9rocsparseL18bsrxmvn_3x3_kernelILj256ELj64E21rocsparse_complex_numIfElifS2_S2_EEvT3_20rocsparse_direction_NS_24const_host_device_scalarIT1_EES3_PKS3_PKT2_SC_S9_PKT4_PKT5_S7_PT6_21rocsparse_index_base_b,@function
_ZN9rocsparseL18bsrxmvn_3x3_kernelILj256ELj64E21rocsparse_complex_numIfElifS2_S2_EEvT3_20rocsparse_direction_NS_24const_host_device_scalarIT1_EES3_PKS3_PKT2_SC_S9_PKT4_PKT5_S7_PT6_21rocsparse_index_base_b: ; @_ZN9rocsparseL18bsrxmvn_3x3_kernelILj256ELj64E21rocsparse_complex_numIfElifS2_S2_EEvT3_20rocsparse_direction_NS_24const_host_device_scalarIT1_EES3_PKS3_PKT2_SC_S9_PKT4_PKT5_S7_PT6_21rocsparse_index_base_b
; %bb.0:
	s_load_dwordx2 s[12:13], s[0:1], 0x58
	s_load_dwordx2 s[8:9], s[0:1], 0x8
	;; [unrolled: 1-line block ×3, first 2 shown]
	s_waitcnt lgkmcnt(0)
	s_bitcmp1_b32 s13, 0
	s_cselect_b64 s[4:5], -1, 0
	s_xor_b64 s[10:11], s[4:5], -1
	s_and_b64 vcc, exec, s[4:5]
	v_mov_b32_e32 v2, s8
	s_cbranch_vccnz .LBB129_2
; %bb.1:
	v_mov_b64_e32 v[2:3], s[8:9]
	flat_load_dword v2, v[2:3]
.LBB129_2:
	v_cndmask_b32_e64 v1, 0, 1, s[10:11]
	v_cmp_ne_u32_e64 s[4:5], 1, v1
	s_andn2_b64 vcc, exec, s[10:11]
	v_mov_b32_e32 v3, s9
	s_cbranch_vccz .LBB129_15
; %bb.3:
	s_and_b64 vcc, exec, s[4:5]
	v_mov_b32_e32 v4, s6
	s_cbranch_vccz .LBB129_16
.LBB129_4:
	s_and_b64 vcc, exec, s[4:5]
	v_mov_b32_e32 v5, s7
	s_cbranch_vccnz .LBB129_6
.LBB129_5:
	v_mov_b64_e32 v[6:7], s[6:7]
	flat_load_dword v5, v[6:7] offset:4
.LBB129_6:
	s_waitcnt vmcnt(0) lgkmcnt(0)
	v_and_b32_e32 v1, 0x7fffffff, v2
	v_cmp_eq_u32_e32 vcc, 0, v1
	v_cmp_eq_f32_e64 s[4:5], 0, v3
	s_and_b64 s[8:9], vcc, s[4:5]
	s_mov_b64 s[4:5], -1
	s_and_saveexec_b64 s[6:7], s[8:9]
; %bb.7:
	v_and_b32_e32 v1, 0x7fffffff, v5
	v_cmp_neq_f32_e32 vcc, 1.0, v4
	v_cmp_ne_u32_e64 s[4:5], 0, v1
	s_or_b64 s[4:5], vcc, s[4:5]
	s_orn2_b64 s[4:5], s[4:5], exec
; %bb.8:
	s_or_b64 exec, exec, s[6:7]
	s_and_saveexec_b64 s[6:7], s[4:5]
	s_cbranch_execz .LBB129_14
; %bb.9:
	s_load_dwordx2 s[4:5], s[0:1], 0x18
	s_load_dwordx2 s[14:15], s[0:1], 0x0
	v_lshrrev_b32_e32 v1, 6, v0
	v_lshl_or_b32 v6, s2, 2, v1
	s_mov_b64 s[2:3], 0
	s_waitcnt lgkmcnt(0)
	s_cmp_lg_u64 s[4:5], 0
	s_cbranch_scc0 .LBB129_17
; %bb.10:
	s_load_dword s6, s[0:1], 0x10
                                        ; implicit-def: $vgpr1
	s_waitcnt lgkmcnt(0)
	v_cmp_gt_i32_e32 vcc, s6, v6
	s_and_saveexec_b64 s[6:7], vcc
	s_xor_b64 s[6:7], exec, s[6:7]
	s_cbranch_execz .LBB129_12
; %bb.11:
	v_ashrrev_i32_e32 v7, 31, v6
	v_lshl_add_u64 v[8:9], v[6:7], 2, s[4:5]
	global_load_dword v1, v[8:9], off
	s_mov_b64 s[2:3], exec
	s_waitcnt vmcnt(0)
	v_subrev_u32_e32 v1, s12, v1
.LBB129_12:
	s_or_b64 exec, exec, s[6:7]
	s_branch .LBB129_18
.LBB129_13:
	v_cmp_gt_i32_e32 vcc, s14, v6
	s_andn2_b64 s[2:3], s[2:3], exec
	s_and_b64 s[4:5], vcc, exec
	s_or_b64 s[2:3], s[2:3], s[4:5]
	s_and_b64 exec, exec, s[2:3]
	s_cbranch_execnz .LBB129_19
.LBB129_14:
	s_endpgm
.LBB129_15:
	v_mov_b64_e32 v[4:5], s[8:9]
	flat_load_dword v3, v[4:5] offset:4
	s_and_b64 vcc, exec, s[4:5]
	v_mov_b32_e32 v4, s6
	s_cbranch_vccnz .LBB129_4
.LBB129_16:
	v_mov_b64_e32 v[4:5], s[6:7]
	flat_load_dword v4, v[4:5]
	s_and_b64 vcc, exec, s[4:5]
	v_mov_b32_e32 v5, s7
	s_cbranch_vccz .LBB129_5
	s_branch .LBB129_6
.LBB129_17:
                                        ; implicit-def: $vgpr1
	s_cbranch_execnz .LBB129_13
.LBB129_18:
	v_mov_b32_e32 v6, v1
	s_and_b64 exec, exec, s[2:3]
	s_cbranch_execz .LBB129_14
.LBB129_19:
	s_load_dwordx8 s[4:11], s[0:1], 0x20
	v_ashrrev_i32_e32 v7, 31, v6
	v_lshlrev_b64 v[8:9], 3, v[6:7]
	v_mov_b32_e32 v15, 0
	v_and_b32_e32 v0, 63, v0
	s_waitcnt lgkmcnt(0)
	v_lshl_add_u64 v[10:11], s[4:5], 0, v[8:9]
	global_load_dwordx2 v[12:13], v[10:11], off
	s_cmp_eq_u64 s[6:7], 0
	v_lshl_add_u64 v[8:9], s[6:7], 0, v[8:9]
	v_lshl_add_u64 v[10:11], v[10:11], 0, 8
	s_cselect_b64 vcc, -1, 0
	v_cndmask_b32_e32 v9, v9, v11, vcc
	v_cndmask_b32_e32 v8, v8, v10, vcc
	global_load_dwordx2 v[8:9], v[8:9], off
	v_mov_b32_e32 v1, v15
	s_load_dwordx2 s[4:5], s[0:1], 0x40
	s_cmp_eq_u32 s15, 1
	s_waitcnt vmcnt(1)
	v_subrev_co_u32_e32 v10, vcc, s12, v12
	s_nop 1
	v_subbrev_co_u32_e32 v11, vcc, 0, v13, vcc
	v_lshl_add_u64 v[10:11], v[10:11], 0, v[0:1]
	v_mad_u64_u32 v[16:17], s[2:3], v10, 36, s[10:11]
	s_waitcnt vmcnt(0)
	v_subrev_co_u32_e32 v12, vcc, s12, v8
	v_mov_b32_e32 v8, v17
	s_nop 0
	v_subbrev_co_u32_e32 v13, vcc, 0, v9, vcc
	v_mad_u64_u32 v[8:9], s[2:3], v11, 36, v[8:9]
	v_mov_b32_e32 v17, v8
	v_cmp_lt_i64_e64 s[2:3], v[10:11], v[12:13]
	s_cbranch_scc1 .LBB129_25
; %bb.20:
	v_mov_b32_e32 v14, 0
	v_mov_b32_e32 v19, 0
	;; [unrolled: 1-line block ×5, first 2 shown]
	s_and_saveexec_b64 s[6:7], s[2:3]
	s_cbranch_execz .LBB129_24
; %bb.21:
	v_mov_b32_e32 v23, 0
	v_lshl_add_u64 v[20:21], v[10:11], 2, s[8:9]
	s_mov_b64 s[10:11], 0
	s_mov_b64 s[14:15], 0x100
	;; [unrolled: 1-line block ×3, first 2 shown]
	v_bfrev_b32_e32 v24, 1
	v_mov_b64_e32 v[26:27], v[10:11]
	v_mov_b64_e32 v[28:29], v[16:17]
	v_mov_b32_e32 v8, v23
	v_mov_b32_e32 v9, v23
	;; [unrolled: 1-line block ×6, first 2 shown]
.LBB129_22:                             ; =>This Inner Loop Header: Depth=1
	global_load_dword v1, v[20:21], off
	global_load_dwordx4 v[30:33], v[28:29], off offset:16
	global_load_dwordx4 v[34:37], v[28:29], off
	v_mov_b32_e32 v47, v23
	v_lshl_add_u64 v[26:27], v[26:27], 0, 64
	v_cmp_ge_i64_e32 vcc, v[26:27], v[12:13]
	v_lshl_add_u64 v[20:21], v[20:21], 0, s[14:15]
	s_or_b64 s[10:11], vcc, s[10:11]
	s_waitcnt vmcnt(2)
	v_subrev_u32_e32 v1, s12, v1
	v_lshl_add_u32 v38, v1, 1, v1
	v_ashrrev_i32_e32 v39, 31, v38
	s_waitcnt lgkmcnt(0)
	v_lshl_add_u64 v[42:43], v[38:39], 3, s[4:5]
	global_load_dwordx4 v[38:41], v[42:43], off
	global_load_dwordx2 v[44:45], v[42:43], off offset:16
	global_load_dword v46, v[28:29], off offset:32
	s_waitcnt vmcnt(3)
	v_mov_b32_e32 v22, v34
	v_mov_b32_e32 v25, v34
	v_lshl_add_u64 v[28:29], v[28:29], 0, s[16:17]
	s_waitcnt vmcnt(2)
	v_pk_fma_f32 v[14:15], v[38:39], v[22:23], v[14:15] op_sel_hi:[0,1,1]
	v_mov_b32_e32 v22, v35
	v_pk_fma_f32 v[14:15], v[38:39], v[24:25], v[14:15] op_sel:[1,0,0]
	v_mov_b32_e32 v34, v41
	v_mov_b32_e32 v25, v35
	v_pk_fma_f32 v[14:15], v[40:41], v[22:23], v[14:15] op_sel_hi:[0,1,1]
	v_mov_b32_e32 v22, v36
	v_pk_fma_f32 v[14:15], v[34:35], v[24:25], v[14:15] op_sel_hi:[0,1,1]
	v_mov_b32_e32 v25, v36
	s_waitcnt vmcnt(1)
	v_pk_fma_f32 v[14:15], v[44:45], v[22:23], v[14:15] op_sel_hi:[0,1,1]
	v_mov_b32_e32 v22, v37
	v_pk_fma_f32 v[14:15], v[44:45], v[24:25], v[14:15] op_sel:[1,0,0]
	v_pk_fma_f32 v[18:19], v[38:39], v[22:23], v[18:19] op_sel_hi:[0,1,1]
	v_mov_b32_e32 v25, v37
	v_mov_b32_e32 v22, v30
	v_pk_fma_f32 v[18:19], v[38:39], v[24:25], v[18:19] op_sel:[1,0,0]
	v_mov_b32_e32 v25, v30
	v_pk_fma_f32 v[18:19], v[40:41], v[22:23], v[18:19] op_sel_hi:[0,1,1]
	v_mov_b32_e32 v22, v31
	v_pk_fma_f32 v[18:19], v[34:35], v[24:25], v[18:19] op_sel_hi:[0,1,1]
	;; [unrolled: 2-line block ×3, first 2 shown]
	v_mov_b32_e32 v22, v32
	v_pk_fma_f32 v[18:19], v[44:45], v[24:25], v[18:19] op_sel:[1,0,0]
	v_pk_fma_f32 v[8:9], v[38:39], v[22:23], v[8:9] op_sel_hi:[0,1,1]
	v_mov_b32_e32 v25, v32
	v_mov_b32_e32 v22, v33
	v_pk_fma_f32 v[8:9], v[38:39], v[24:25], v[8:9] op_sel:[1,0,0]
	v_mov_b32_e32 v25, v33
	v_pk_fma_f32 v[8:9], v[40:41], v[22:23], v[8:9] op_sel_hi:[0,1,1]
	v_pk_fma_f32 v[8:9], v[34:35], v[24:25], v[8:9] op_sel_hi:[0,1,1]
	s_waitcnt vmcnt(0)
	v_mov_b32_e32 v25, v46
	v_pk_fma_f32 v[8:9], v[44:45], v[46:47], v[8:9] op_sel_hi:[0,1,1]
	v_pk_fma_f32 v[8:9], v[44:45], v[24:25], v[8:9] op_sel:[1,0,0]
	s_andn2_b64 exec, exec, s[10:11]
	s_cbranch_execnz .LBB129_22
; %bb.23:
	s_or_b64 exec, exec, s[10:11]
.LBB129_24:
	s_or_b64 exec, exec, s[6:7]
	s_cbranch_execz .LBB129_26
	s_branch .LBB129_31
.LBB129_25:
                                        ; implicit-def: $vgpr15
                                        ; implicit-def: $vgpr19
                                        ; implicit-def: $vgpr9
.LBB129_26:
	v_mov_b32_e32 v15, 0
	v_mov_b32_e32 v14, v15
	;; [unrolled: 1-line block ×6, first 2 shown]
	s_and_saveexec_b64 s[6:7], s[2:3]
	s_cbranch_execz .LBB129_30
; %bb.27:
	v_mov_b32_e32 v23, 0
	v_lshl_add_u64 v[20:21], v[10:11], 2, s[8:9]
	s_mov_b64 s[2:3], 0
	s_mov_b64 s[8:9], 0x100
	;; [unrolled: 1-line block ×3, first 2 shown]
	v_bfrev_b32_e32 v24, 1
	v_mov_b32_e32 v8, v23
	v_mov_b32_e32 v9, v23
	;; [unrolled: 1-line block ×6, first 2 shown]
.LBB129_28:                             ; =>This Inner Loop Header: Depth=1
	global_load_dword v1, v[20:21], off
	global_load_dwordx4 v[26:29], v[16:17], off offset:16
	global_load_dwordx4 v[30:33], v[16:17], off
	v_mov_b32_e32 v43, v23
	v_lshl_add_u64 v[10:11], v[10:11], 0, 64
	v_cmp_ge_i64_e32 vcc, v[10:11], v[12:13]
	v_lshl_add_u64 v[20:21], v[20:21], 0, s[8:9]
	s_or_b64 s[2:3], vcc, s[2:3]
	s_waitcnt vmcnt(2)
	v_subrev_u32_e32 v1, s12, v1
	v_lshl_add_u32 v34, v1, 1, v1
	v_ashrrev_i32_e32 v35, 31, v34
	s_waitcnt lgkmcnt(0)
	v_lshl_add_u64 v[38:39], v[34:35], 3, s[4:5]
	global_load_dwordx4 v[34:37], v[38:39], off
	global_load_dwordx2 v[40:41], v[38:39], off offset:16
	global_load_dword v42, v[16:17], off offset:32
	s_waitcnt vmcnt(3)
	v_mov_b32_e32 v22, v30
	v_mov_b32_e32 v25, v30
	v_lshl_add_u64 v[16:17], v[16:17], 0, s[10:11]
	s_waitcnt vmcnt(2)
	v_pk_fma_f32 v[14:15], v[34:35], v[22:23], v[14:15] op_sel_hi:[0,1,1]
	v_mov_b32_e32 v22, v33
	v_pk_fma_f32 v[14:15], v[34:35], v[24:25], v[14:15] op_sel:[1,0,0]
	v_mov_b32_e32 v30, v37
	v_mov_b32_e32 v25, v33
	v_pk_fma_f32 v[14:15], v[36:37], v[22:23], v[14:15] op_sel_hi:[0,1,1]
	v_mov_b32_e32 v22, v28
	v_pk_fma_f32 v[14:15], v[30:31], v[24:25], v[14:15] op_sel_hi:[0,1,1]
	v_mov_b32_e32 v25, v28
	s_waitcnt vmcnt(1)
	v_pk_fma_f32 v[14:15], v[40:41], v[22:23], v[14:15] op_sel_hi:[0,1,1]
	v_mov_b32_e32 v22, v31
	v_pk_fma_f32 v[14:15], v[40:41], v[24:25], v[14:15] op_sel:[1,0,0]
	v_pk_fma_f32 v[18:19], v[34:35], v[22:23], v[18:19] op_sel_hi:[0,1,1]
	v_mov_b32_e32 v25, v31
	v_mov_b32_e32 v22, v26
	v_pk_fma_f32 v[18:19], v[34:35], v[24:25], v[18:19] op_sel:[1,0,0]
	v_mov_b32_e32 v25, v26
	v_pk_fma_f32 v[18:19], v[36:37], v[22:23], v[18:19] op_sel_hi:[0,1,1]
	v_mov_b32_e32 v22, v29
	v_pk_fma_f32 v[18:19], v[30:31], v[24:25], v[18:19] op_sel_hi:[0,1,1]
	v_mov_b32_e32 v33, v23
	v_mov_b32_e32 v25, v29
	v_pk_fma_f32 v[18:19], v[40:41], v[22:23], v[18:19] op_sel_hi:[0,1,1]
	v_pk_fma_f32 v[8:9], v[34:35], v[32:33], v[8:9] op_sel_hi:[0,1,1]
	v_pk_fma_f32 v[18:19], v[40:41], v[24:25], v[18:19] op_sel:[1,0,0]
	v_mov_b32_e32 v25, v32
	v_mov_b32_e32 v22, v27
	v_pk_fma_f32 v[8:9], v[34:35], v[24:25], v[8:9] op_sel:[1,0,0]
	v_mov_b32_e32 v25, v27
	v_pk_fma_f32 v[8:9], v[36:37], v[22:23], v[8:9] op_sel_hi:[0,1,1]
	v_pk_fma_f32 v[8:9], v[30:31], v[24:25], v[8:9] op_sel_hi:[0,1,1]
	s_waitcnt vmcnt(0)
	v_mov_b32_e32 v25, v42
	v_pk_fma_f32 v[8:9], v[40:41], v[42:43], v[8:9] op_sel_hi:[0,1,1]
	v_pk_fma_f32 v[8:9], v[40:41], v[24:25], v[8:9] op_sel:[1,0,0]
	s_andn2_b64 exec, exec, s[2:3]
	s_cbranch_execnz .LBB129_28
; %bb.29:
	s_or_b64 exec, exec, s[2:3]
.LBB129_30:
	s_or_b64 exec, exec, s[6:7]
.LBB129_31:
	v_mov_b32_dpp v12, v18 row_shr:1 row_mask:0xf bank_mask:0xf
	v_add_f32_e32 v12, v18, v12
	v_mov_b32_dpp v10, v15 row_shr:1 row_mask:0xf bank_mask:0xf
	v_add_f32_e32 v10, v15, v10
	;; [unrolled: 2-line block ×5, first 2 shown]
	v_mov_b32_dpp v7, v1 row_shr:2 row_mask:0xf bank_mask:0xf
	v_mov_b32_dpp v11, v10 row_shr:2 row_mask:0xf bank_mask:0xf
	;; [unrolled: 1-line block ×3, first 2 shown]
	v_add_f32_e32 v12, v12, v13
	v_add_f32_e32 v1, v1, v7
	;; [unrolled: 1-line block ×3, first 2 shown]
	v_mov_b32_dpp v13, v12 row_bcast:15 row_mask:0xa bank_mask:0xf
	v_add_f32_e32 v13, v12, v13
	v_mov_b32_dpp v12, v19 row_shr:1 row_mask:0xf bank_mask:0xf
	v_add_f32_e32 v12, v19, v12
	v_mov_b32_dpp v7, v1 row_shr:4 row_mask:0xf bank_mask:0xe
	v_mov_b32_dpp v11, v10 row_shr:4 row_mask:0xf bank_mask:0xe
	;; [unrolled: 1-line block ×3, first 2 shown]
	v_add_f32_e32 v12, v12, v15
	v_add_f32_e32 v1, v1, v7
	;; [unrolled: 1-line block ×3, first 2 shown]
	v_mov_b32_dpp v15, v12 row_shr:4 row_mask:0xf bank_mask:0xe
	v_add_f32_e32 v12, v12, v15
	v_mov_b32_dpp v7, v1 row_shr:8 row_mask:0xf bank_mask:0xc
	v_mov_b32_dpp v11, v10 row_shr:8 row_mask:0xf bank_mask:0xc
	;; [unrolled: 1-line block ×3, first 2 shown]
	v_add_f32_e32 v12, v12, v15
	v_add_f32_e32 v1, v1, v7
	;; [unrolled: 1-line block ×3, first 2 shown]
	v_mov_b32_dpp v15, v12 row_bcast:15 row_mask:0xa bank_mask:0xf
	v_add_f32_e32 v15, v12, v15
	v_mov_b32_dpp v12, v8 row_shr:1 row_mask:0xf bank_mask:0xf
	v_add_f32_e32 v8, v8, v12
	v_mov_b32_dpp v7, v1 row_bcast:15 row_mask:0xa bank_mask:0xf
	v_mov_b32_dpp v11, v10 row_bcast:15 row_mask:0xa bank_mask:0xf
	v_mov_b32_dpp v12, v8 row_shr:2 row_mask:0xf bank_mask:0xf
	v_add_f32_e32 v8, v8, v12
	v_add_f32_e32 v1, v1, v7
	;; [unrolled: 1-line block ×3, first 2 shown]
	v_mov_b32_dpp v12, v8 row_shr:4 row_mask:0xf bank_mask:0xe
	v_add_f32_e32 v8, v8, v12
	v_mov_b32_dpp v7, v1 row_bcast:31 row_mask:0xc bank_mask:0xf
	v_mov_b32_dpp v11, v10 row_bcast:31 row_mask:0xc bank_mask:0xf
	v_mov_b32_dpp v12, v8 row_shr:8 row_mask:0xf bank_mask:0xc
	v_add_f32_e32 v8, v8, v12
	v_mov_b32_dpp v14, v13 row_bcast:31 row_mask:0xc bank_mask:0xf
	v_mov_b32_dpp v17, v15 row_bcast:31 row_mask:0xc bank_mask:0xf
	;; [unrolled: 1-line block ×3, first 2 shown]
	v_add_f32_e32 v8, v8, v12
	v_cmp_eq_u32_e32 vcc, 63, v0
	v_mov_b32_dpp v12, v9 row_shr:1 row_mask:0xf bank_mask:0xf
	v_add_f32_e32 v9, v9, v12
	v_mov_b32_dpp v18, v8 row_bcast:31 row_mask:0xc bank_mask:0xf
	s_nop 0
	v_mov_b32_dpp v12, v9 row_shr:2 row_mask:0xf bank_mask:0xf
	v_add_f32_e32 v9, v9, v12
	s_nop 1
	v_mov_b32_dpp v12, v9 row_shr:4 row_mask:0xf bank_mask:0xe
	v_add_f32_e32 v9, v9, v12
	;; [unrolled: 3-line block ×3, first 2 shown]
	s_nop 1
	v_mov_b32_dpp v12, v9 row_bcast:15 row_mask:0xa bank_mask:0xf
	v_add_f32_e32 v9, v9, v12
	s_nop 1
	v_mov_b32_dpp v19, v9 row_bcast:31 row_mask:0xc bank_mask:0xf
	s_and_b64 exec, exec, vcc
	s_cbranch_execz .LBB129_14
; %bb.32:
	s_load_dwordx2 s[2:3], s[0:1], 0x50
	v_add_f32_e32 v12, v1, v7
	v_and_b32_e32 v1, 0x7fffffff, v4
	v_cmp_eq_u32_e32 vcc, 0, v1
	v_cmp_eq_f32_e64 s[0:1], 0, v5
	v_lshl_add_u32 v6, v6, 1, v6
	v_add_f32_e32 v16, v10, v11
	v_add_f32_e32 v10, v13, v14
	;; [unrolled: 1-line block ×5, first 2 shown]
	s_and_b64 s[0:1], vcc, s[0:1]
	v_ashrrev_i32_e32 v7, 31, v6
	s_waitcnt lgkmcnt(0)
	s_and_saveexec_b64 s[4:5], s[0:1]
	s_xor_b64 s[0:1], exec, s[4:5]
	s_cbranch_execz .LBB129_34
; %bb.33:
	v_xor_b32_e32 v18, 0x80000000, v3
	v_mov_b32_e32 v19, v2
	v_lshl_add_u64 v[20:21], v[6:7], 3, s[2:3]
	v_pk_mul_f32 v[4:5], v[16:17], v[18:19] op_sel_hi:[0,1]
	v_pk_mul_f32 v[6:7], v[14:15], v[18:19] op_sel_hi:[0,1]
	v_pk_fma_f32 v[4:5], v[2:3], v[12:13], v[4:5] op_sel_hi:[1,0,1]
	v_pk_fma_f32 v[6:7], v[2:3], v[10:11], v[6:7] op_sel_hi:[1,0,1]
	global_store_dwordx4 v[20:21], v[4:7], off
                                        ; implicit-def: $vgpr12
                                        ; implicit-def: $vgpr16
                                        ; implicit-def: $vgpr10
                                        ; implicit-def: $vgpr14
                                        ; implicit-def: $vgpr6
	s_nop 1
	v_pk_mul_f32 v[4:5], v[8:9], v[18:19] op_sel_hi:[0,1]
	v_pk_fma_f32 v[0:1], v[2:3], v[0:1], v[4:5] op_sel_hi:[1,0,1]
	global_store_dwordx2 v[20:21], v[0:1], off offset:16
                                        ; implicit-def: $vgpr3
                                        ; implicit-def: $vgpr4
                                        ; implicit-def: $vgpr0
                                        ; implicit-def: $vgpr8
.LBB129_34:
	s_andn2_saveexec_b64 s[0:1], s[0:1]
	s_cbranch_execz .LBB129_14
; %bb.35:
	v_lshl_add_u64 v[6:7], v[6:7], 3, s[2:3]
	global_load_dwordx4 v[18:21], v[6:7], off
	global_load_dwordx2 v[22:23], v[6:7], off offset:16
	v_xor_b32_e32 v24, 0x80000000, v3
	v_mov_b32_e32 v25, v2
	v_pk_mul_f32 v[16:17], v[16:17], v[24:25] op_sel_hi:[0,1]
	v_pk_mul_f32 v[14:15], v[14:15], v[24:25] op_sel_hi:[0,1]
	;; [unrolled: 1-line block ×3, first 2 shown]
	v_pk_fma_f32 v[12:13], v[2:3], v[12:13], v[16:17] op_sel_hi:[1,0,1]
	v_pk_fma_f32 v[10:11], v[2:3], v[10:11], v[14:15] op_sel_hi:[1,0,1]
	v_xor_b32_e32 v26, 0x80000000, v5
	v_mov_b32_e32 v27, v4
	v_pk_fma_f32 v[0:1], v[2:3], v[0:1], v[8:9] op_sel_hi:[1,0,1]
	s_waitcnt vmcnt(1)
	v_pk_fma_f32 v[2:3], v[4:5], v[18:19], v[12:13] op_sel_hi:[1,0,1]
	v_pk_fma_f32 v[8:9], v[4:5], v[20:21], v[10:11] op_sel_hi:[1,0,1]
	v_mov_b32_e32 v10, v21
	s_waitcnt vmcnt(0)
	v_pk_fma_f32 v[4:5], v[4:5], v[22:23], v[0:1] op_sel_hi:[1,0,1]
	v_pk_fma_f32 v[0:1], v[26:27], v[18:19], v[2:3] op_sel:[0,1,0]
	v_pk_fma_f32 v[2:3], v[26:27], v[10:11], v[8:9] op_sel_hi:[1,0,1]
	v_pk_fma_f32 v[4:5], v[26:27], v[22:23], v[4:5] op_sel:[0,1,0]
	global_store_dwordx4 v[6:7], v[0:3], off
	global_store_dwordx2 v[6:7], v[4:5], off offset:16
	s_endpgm
	.section	.rodata,"a",@progbits
	.p2align	6, 0x0
	.amdhsa_kernel _ZN9rocsparseL18bsrxmvn_3x3_kernelILj256ELj64E21rocsparse_complex_numIfElifS2_S2_EEvT3_20rocsparse_direction_NS_24const_host_device_scalarIT1_EES3_PKS3_PKT2_SC_S9_PKT4_PKT5_S7_PT6_21rocsparse_index_base_b
		.amdhsa_group_segment_fixed_size 0
		.amdhsa_private_segment_fixed_size 0
		.amdhsa_kernarg_size 96
		.amdhsa_user_sgpr_count 2
		.amdhsa_user_sgpr_dispatch_ptr 0
		.amdhsa_user_sgpr_queue_ptr 0
		.amdhsa_user_sgpr_kernarg_segment_ptr 1
		.amdhsa_user_sgpr_dispatch_id 0
		.amdhsa_user_sgpr_kernarg_preload_length 0
		.amdhsa_user_sgpr_kernarg_preload_offset 0
		.amdhsa_user_sgpr_private_segment_size 0
		.amdhsa_uses_dynamic_stack 0
		.amdhsa_enable_private_segment 0
		.amdhsa_system_sgpr_workgroup_id_x 1
		.amdhsa_system_sgpr_workgroup_id_y 0
		.amdhsa_system_sgpr_workgroup_id_z 0
		.amdhsa_system_sgpr_workgroup_info 0
		.amdhsa_system_vgpr_workitem_id 0
		.amdhsa_next_free_vgpr 48
		.amdhsa_next_free_sgpr 18
		.amdhsa_accum_offset 48
		.amdhsa_reserve_vcc 1
		.amdhsa_float_round_mode_32 0
		.amdhsa_float_round_mode_16_64 0
		.amdhsa_float_denorm_mode_32 3
		.amdhsa_float_denorm_mode_16_64 3
		.amdhsa_dx10_clamp 1
		.amdhsa_ieee_mode 1
		.amdhsa_fp16_overflow 0
		.amdhsa_tg_split 0
		.amdhsa_exception_fp_ieee_invalid_op 0
		.amdhsa_exception_fp_denorm_src 0
		.amdhsa_exception_fp_ieee_div_zero 0
		.amdhsa_exception_fp_ieee_overflow 0
		.amdhsa_exception_fp_ieee_underflow 0
		.amdhsa_exception_fp_ieee_inexact 0
		.amdhsa_exception_int_div_zero 0
	.end_amdhsa_kernel
	.section	.text._ZN9rocsparseL18bsrxmvn_3x3_kernelILj256ELj64E21rocsparse_complex_numIfElifS2_S2_EEvT3_20rocsparse_direction_NS_24const_host_device_scalarIT1_EES3_PKS3_PKT2_SC_S9_PKT4_PKT5_S7_PT6_21rocsparse_index_base_b,"axG",@progbits,_ZN9rocsparseL18bsrxmvn_3x3_kernelILj256ELj64E21rocsparse_complex_numIfElifS2_S2_EEvT3_20rocsparse_direction_NS_24const_host_device_scalarIT1_EES3_PKS3_PKT2_SC_S9_PKT4_PKT5_S7_PT6_21rocsparse_index_base_b,comdat
.Lfunc_end129:
	.size	_ZN9rocsparseL18bsrxmvn_3x3_kernelILj256ELj64E21rocsparse_complex_numIfElifS2_S2_EEvT3_20rocsparse_direction_NS_24const_host_device_scalarIT1_EES3_PKS3_PKT2_SC_S9_PKT4_PKT5_S7_PT6_21rocsparse_index_base_b, .Lfunc_end129-_ZN9rocsparseL18bsrxmvn_3x3_kernelILj256ELj64E21rocsparse_complex_numIfElifS2_S2_EEvT3_20rocsparse_direction_NS_24const_host_device_scalarIT1_EES3_PKS3_PKT2_SC_S9_PKT4_PKT5_S7_PT6_21rocsparse_index_base_b
                                        ; -- End function
	.section	.AMDGPU.csdata,"",@progbits
; Kernel info:
; codeLenInByte = 2312
; NumSgprs: 24
; NumVgprs: 48
; NumAgprs: 0
; TotalNumVgprs: 48
; ScratchSize: 0
; MemoryBound: 0
; FloatMode: 240
; IeeeMode: 1
; LDSByteSize: 0 bytes/workgroup (compile time only)
; SGPRBlocks: 2
; VGPRBlocks: 5
; NumSGPRsForWavesPerEU: 24
; NumVGPRsForWavesPerEU: 48
; AccumOffset: 48
; Occupancy: 8
; WaveLimiterHint : 1
; COMPUTE_PGM_RSRC2:SCRATCH_EN: 0
; COMPUTE_PGM_RSRC2:USER_SGPR: 2
; COMPUTE_PGM_RSRC2:TRAP_HANDLER: 0
; COMPUTE_PGM_RSRC2:TGID_X_EN: 1
; COMPUTE_PGM_RSRC2:TGID_Y_EN: 0
; COMPUTE_PGM_RSRC2:TGID_Z_EN: 0
; COMPUTE_PGM_RSRC2:TIDIG_COMP_CNT: 0
; COMPUTE_PGM_RSRC3_GFX90A:ACCUM_OFFSET: 11
; COMPUTE_PGM_RSRC3_GFX90A:TG_SPLIT: 0
	.section	.text._ZN9rocsparseL18bsrxmvn_3x3_kernelILj256ELj4E21rocsparse_complex_numIfEllfS2_S2_EEvT3_20rocsparse_direction_NS_24const_host_device_scalarIT1_EES3_PKS3_PKT2_SC_S9_PKT4_PKT5_S7_PT6_21rocsparse_index_base_b,"axG",@progbits,_ZN9rocsparseL18bsrxmvn_3x3_kernelILj256ELj4E21rocsparse_complex_numIfEllfS2_S2_EEvT3_20rocsparse_direction_NS_24const_host_device_scalarIT1_EES3_PKS3_PKT2_SC_S9_PKT4_PKT5_S7_PT6_21rocsparse_index_base_b,comdat
	.globl	_ZN9rocsparseL18bsrxmvn_3x3_kernelILj256ELj4E21rocsparse_complex_numIfEllfS2_S2_EEvT3_20rocsparse_direction_NS_24const_host_device_scalarIT1_EES3_PKS3_PKT2_SC_S9_PKT4_PKT5_S7_PT6_21rocsparse_index_base_b ; -- Begin function _ZN9rocsparseL18bsrxmvn_3x3_kernelILj256ELj4E21rocsparse_complex_numIfEllfS2_S2_EEvT3_20rocsparse_direction_NS_24const_host_device_scalarIT1_EES3_PKS3_PKT2_SC_S9_PKT4_PKT5_S7_PT6_21rocsparse_index_base_b
	.p2align	8
	.type	_ZN9rocsparseL18bsrxmvn_3x3_kernelILj256ELj4E21rocsparse_complex_numIfEllfS2_S2_EEvT3_20rocsparse_direction_NS_24const_host_device_scalarIT1_EES3_PKS3_PKT2_SC_S9_PKT4_PKT5_S7_PT6_21rocsparse_index_base_b,@function
_ZN9rocsparseL18bsrxmvn_3x3_kernelILj256ELj4E21rocsparse_complex_numIfEllfS2_S2_EEvT3_20rocsparse_direction_NS_24const_host_device_scalarIT1_EES3_PKS3_PKT2_SC_S9_PKT4_PKT5_S7_PT6_21rocsparse_index_base_b: ; @_ZN9rocsparseL18bsrxmvn_3x3_kernelILj256ELj4E21rocsparse_complex_numIfEllfS2_S2_EEvT3_20rocsparse_direction_NS_24const_host_device_scalarIT1_EES3_PKS3_PKT2_SC_S9_PKT4_PKT5_S7_PT6_21rocsparse_index_base_b
; %bb.0:
	s_load_dwordx2 s[12:13], s[0:1], 0x60
	s_load_dwordx4 s[8:11], s[0:1], 0x10
	s_load_dwordx2 s[6:7], s[0:1], 0x50
	s_waitcnt lgkmcnt(0)
	s_bitcmp1_b32 s13, 0
	s_cselect_b64 s[4:5], -1, 0
	s_xor_b64 s[14:15], s[4:5], -1
	s_and_b64 vcc, exec, s[4:5]
	v_mov_b32_e32 v2, s8
	s_cbranch_vccnz .LBB130_2
; %bb.1:
	v_mov_b64_e32 v[2:3], s[8:9]
	flat_load_dword v2, v[2:3]
.LBB130_2:
	v_cndmask_b32_e64 v1, 0, 1, s[14:15]
	v_cmp_ne_u32_e64 s[4:5], 1, v1
	s_andn2_b64 vcc, exec, s[14:15]
	v_mov_b32_e32 v3, s9
	s_cbranch_vccz .LBB130_15
; %bb.3:
	s_and_b64 vcc, exec, s[4:5]
	v_mov_b32_e32 v4, s6
	s_cbranch_vccz .LBB130_16
.LBB130_4:
	s_and_b64 vcc, exec, s[4:5]
	v_mov_b32_e32 v5, s7
	s_cbranch_vccnz .LBB130_6
.LBB130_5:
	v_mov_b64_e32 v[6:7], s[6:7]
	flat_load_dword v5, v[6:7] offset:4
.LBB130_6:
	s_waitcnt vmcnt(0) lgkmcnt(0)
	v_and_b32_e32 v1, 0x7fffffff, v2
	v_cmp_eq_u32_e32 vcc, 0, v1
	v_cmp_eq_f32_e64 s[4:5], 0, v3
	s_and_b64 s[8:9], vcc, s[4:5]
	s_mov_b64 s[4:5], -1
	s_and_saveexec_b64 s[6:7], s[8:9]
; %bb.7:
	v_and_b32_e32 v1, 0x7fffffff, v5
	v_cmp_neq_f32_e32 vcc, 1.0, v4
	v_cmp_ne_u32_e64 s[4:5], 0, v1
	s_or_b64 s[4:5], vcc, s[4:5]
	s_orn2_b64 s[4:5], s[4:5], exec
; %bb.8:
	s_or_b64 exec, exec, s[6:7]
	s_and_saveexec_b64 s[6:7], s[4:5]
	s_cbranch_execz .LBB130_14
; %bb.9:
	s_load_dwordx2 s[4:5], s[0:1], 0x20
	v_lshrrev_b32_e32 v1, 2, v0
	v_lshl_or_b32 v8, s2, 6, v1
	v_mov_b32_e32 v9, 0
	s_mov_b64 s[2:3], 0
	s_waitcnt lgkmcnt(0)
	s_cmp_lg_u64 s[4:5], 0
	s_cbranch_scc0 .LBB130_17
; %bb.10:
	v_cmp_gt_i64_e32 vcc, s[10:11], v[8:9]
                                        ; implicit-def: $vgpr6_vgpr7
	s_and_saveexec_b64 s[6:7], vcc
	s_xor_b64 s[6:7], exec, s[6:7]
                                        ; implicit-def: $sgpr14_sgpr15
	s_cbranch_execz .LBB130_12
; %bb.11:
	v_lshl_add_u64 v[6:7], v[8:9], 3, s[4:5]
	global_load_dwordx2 v[6:7], v[6:7], off
	s_mov_b64 s[2:3], exec
	s_mov_b32 s15, 0
	s_waitcnt vmcnt(0)
	v_subrev_co_u32_e32 v6, vcc, s12, v6
	s_nop 1
	v_subbrev_co_u32_e32 v7, vcc, 0, v7, vcc
.LBB130_12:
	s_or_b64 exec, exec, s[6:7]
.LBB130_13:
	s_and_b64 exec, exec, s[2:3]
	s_cbranch_execnz .LBB130_21
.LBB130_14:
	s_endpgm
.LBB130_15:
	v_mov_b64_e32 v[4:5], s[8:9]
	flat_load_dword v3, v[4:5] offset:4
	s_and_b64 vcc, exec, s[4:5]
	v_mov_b32_e32 v4, s6
	s_cbranch_vccnz .LBB130_4
.LBB130_16:
	v_mov_b64_e32 v[4:5], s[6:7]
	flat_load_dword v4, v[4:5]
	s_and_b64 vcc, exec, s[4:5]
	v_mov_b32_e32 v5, s7
	s_cbranch_vccz .LBB130_5
	s_branch .LBB130_6
.LBB130_17:
                                        ; implicit-def: $vgpr6_vgpr7
                                        ; implicit-def: $sgpr14_sgpr15
	s_cbranch_execz .LBB130_13
; %bb.18:
	s_load_dwordx2 s[4:5], s[0:1], 0x0
                                        ; implicit-def: $vgpr6_vgpr7
	s_waitcnt lgkmcnt(0)
	v_cmp_gt_i64_e32 vcc, s[4:5], v[8:9]
	s_and_saveexec_b64 s[4:5], vcc
                                        ; implicit-def: $sgpr14_sgpr15
; %bb.19:
	s_mov_b32 s15, 0
	s_or_b64 s[2:3], s[2:3], exec
	v_mov_b64_e32 v[6:7], v[8:9]
; %bb.20:
	s_or_b64 exec, exec, s[4:5]
	s_and_b64 exec, exec, s[2:3]
	s_cbranch_execz .LBB130_14
.LBB130_21:
	s_load_dwordx8 s[4:11], s[0:1], 0x28
	v_lshlrev_b64 v[8:9], 3, v[6:7]
	v_mov_b32_e32 v14, s15
	v_and_b32_e32 v0, 3, v0
	v_mov_b32_e32 v1, 0
	s_waitcnt lgkmcnt(0)
	v_lshl_add_u64 v[10:11], s[4:5], 0, v[8:9]
	s_cmp_eq_u64 s[6:7], 0
	global_load_dwordx2 v[12:13], v[10:11], off
	v_lshl_add_u64 v[8:9], s[6:7], 0, v[8:9]
	v_lshl_add_u64 v[10:11], v[10:11], 0, 8
	s_cselect_b64 vcc, -1, 0
	v_cndmask_b32_e32 v9, v9, v11, vcc
	v_cndmask_b32_e32 v8, v8, v10, vcc
	global_load_dwordx2 v[10:11], v[8:9], off
	s_load_dword s2, s[0:1], 0x8
	s_load_dwordx2 s[4:5], s[0:1], 0x48
	s_waitcnt lgkmcnt(0)
	s_cmp_eq_u32 s2, 1
	s_waitcnt vmcnt(1)
	v_subrev_co_u32_e32 v8, vcc, s12, v12
	s_nop 1
	v_subb_co_u32_e32 v9, vcc, v13, v14, vcc
	v_lshl_add_u64 v[8:9], v[8:9], 0, v[0:1]
	v_mad_u64_u32 v[12:13], s[2:3], v8, 36, s[10:11]
	s_waitcnt vmcnt(0)
	v_subrev_co_u32_e32 v10, vcc, s12, v10
	s_nop 1
	v_subb_co_u32_e32 v11, vcc, v11, v14, vcc
	v_mov_b32_e32 v14, v13
	v_mad_u64_u32 v[14:15], s[2:3], v9, 36, v[14:15]
	v_mov_b32_e32 v13, v14
	v_cmp_lt_i64_e64 s[2:3], v[8:9], v[10:11]
	s_cbranch_scc1 .LBB130_27
; %bb.22:
	v_mov_b32_e32 v16, v1
	v_mov_b32_e32 v15, v1
	;; [unrolled: 1-line block ×5, first 2 shown]
	s_and_saveexec_b64 s[6:7], s[2:3]
	s_cbranch_execz .LBB130_26
; %bb.23:
	v_mov_b32_e32 v23, 0
	v_lshl_add_u64 v[20:21], v[8:9], 3, s[8:9]
	s_mov_b64 s[10:11], 0
	v_mov_b32_e32 v1, s15
	s_mov_b64 s[16:17], 0x90
	v_bfrev_b32_e32 v24, 1
	v_mov_b64_e32 v[26:27], v[8:9]
	v_mov_b64_e32 v[28:29], v[12:13]
	v_mov_b32_e32 v18, v23
	v_mov_b32_e32 v19, v23
	;; [unrolled: 1-line block ×6, first 2 shown]
.LBB130_24:                             ; =>This Inner Loop Header: Depth=1
	global_load_dwordx2 v[38:39], v[20:21], off
	global_load_dwordx4 v[30:33], v[28:29], off offset:16
	global_load_dwordx4 v[34:37], v[28:29], off
	v_mov_b32_e32 v47, v23
	v_lshl_add_u64 v[26:27], v[26:27], 0, 4
	v_lshl_add_u64 v[20:21], v[20:21], 0, 32
	s_waitcnt vmcnt(2)
	v_subrev_co_u32_e32 v22, vcc, s12, v38
	v_mad_u64_u32 v[42:43], s[18:19], v22, 24, s[4:5]
	s_nop 0
	v_subb_co_u32_e32 v25, vcc, v39, v1, vcc
	v_mov_b32_e32 v22, v43
	v_mad_u64_u32 v[38:39], s[18:19], v25, 24, v[22:23]
	v_mov_b32_e32 v43, v38
	global_load_dwordx4 v[38:41], v[42:43], off
	global_load_dwordx2 v[44:45], v[42:43], off offset:16
	global_load_dword v46, v[28:29], off offset:32
	s_waitcnt vmcnt(3)
	v_mov_b32_e32 v22, v34
	v_mov_b32_e32 v25, v34
	v_cmp_ge_i64_e32 vcc, v[26:27], v[10:11]
	v_lshl_add_u64 v[28:29], v[28:29], 0, s[16:17]
	s_or_b64 s[10:11], vcc, s[10:11]
	s_waitcnt vmcnt(2)
	v_pk_fma_f32 v[16:17], v[38:39], v[22:23], v[16:17] op_sel_hi:[0,1,1]
	v_mov_b32_e32 v22, v35
	v_pk_fma_f32 v[16:17], v[38:39], v[24:25], v[16:17] op_sel:[1,0,0]
	v_mov_b32_e32 v34, v41
	v_mov_b32_e32 v25, v35
	v_pk_fma_f32 v[16:17], v[40:41], v[22:23], v[16:17] op_sel_hi:[0,1,1]
	v_mov_b32_e32 v22, v36
	v_pk_fma_f32 v[16:17], v[34:35], v[24:25], v[16:17] op_sel_hi:[0,1,1]
	v_mov_b32_e32 v25, v36
	s_waitcnt vmcnt(1)
	v_pk_fma_f32 v[16:17], v[44:45], v[22:23], v[16:17] op_sel_hi:[0,1,1]
	v_mov_b32_e32 v22, v37
	v_pk_fma_f32 v[16:17], v[44:45], v[24:25], v[16:17] op_sel:[1,0,0]
	v_pk_fma_f32 v[14:15], v[38:39], v[22:23], v[14:15] op_sel_hi:[0,1,1]
	v_mov_b32_e32 v25, v37
	v_mov_b32_e32 v22, v30
	v_pk_fma_f32 v[14:15], v[38:39], v[24:25], v[14:15] op_sel:[1,0,0]
	v_mov_b32_e32 v25, v30
	v_pk_fma_f32 v[14:15], v[40:41], v[22:23], v[14:15] op_sel_hi:[0,1,1]
	v_mov_b32_e32 v22, v31
	v_pk_fma_f32 v[14:15], v[34:35], v[24:25], v[14:15] op_sel_hi:[0,1,1]
	;; [unrolled: 2-line block ×3, first 2 shown]
	v_mov_b32_e32 v22, v32
	v_pk_fma_f32 v[14:15], v[44:45], v[24:25], v[14:15] op_sel:[1,0,0]
	v_pk_fma_f32 v[18:19], v[38:39], v[22:23], v[18:19] op_sel_hi:[0,1,1]
	v_mov_b32_e32 v25, v32
	v_mov_b32_e32 v22, v33
	v_pk_fma_f32 v[18:19], v[38:39], v[24:25], v[18:19] op_sel:[1,0,0]
	v_mov_b32_e32 v25, v33
	v_pk_fma_f32 v[18:19], v[40:41], v[22:23], v[18:19] op_sel_hi:[0,1,1]
	v_pk_fma_f32 v[18:19], v[34:35], v[24:25], v[18:19] op_sel_hi:[0,1,1]
	s_waitcnt vmcnt(0)
	v_mov_b32_e32 v25, v46
	v_pk_fma_f32 v[18:19], v[44:45], v[46:47], v[18:19] op_sel_hi:[0,1,1]
	v_pk_fma_f32 v[18:19], v[44:45], v[24:25], v[18:19] op_sel:[1,0,0]
	s_andn2_b64 exec, exec, s[10:11]
	s_cbranch_execnz .LBB130_24
; %bb.25:
	s_or_b64 exec, exec, s[10:11]
	v_mov_b32_e32 v1, v17
.LBB130_26:
	s_or_b64 exec, exec, s[6:7]
	v_mov_b32_e32 v17, v1
	s_cbranch_execz .LBB130_28
	s_branch .LBB130_33
.LBB130_27:
                                        ; implicit-def: $vgpr17
                                        ; implicit-def: $vgpr15
                                        ; implicit-def: $vgpr19
.LBB130_28:
	v_mov_b32_e32 v17, 0
	v_mov_b32_e32 v16, v17
	;; [unrolled: 1-line block ×6, first 2 shown]
	s_and_saveexec_b64 s[6:7], s[2:3]
	s_cbranch_execz .LBB130_32
; %bb.29:
	v_mov_b32_e32 v23, 0
	v_lshl_add_u64 v[20:21], v[8:9], 3, s[8:9]
	s_mov_b64 s[2:3], 0
	v_mov_b32_e32 v1, s15
	s_mov_b64 s[8:9], 0x90
	v_bfrev_b32_e32 v24, 1
	v_mov_b32_e32 v18, v23
	v_mov_b32_e32 v19, v23
	;; [unrolled: 1-line block ×6, first 2 shown]
.LBB130_30:                             ; =>This Inner Loop Header: Depth=1
	global_load_dwordx2 v[34:35], v[20:21], off
	global_load_dwordx4 v[26:29], v[12:13], off offset:16
	global_load_dwordx4 v[30:33], v[12:13], off
	v_mov_b32_e32 v43, v23
	v_lshl_add_u64 v[8:9], v[8:9], 0, 4
	v_lshl_add_u64 v[20:21], v[20:21], 0, 32
	s_waitcnt vmcnt(2)
	v_subrev_co_u32_e32 v22, vcc, s12, v34
	v_mad_u64_u32 v[38:39], s[10:11], v22, 24, s[4:5]
	s_nop 0
	v_subb_co_u32_e32 v25, vcc, v35, v1, vcc
	v_mov_b32_e32 v22, v39
	v_mad_u64_u32 v[34:35], s[10:11], v25, 24, v[22:23]
	v_mov_b32_e32 v39, v34
	global_load_dwordx4 v[34:37], v[38:39], off
	global_load_dwordx2 v[40:41], v[38:39], off offset:16
	global_load_dword v42, v[12:13], off offset:32
	s_waitcnt vmcnt(3)
	v_mov_b32_e32 v22, v30
	v_mov_b32_e32 v25, v30
	v_cmp_ge_i64_e32 vcc, v[8:9], v[10:11]
	v_lshl_add_u64 v[12:13], v[12:13], 0, s[8:9]
	s_or_b64 s[2:3], vcc, s[2:3]
	s_waitcnt vmcnt(2)
	v_pk_fma_f32 v[16:17], v[34:35], v[22:23], v[16:17] op_sel_hi:[0,1,1]
	v_mov_b32_e32 v22, v33
	v_pk_fma_f32 v[16:17], v[34:35], v[24:25], v[16:17] op_sel:[1,0,0]
	v_mov_b32_e32 v30, v37
	v_mov_b32_e32 v25, v33
	v_pk_fma_f32 v[16:17], v[36:37], v[22:23], v[16:17] op_sel_hi:[0,1,1]
	v_mov_b32_e32 v22, v28
	v_pk_fma_f32 v[16:17], v[30:31], v[24:25], v[16:17] op_sel_hi:[0,1,1]
	v_mov_b32_e32 v25, v28
	s_waitcnt vmcnt(1)
	v_pk_fma_f32 v[16:17], v[40:41], v[22:23], v[16:17] op_sel_hi:[0,1,1]
	v_mov_b32_e32 v22, v31
	v_pk_fma_f32 v[16:17], v[40:41], v[24:25], v[16:17] op_sel:[1,0,0]
	v_pk_fma_f32 v[14:15], v[34:35], v[22:23], v[14:15] op_sel_hi:[0,1,1]
	v_mov_b32_e32 v25, v31
	v_mov_b32_e32 v22, v26
	v_pk_fma_f32 v[14:15], v[34:35], v[24:25], v[14:15] op_sel:[1,0,0]
	v_mov_b32_e32 v25, v26
	v_pk_fma_f32 v[14:15], v[36:37], v[22:23], v[14:15] op_sel_hi:[0,1,1]
	v_mov_b32_e32 v22, v29
	v_pk_fma_f32 v[14:15], v[30:31], v[24:25], v[14:15] op_sel_hi:[0,1,1]
	v_mov_b32_e32 v33, v23
	v_mov_b32_e32 v25, v29
	v_pk_fma_f32 v[14:15], v[40:41], v[22:23], v[14:15] op_sel_hi:[0,1,1]
	v_pk_fma_f32 v[18:19], v[34:35], v[32:33], v[18:19] op_sel_hi:[0,1,1]
	v_pk_fma_f32 v[14:15], v[40:41], v[24:25], v[14:15] op_sel:[1,0,0]
	v_mov_b32_e32 v25, v32
	v_mov_b32_e32 v22, v27
	v_pk_fma_f32 v[18:19], v[34:35], v[24:25], v[18:19] op_sel:[1,0,0]
	v_mov_b32_e32 v25, v27
	v_pk_fma_f32 v[18:19], v[36:37], v[22:23], v[18:19] op_sel_hi:[0,1,1]
	v_pk_fma_f32 v[18:19], v[30:31], v[24:25], v[18:19] op_sel_hi:[0,1,1]
	s_waitcnt vmcnt(0)
	v_mov_b32_e32 v25, v42
	v_pk_fma_f32 v[18:19], v[40:41], v[42:43], v[18:19] op_sel_hi:[0,1,1]
	v_pk_fma_f32 v[18:19], v[40:41], v[24:25], v[18:19] op_sel:[1,0,0]
	s_andn2_b64 exec, exec, s[2:3]
	s_cbranch_execnz .LBB130_30
; %bb.31:
	s_or_b64 exec, exec, s[2:3]
.LBB130_32:
	s_or_b64 exec, exec, s[6:7]
.LBB130_33:
	v_mov_b32_dpp v11, v14 row_shr:1 row_mask:0xf bank_mask:0xf
	v_mov_b32_dpp v12, v15 row_shr:1 row_mask:0xf bank_mask:0xf
	;; [unrolled: 1-line block ×3, first 2 shown]
	v_add_f32_e32 v11, v14, v11
	v_add_f32_e32 v14, v15, v12
	v_mov_b32_dpp v12, v18 row_shr:1 row_mask:0xf bank_mask:0xf
	v_mov_b32_dpp v1, v16 row_shr:1 row_mask:0xf bank_mask:0xf
	v_add_f32_e32 v9, v17, v9
	v_add_f32_e32 v17, v18, v12
	v_mov_b32_dpp v12, v19 row_shr:1 row_mask:0xf bank_mask:0xf
	v_add_f32_e32 v1, v16, v1
	v_add_f32_e32 v19, v19, v12
	v_mov_b32_dpp v10, v9 row_shr:2 row_mask:0xf bank_mask:0xf
	v_mov_b32_dpp v8, v1 row_shr:2 row_mask:0xf bank_mask:0xf
	;; [unrolled: 1-line block ×6, first 2 shown]
	v_cmp_eq_u32_e32 vcc, 3, v0
	s_and_b64 exec, exec, vcc
	s_cbranch_execz .LBB130_14
; %bb.34:
	s_load_dwordx2 s[2:3], s[0:1], 0x58
	v_add_f32_e32 v12, v1, v8
	v_and_b32_e32 v1, 0x7fffffff, v4
	v_cmp_eq_u32_e32 vcc, 0, v1
	v_cmp_eq_f32_e64 s[0:1], 0, v5
	v_add_f32_e32 v16, v9, v10
	v_add_f32_e32 v10, v11, v13
	;; [unrolled: 1-line block ×5, first 2 shown]
	s_and_b64 s[0:1], vcc, s[0:1]
	s_and_saveexec_b64 s[4:5], s[0:1]
	s_xor_b64 s[0:1], exec, s[4:5]
	s_cbranch_execz .LBB130_36
; %bb.35:
	s_waitcnt lgkmcnt(0)
	v_mad_u64_u32 v[20:21], s[4:5], v6, 24, s[2:3]
	v_mov_b32_e32 v4, v21
	v_xor_b32_e32 v18, 0x80000000, v3
	v_mad_u64_u32 v[4:5], s[4:5], v7, 24, v[4:5]
	v_mov_b32_e32 v19, v2
	v_mov_b32_e32 v21, v4
	v_pk_mul_f32 v[4:5], v[16:17], v[18:19] op_sel_hi:[0,1]
	v_pk_mul_f32 v[6:7], v[14:15], v[18:19] op_sel_hi:[0,1]
	v_pk_fma_f32 v[4:5], v[2:3], v[12:13], v[4:5] op_sel_hi:[1,0,1]
	v_pk_fma_f32 v[6:7], v[2:3], v[10:11], v[6:7] op_sel_hi:[1,0,1]
	global_store_dwordx4 v[20:21], v[4:7], off
                                        ; implicit-def: $vgpr6_vgpr7
                                        ; implicit-def: $vgpr12
                                        ; implicit-def: $vgpr16
                                        ; implicit-def: $vgpr10
                                        ; implicit-def: $vgpr14
	s_nop 1
	v_pk_mul_f32 v[4:5], v[8:9], v[18:19] op_sel_hi:[0,1]
	v_pk_fma_f32 v[0:1], v[2:3], v[0:1], v[4:5] op_sel_hi:[1,0,1]
	global_store_dwordx2 v[20:21], v[0:1], off offset:16
                                        ; implicit-def: $vgpr3
                                        ; implicit-def: $vgpr4
                                        ; implicit-def: $vgpr0
                                        ; implicit-def: $vgpr8
.LBB130_36:
	s_andn2_saveexec_b64 s[0:1], s[0:1]
	s_cbranch_execz .LBB130_14
; %bb.37:
	s_waitcnt lgkmcnt(0)
	v_mad_u64_u32 v[22:23], s[0:1], v6, 24, s[2:3]
	v_mov_b32_e32 v6, v23
	v_mad_u64_u32 v[6:7], s[0:1], v7, 24, v[6:7]
	v_mov_b32_e32 v23, v6
	global_load_dwordx4 v[18:21], v[22:23], off
	global_load_dwordx2 v[6:7], v[22:23], off offset:16
	v_xor_b32_e32 v24, 0x80000000, v3
	v_mov_b32_e32 v25, v2
	v_pk_mul_f32 v[16:17], v[16:17], v[24:25] op_sel_hi:[0,1]
	v_pk_mul_f32 v[14:15], v[14:15], v[24:25] op_sel_hi:[0,1]
	;; [unrolled: 1-line block ×3, first 2 shown]
	v_pk_fma_f32 v[12:13], v[2:3], v[12:13], v[16:17] op_sel_hi:[1,0,1]
	v_pk_fma_f32 v[10:11], v[2:3], v[10:11], v[14:15] op_sel_hi:[1,0,1]
	v_xor_b32_e32 v26, 0x80000000, v5
	v_mov_b32_e32 v27, v4
	v_pk_fma_f32 v[0:1], v[2:3], v[0:1], v[8:9] op_sel_hi:[1,0,1]
	s_waitcnt vmcnt(1)
	v_pk_fma_f32 v[2:3], v[4:5], v[18:19], v[12:13] op_sel_hi:[1,0,1]
	v_pk_fma_f32 v[8:9], v[4:5], v[20:21], v[10:11] op_sel_hi:[1,0,1]
	v_mov_b32_e32 v10, v21
	s_waitcnt vmcnt(0)
	v_pk_fma_f32 v[4:5], v[4:5], v[6:7], v[0:1] op_sel_hi:[1,0,1]
	v_pk_fma_f32 v[0:1], v[26:27], v[18:19], v[2:3] op_sel:[0,1,0]
	v_pk_fma_f32 v[2:3], v[26:27], v[10:11], v[8:9] op_sel_hi:[1,0,1]
	v_pk_fma_f32 v[4:5], v[26:27], v[6:7], v[4:5] op_sel:[0,1,0]
	global_store_dwordx4 v[22:23], v[0:3], off
	global_store_dwordx2 v[22:23], v[4:5], off offset:16
	s_endpgm
	.section	.rodata,"a",@progbits
	.p2align	6, 0x0
	.amdhsa_kernel _ZN9rocsparseL18bsrxmvn_3x3_kernelILj256ELj4E21rocsparse_complex_numIfEllfS2_S2_EEvT3_20rocsparse_direction_NS_24const_host_device_scalarIT1_EES3_PKS3_PKT2_SC_S9_PKT4_PKT5_S7_PT6_21rocsparse_index_base_b
		.amdhsa_group_segment_fixed_size 0
		.amdhsa_private_segment_fixed_size 0
		.amdhsa_kernarg_size 104
		.amdhsa_user_sgpr_count 2
		.amdhsa_user_sgpr_dispatch_ptr 0
		.amdhsa_user_sgpr_queue_ptr 0
		.amdhsa_user_sgpr_kernarg_segment_ptr 1
		.amdhsa_user_sgpr_dispatch_id 0
		.amdhsa_user_sgpr_kernarg_preload_length 0
		.amdhsa_user_sgpr_kernarg_preload_offset 0
		.amdhsa_user_sgpr_private_segment_size 0
		.amdhsa_uses_dynamic_stack 0
		.amdhsa_enable_private_segment 0
		.amdhsa_system_sgpr_workgroup_id_x 1
		.amdhsa_system_sgpr_workgroup_id_y 0
		.amdhsa_system_sgpr_workgroup_id_z 0
		.amdhsa_system_sgpr_workgroup_info 0
		.amdhsa_system_vgpr_workitem_id 0
		.amdhsa_next_free_vgpr 48
		.amdhsa_next_free_sgpr 20
		.amdhsa_accum_offset 48
		.amdhsa_reserve_vcc 1
		.amdhsa_float_round_mode_32 0
		.amdhsa_float_round_mode_16_64 0
		.amdhsa_float_denorm_mode_32 3
		.amdhsa_float_denorm_mode_16_64 3
		.amdhsa_dx10_clamp 1
		.amdhsa_ieee_mode 1
		.amdhsa_fp16_overflow 0
		.amdhsa_tg_split 0
		.amdhsa_exception_fp_ieee_invalid_op 0
		.amdhsa_exception_fp_denorm_src 0
		.amdhsa_exception_fp_ieee_div_zero 0
		.amdhsa_exception_fp_ieee_overflow 0
		.amdhsa_exception_fp_ieee_underflow 0
		.amdhsa_exception_fp_ieee_inexact 0
		.amdhsa_exception_int_div_zero 0
	.end_amdhsa_kernel
	.section	.text._ZN9rocsparseL18bsrxmvn_3x3_kernelILj256ELj4E21rocsparse_complex_numIfEllfS2_S2_EEvT3_20rocsparse_direction_NS_24const_host_device_scalarIT1_EES3_PKS3_PKT2_SC_S9_PKT4_PKT5_S7_PT6_21rocsparse_index_base_b,"axG",@progbits,_ZN9rocsparseL18bsrxmvn_3x3_kernelILj256ELj4E21rocsparse_complex_numIfEllfS2_S2_EEvT3_20rocsparse_direction_NS_24const_host_device_scalarIT1_EES3_PKS3_PKT2_SC_S9_PKT4_PKT5_S7_PT6_21rocsparse_index_base_b,comdat
.Lfunc_end130:
	.size	_ZN9rocsparseL18bsrxmvn_3x3_kernelILj256ELj4E21rocsparse_complex_numIfEllfS2_S2_EEvT3_20rocsparse_direction_NS_24const_host_device_scalarIT1_EES3_PKS3_PKT2_SC_S9_PKT4_PKT5_S7_PT6_21rocsparse_index_base_b, .Lfunc_end130-_ZN9rocsparseL18bsrxmvn_3x3_kernelILj256ELj4E21rocsparse_complex_numIfEllfS2_S2_EEvT3_20rocsparse_direction_NS_24const_host_device_scalarIT1_EES3_PKS3_PKT2_SC_S9_PKT4_PKT5_S7_PT6_21rocsparse_index_base_b
                                        ; -- End function
	.section	.AMDGPU.csdata,"",@progbits
; Kernel info:
; codeLenInByte = 2056
; NumSgprs: 26
; NumVgprs: 48
; NumAgprs: 0
; TotalNumVgprs: 48
; ScratchSize: 0
; MemoryBound: 0
; FloatMode: 240
; IeeeMode: 1
; LDSByteSize: 0 bytes/workgroup (compile time only)
; SGPRBlocks: 3
; VGPRBlocks: 5
; NumSGPRsForWavesPerEU: 26
; NumVGPRsForWavesPerEU: 48
; AccumOffset: 48
; Occupancy: 8
; WaveLimiterHint : 1
; COMPUTE_PGM_RSRC2:SCRATCH_EN: 0
; COMPUTE_PGM_RSRC2:USER_SGPR: 2
; COMPUTE_PGM_RSRC2:TRAP_HANDLER: 0
; COMPUTE_PGM_RSRC2:TGID_X_EN: 1
; COMPUTE_PGM_RSRC2:TGID_Y_EN: 0
; COMPUTE_PGM_RSRC2:TGID_Z_EN: 0
; COMPUTE_PGM_RSRC2:TIDIG_COMP_CNT: 0
; COMPUTE_PGM_RSRC3_GFX90A:ACCUM_OFFSET: 11
; COMPUTE_PGM_RSRC3_GFX90A:TG_SPLIT: 0
	.section	.text._ZN9rocsparseL18bsrxmvn_3x3_kernelILj256ELj8E21rocsparse_complex_numIfEllfS2_S2_EEvT3_20rocsparse_direction_NS_24const_host_device_scalarIT1_EES3_PKS3_PKT2_SC_S9_PKT4_PKT5_S7_PT6_21rocsparse_index_base_b,"axG",@progbits,_ZN9rocsparseL18bsrxmvn_3x3_kernelILj256ELj8E21rocsparse_complex_numIfEllfS2_S2_EEvT3_20rocsparse_direction_NS_24const_host_device_scalarIT1_EES3_PKS3_PKT2_SC_S9_PKT4_PKT5_S7_PT6_21rocsparse_index_base_b,comdat
	.globl	_ZN9rocsparseL18bsrxmvn_3x3_kernelILj256ELj8E21rocsparse_complex_numIfEllfS2_S2_EEvT3_20rocsparse_direction_NS_24const_host_device_scalarIT1_EES3_PKS3_PKT2_SC_S9_PKT4_PKT5_S7_PT6_21rocsparse_index_base_b ; -- Begin function _ZN9rocsparseL18bsrxmvn_3x3_kernelILj256ELj8E21rocsparse_complex_numIfEllfS2_S2_EEvT3_20rocsparse_direction_NS_24const_host_device_scalarIT1_EES3_PKS3_PKT2_SC_S9_PKT4_PKT5_S7_PT6_21rocsparse_index_base_b
	.p2align	8
	.type	_ZN9rocsparseL18bsrxmvn_3x3_kernelILj256ELj8E21rocsparse_complex_numIfEllfS2_S2_EEvT3_20rocsparse_direction_NS_24const_host_device_scalarIT1_EES3_PKS3_PKT2_SC_S9_PKT4_PKT5_S7_PT6_21rocsparse_index_base_b,@function
_ZN9rocsparseL18bsrxmvn_3x3_kernelILj256ELj8E21rocsparse_complex_numIfEllfS2_S2_EEvT3_20rocsparse_direction_NS_24const_host_device_scalarIT1_EES3_PKS3_PKT2_SC_S9_PKT4_PKT5_S7_PT6_21rocsparse_index_base_b: ; @_ZN9rocsparseL18bsrxmvn_3x3_kernelILj256ELj8E21rocsparse_complex_numIfEllfS2_S2_EEvT3_20rocsparse_direction_NS_24const_host_device_scalarIT1_EES3_PKS3_PKT2_SC_S9_PKT4_PKT5_S7_PT6_21rocsparse_index_base_b
; %bb.0:
	s_load_dwordx2 s[12:13], s[0:1], 0x60
	s_load_dwordx4 s[8:11], s[0:1], 0x10
	s_load_dwordx2 s[6:7], s[0:1], 0x50
	s_waitcnt lgkmcnt(0)
	s_bitcmp1_b32 s13, 0
	s_cselect_b64 s[4:5], -1, 0
	s_xor_b64 s[14:15], s[4:5], -1
	s_and_b64 vcc, exec, s[4:5]
	v_mov_b32_e32 v2, s8
	s_cbranch_vccnz .LBB131_2
; %bb.1:
	v_mov_b64_e32 v[2:3], s[8:9]
	flat_load_dword v2, v[2:3]
.LBB131_2:
	v_cndmask_b32_e64 v1, 0, 1, s[14:15]
	v_cmp_ne_u32_e64 s[4:5], 1, v1
	s_andn2_b64 vcc, exec, s[14:15]
	v_mov_b32_e32 v3, s9
	s_cbranch_vccz .LBB131_15
; %bb.3:
	s_and_b64 vcc, exec, s[4:5]
	v_mov_b32_e32 v4, s6
	s_cbranch_vccz .LBB131_16
.LBB131_4:
	s_and_b64 vcc, exec, s[4:5]
	v_mov_b32_e32 v5, s7
	s_cbranch_vccnz .LBB131_6
.LBB131_5:
	v_mov_b64_e32 v[6:7], s[6:7]
	flat_load_dword v5, v[6:7] offset:4
.LBB131_6:
	s_waitcnt vmcnt(0) lgkmcnt(0)
	v_and_b32_e32 v1, 0x7fffffff, v2
	v_cmp_eq_u32_e32 vcc, 0, v1
	v_cmp_eq_f32_e64 s[4:5], 0, v3
	s_and_b64 s[8:9], vcc, s[4:5]
	s_mov_b64 s[4:5], -1
	s_and_saveexec_b64 s[6:7], s[8:9]
; %bb.7:
	v_and_b32_e32 v1, 0x7fffffff, v5
	v_cmp_neq_f32_e32 vcc, 1.0, v4
	v_cmp_ne_u32_e64 s[4:5], 0, v1
	s_or_b64 s[4:5], vcc, s[4:5]
	s_orn2_b64 s[4:5], s[4:5], exec
; %bb.8:
	s_or_b64 exec, exec, s[6:7]
	s_and_saveexec_b64 s[6:7], s[4:5]
	s_cbranch_execz .LBB131_14
; %bb.9:
	s_load_dwordx2 s[4:5], s[0:1], 0x20
	v_lshrrev_b32_e32 v1, 3, v0
	v_lshl_or_b32 v8, s2, 5, v1
	v_mov_b32_e32 v9, 0
	s_mov_b64 s[2:3], 0
	s_waitcnt lgkmcnt(0)
	s_cmp_lg_u64 s[4:5], 0
	s_cbranch_scc0 .LBB131_17
; %bb.10:
	v_cmp_gt_i64_e32 vcc, s[10:11], v[8:9]
                                        ; implicit-def: $vgpr6_vgpr7
	s_and_saveexec_b64 s[6:7], vcc
	s_xor_b64 s[6:7], exec, s[6:7]
                                        ; implicit-def: $sgpr14_sgpr15
	s_cbranch_execz .LBB131_12
; %bb.11:
	v_lshl_add_u64 v[6:7], v[8:9], 3, s[4:5]
	global_load_dwordx2 v[6:7], v[6:7], off
	s_mov_b64 s[2:3], exec
	s_mov_b32 s15, 0
	s_waitcnt vmcnt(0)
	v_subrev_co_u32_e32 v6, vcc, s12, v6
	s_nop 1
	v_subbrev_co_u32_e32 v7, vcc, 0, v7, vcc
.LBB131_12:
	s_or_b64 exec, exec, s[6:7]
.LBB131_13:
	s_and_b64 exec, exec, s[2:3]
	s_cbranch_execnz .LBB131_21
.LBB131_14:
	s_endpgm
.LBB131_15:
	v_mov_b64_e32 v[4:5], s[8:9]
	flat_load_dword v3, v[4:5] offset:4
	s_and_b64 vcc, exec, s[4:5]
	v_mov_b32_e32 v4, s6
	s_cbranch_vccnz .LBB131_4
.LBB131_16:
	v_mov_b64_e32 v[4:5], s[6:7]
	flat_load_dword v4, v[4:5]
	s_and_b64 vcc, exec, s[4:5]
	v_mov_b32_e32 v5, s7
	s_cbranch_vccz .LBB131_5
	s_branch .LBB131_6
.LBB131_17:
                                        ; implicit-def: $vgpr6_vgpr7
                                        ; implicit-def: $sgpr14_sgpr15
	s_cbranch_execz .LBB131_13
; %bb.18:
	s_load_dwordx2 s[4:5], s[0:1], 0x0
                                        ; implicit-def: $vgpr6_vgpr7
	s_waitcnt lgkmcnt(0)
	v_cmp_gt_i64_e32 vcc, s[4:5], v[8:9]
	s_and_saveexec_b64 s[4:5], vcc
                                        ; implicit-def: $sgpr14_sgpr15
; %bb.19:
	s_mov_b32 s15, 0
	s_or_b64 s[2:3], s[2:3], exec
	v_mov_b64_e32 v[6:7], v[8:9]
; %bb.20:
	s_or_b64 exec, exec, s[4:5]
	s_and_b64 exec, exec, s[2:3]
	s_cbranch_execz .LBB131_14
.LBB131_21:
	s_load_dwordx8 s[4:11], s[0:1], 0x28
	v_lshlrev_b64 v[8:9], 3, v[6:7]
	v_mov_b32_e32 v14, s15
	v_and_b32_e32 v0, 7, v0
	v_mov_b32_e32 v1, 0
	s_waitcnt lgkmcnt(0)
	v_lshl_add_u64 v[10:11], s[4:5], 0, v[8:9]
	s_cmp_eq_u64 s[6:7], 0
	global_load_dwordx2 v[12:13], v[10:11], off
	v_lshl_add_u64 v[8:9], s[6:7], 0, v[8:9]
	v_lshl_add_u64 v[10:11], v[10:11], 0, 8
	s_cselect_b64 vcc, -1, 0
	v_cndmask_b32_e32 v9, v9, v11, vcc
	v_cndmask_b32_e32 v8, v8, v10, vcc
	global_load_dwordx2 v[10:11], v[8:9], off
	s_load_dword s2, s[0:1], 0x8
	s_load_dwordx2 s[4:5], s[0:1], 0x48
	s_waitcnt lgkmcnt(0)
	s_cmp_eq_u32 s2, 1
	s_waitcnt vmcnt(1)
	v_subrev_co_u32_e32 v8, vcc, s12, v12
	s_nop 1
	v_subb_co_u32_e32 v9, vcc, v13, v14, vcc
	v_lshl_add_u64 v[8:9], v[8:9], 0, v[0:1]
	v_mad_u64_u32 v[12:13], s[2:3], v8, 36, s[10:11]
	s_waitcnt vmcnt(0)
	v_subrev_co_u32_e32 v10, vcc, s12, v10
	s_nop 1
	v_subb_co_u32_e32 v11, vcc, v11, v14, vcc
	v_mov_b32_e32 v14, v13
	v_mad_u64_u32 v[14:15], s[2:3], v9, 36, v[14:15]
	v_mov_b32_e32 v13, v14
	v_cmp_lt_i64_e64 s[2:3], v[8:9], v[10:11]
	s_cbranch_scc1 .LBB131_27
; %bb.22:
	v_mov_b32_e32 v18, v1
	v_mov_b32_e32 v15, v1
	;; [unrolled: 1-line block ×5, first 2 shown]
	s_and_saveexec_b64 s[6:7], s[2:3]
	s_cbranch_execz .LBB131_26
; %bb.23:
	v_mov_b32_e32 v23, 0
	v_lshl_add_u64 v[20:21], v[8:9], 3, s[8:9]
	s_mov_b64 s[10:11], 0
	v_mov_b32_e32 v1, s15
	s_mov_b64 s[16:17], 0x120
	v_bfrev_b32_e32 v24, 1
	v_mov_b64_e32 v[26:27], v[8:9]
	v_mov_b64_e32 v[28:29], v[12:13]
	v_mov_b32_e32 v16, v23
	v_mov_b32_e32 v17, v23
	;; [unrolled: 1-line block ×6, first 2 shown]
.LBB131_24:                             ; =>This Inner Loop Header: Depth=1
	global_load_dwordx2 v[38:39], v[20:21], off
	global_load_dwordx4 v[30:33], v[28:29], off offset:16
	global_load_dwordx4 v[34:37], v[28:29], off
	v_mov_b32_e32 v47, v23
	v_lshl_add_u64 v[26:27], v[26:27], 0, 8
	v_lshl_add_u64 v[20:21], v[20:21], 0, 64
	s_waitcnt vmcnt(2)
	v_subrev_co_u32_e32 v22, vcc, s12, v38
	v_mad_u64_u32 v[42:43], s[18:19], v22, 24, s[4:5]
	s_nop 0
	v_subb_co_u32_e32 v25, vcc, v39, v1, vcc
	v_mov_b32_e32 v22, v43
	v_mad_u64_u32 v[38:39], s[18:19], v25, 24, v[22:23]
	v_mov_b32_e32 v43, v38
	global_load_dwordx4 v[38:41], v[42:43], off
	global_load_dwordx2 v[44:45], v[42:43], off offset:16
	global_load_dword v46, v[28:29], off offset:32
	s_waitcnt vmcnt(3)
	v_mov_b32_e32 v22, v34
	v_mov_b32_e32 v25, v34
	v_cmp_ge_i64_e32 vcc, v[26:27], v[10:11]
	v_lshl_add_u64 v[28:29], v[28:29], 0, s[16:17]
	s_or_b64 s[10:11], vcc, s[10:11]
	s_waitcnt vmcnt(2)
	v_pk_fma_f32 v[18:19], v[38:39], v[22:23], v[18:19] op_sel_hi:[0,1,1]
	v_mov_b32_e32 v22, v35
	v_pk_fma_f32 v[18:19], v[38:39], v[24:25], v[18:19] op_sel:[1,0,0]
	v_mov_b32_e32 v34, v41
	v_mov_b32_e32 v25, v35
	v_pk_fma_f32 v[18:19], v[40:41], v[22:23], v[18:19] op_sel_hi:[0,1,1]
	v_mov_b32_e32 v22, v36
	v_pk_fma_f32 v[18:19], v[34:35], v[24:25], v[18:19] op_sel_hi:[0,1,1]
	v_mov_b32_e32 v25, v36
	s_waitcnt vmcnt(1)
	v_pk_fma_f32 v[18:19], v[44:45], v[22:23], v[18:19] op_sel_hi:[0,1,1]
	v_mov_b32_e32 v22, v37
	v_pk_fma_f32 v[18:19], v[44:45], v[24:25], v[18:19] op_sel:[1,0,0]
	v_pk_fma_f32 v[14:15], v[38:39], v[22:23], v[14:15] op_sel_hi:[0,1,1]
	v_mov_b32_e32 v25, v37
	v_mov_b32_e32 v22, v30
	v_pk_fma_f32 v[14:15], v[38:39], v[24:25], v[14:15] op_sel:[1,0,0]
	v_mov_b32_e32 v25, v30
	v_pk_fma_f32 v[14:15], v[40:41], v[22:23], v[14:15] op_sel_hi:[0,1,1]
	v_mov_b32_e32 v22, v31
	v_pk_fma_f32 v[14:15], v[34:35], v[24:25], v[14:15] op_sel_hi:[0,1,1]
	;; [unrolled: 2-line block ×3, first 2 shown]
	v_mov_b32_e32 v22, v32
	v_pk_fma_f32 v[14:15], v[44:45], v[24:25], v[14:15] op_sel:[1,0,0]
	v_pk_fma_f32 v[16:17], v[38:39], v[22:23], v[16:17] op_sel_hi:[0,1,1]
	v_mov_b32_e32 v25, v32
	v_mov_b32_e32 v22, v33
	v_pk_fma_f32 v[16:17], v[38:39], v[24:25], v[16:17] op_sel:[1,0,0]
	v_mov_b32_e32 v25, v33
	v_pk_fma_f32 v[16:17], v[40:41], v[22:23], v[16:17] op_sel_hi:[0,1,1]
	v_pk_fma_f32 v[16:17], v[34:35], v[24:25], v[16:17] op_sel_hi:[0,1,1]
	s_waitcnt vmcnt(0)
	v_mov_b32_e32 v25, v46
	v_pk_fma_f32 v[16:17], v[44:45], v[46:47], v[16:17] op_sel_hi:[0,1,1]
	v_pk_fma_f32 v[16:17], v[44:45], v[24:25], v[16:17] op_sel:[1,0,0]
	s_andn2_b64 exec, exec, s[10:11]
	s_cbranch_execnz .LBB131_24
; %bb.25:
	s_or_b64 exec, exec, s[10:11]
	v_mov_b32_e32 v1, v19
.LBB131_26:
	s_or_b64 exec, exec, s[6:7]
	v_mov_b32_e32 v19, v1
	s_cbranch_execz .LBB131_28
	s_branch .LBB131_33
.LBB131_27:
                                        ; implicit-def: $vgpr19
                                        ; implicit-def: $vgpr15
                                        ; implicit-def: $vgpr17
.LBB131_28:
	v_mov_b32_e32 v19, 0
	v_mov_b32_e32 v18, v19
	;; [unrolled: 1-line block ×6, first 2 shown]
	s_and_saveexec_b64 s[6:7], s[2:3]
	s_cbranch_execz .LBB131_32
; %bb.29:
	v_mov_b32_e32 v23, 0
	v_lshl_add_u64 v[20:21], v[8:9], 3, s[8:9]
	s_mov_b64 s[2:3], 0
	v_mov_b32_e32 v1, s15
	s_mov_b64 s[8:9], 0x120
	v_bfrev_b32_e32 v24, 1
	v_mov_b32_e32 v16, v23
	v_mov_b32_e32 v17, v23
	;; [unrolled: 1-line block ×6, first 2 shown]
.LBB131_30:                             ; =>This Inner Loop Header: Depth=1
	global_load_dwordx2 v[34:35], v[20:21], off
	global_load_dwordx4 v[26:29], v[12:13], off offset:16
	global_load_dwordx4 v[30:33], v[12:13], off
	v_mov_b32_e32 v43, v23
	v_lshl_add_u64 v[8:9], v[8:9], 0, 8
	v_lshl_add_u64 v[20:21], v[20:21], 0, 64
	s_waitcnt vmcnt(2)
	v_subrev_co_u32_e32 v22, vcc, s12, v34
	v_mad_u64_u32 v[38:39], s[10:11], v22, 24, s[4:5]
	s_nop 0
	v_subb_co_u32_e32 v25, vcc, v35, v1, vcc
	v_mov_b32_e32 v22, v39
	v_mad_u64_u32 v[34:35], s[10:11], v25, 24, v[22:23]
	v_mov_b32_e32 v39, v34
	global_load_dwordx4 v[34:37], v[38:39], off
	global_load_dwordx2 v[40:41], v[38:39], off offset:16
	global_load_dword v42, v[12:13], off offset:32
	s_waitcnt vmcnt(3)
	v_mov_b32_e32 v22, v30
	v_mov_b32_e32 v25, v30
	v_cmp_ge_i64_e32 vcc, v[8:9], v[10:11]
	v_lshl_add_u64 v[12:13], v[12:13], 0, s[8:9]
	s_or_b64 s[2:3], vcc, s[2:3]
	s_waitcnt vmcnt(2)
	v_pk_fma_f32 v[18:19], v[34:35], v[22:23], v[18:19] op_sel_hi:[0,1,1]
	v_mov_b32_e32 v22, v33
	v_pk_fma_f32 v[18:19], v[34:35], v[24:25], v[18:19] op_sel:[1,0,0]
	v_mov_b32_e32 v30, v37
	v_mov_b32_e32 v25, v33
	v_pk_fma_f32 v[18:19], v[36:37], v[22:23], v[18:19] op_sel_hi:[0,1,1]
	v_mov_b32_e32 v22, v28
	v_pk_fma_f32 v[18:19], v[30:31], v[24:25], v[18:19] op_sel_hi:[0,1,1]
	v_mov_b32_e32 v25, v28
	s_waitcnt vmcnt(1)
	v_pk_fma_f32 v[18:19], v[40:41], v[22:23], v[18:19] op_sel_hi:[0,1,1]
	v_mov_b32_e32 v22, v31
	v_pk_fma_f32 v[18:19], v[40:41], v[24:25], v[18:19] op_sel:[1,0,0]
	v_pk_fma_f32 v[14:15], v[34:35], v[22:23], v[14:15] op_sel_hi:[0,1,1]
	v_mov_b32_e32 v25, v31
	v_mov_b32_e32 v22, v26
	v_pk_fma_f32 v[14:15], v[34:35], v[24:25], v[14:15] op_sel:[1,0,0]
	v_mov_b32_e32 v25, v26
	v_pk_fma_f32 v[14:15], v[36:37], v[22:23], v[14:15] op_sel_hi:[0,1,1]
	v_mov_b32_e32 v22, v29
	v_pk_fma_f32 v[14:15], v[30:31], v[24:25], v[14:15] op_sel_hi:[0,1,1]
	v_mov_b32_e32 v33, v23
	v_mov_b32_e32 v25, v29
	v_pk_fma_f32 v[14:15], v[40:41], v[22:23], v[14:15] op_sel_hi:[0,1,1]
	v_pk_fma_f32 v[16:17], v[34:35], v[32:33], v[16:17] op_sel_hi:[0,1,1]
	v_pk_fma_f32 v[14:15], v[40:41], v[24:25], v[14:15] op_sel:[1,0,0]
	v_mov_b32_e32 v25, v32
	v_mov_b32_e32 v22, v27
	v_pk_fma_f32 v[16:17], v[34:35], v[24:25], v[16:17] op_sel:[1,0,0]
	v_mov_b32_e32 v25, v27
	v_pk_fma_f32 v[16:17], v[36:37], v[22:23], v[16:17] op_sel_hi:[0,1,1]
	v_pk_fma_f32 v[16:17], v[30:31], v[24:25], v[16:17] op_sel_hi:[0,1,1]
	s_waitcnt vmcnt(0)
	v_mov_b32_e32 v25, v42
	v_pk_fma_f32 v[16:17], v[40:41], v[42:43], v[16:17] op_sel_hi:[0,1,1]
	v_pk_fma_f32 v[16:17], v[40:41], v[24:25], v[16:17] op_sel:[1,0,0]
	s_andn2_b64 exec, exec, s[2:3]
	s_cbranch_execnz .LBB131_30
; %bb.31:
	s_or_b64 exec, exec, s[2:3]
.LBB131_32:
	s_or_b64 exec, exec, s[6:7]
.LBB131_33:
	v_mov_b32_dpp v11, v14 row_shr:1 row_mask:0xf bank_mask:0xf
	v_add_f32_e32 v11, v14, v11
	v_mov_b32_dpp v1, v18 row_shr:1 row_mask:0xf bank_mask:0xf
	v_add_f32_e32 v1, v18, v1
	;; [unrolled: 2-line block ×3, first 2 shown]
	v_mov_b32_dpp v9, v19 row_shr:1 row_mask:0xf bank_mask:0xf
	v_mov_b32_dpp v12, v15 row_shr:1 row_mask:0xf bank_mask:0xf
	v_add_f32_e32 v12, v15, v12
	v_add_f32_e32 v9, v19, v9
	v_mov_b32_dpp v8, v1 row_shr:2 row_mask:0xf bank_mask:0xf
	v_mov_b32_dpp v14, v12 row_shr:2 row_mask:0xf bank_mask:0xf
	v_add_f32_e32 v14, v12, v14
	v_mov_b32_dpp v12, v16 row_shr:1 row_mask:0xf bank_mask:0xf
	v_add_f32_e32 v12, v16, v12
	;; [unrolled: 2-line block ×5, first 2 shown]
	v_add_f32_e32 v9, v9, v10
	v_mov_b32_dpp v8, v1 row_shr:4 row_mask:0xf bank_mask:0xe
	v_mov_b32_dpp v16, v12 row_shr:2 row_mask:0xf bank_mask:0xf
	v_add_f32_e32 v17, v12, v16
	v_mov_b32_dpp v10, v9 row_shr:4 row_mask:0xf bank_mask:0xe
	v_mov_b32_dpp v13, v11 row_shr:4 row_mask:0xf bank_mask:0xe
	;; [unrolled: 1-line block ×5, first 2 shown]
	v_cmp_eq_u32_e32 vcc, 7, v0
	s_and_b64 exec, exec, vcc
	s_cbranch_execz .LBB131_14
; %bb.34:
	s_load_dwordx2 s[2:3], s[0:1], 0x58
	v_add_f32_e32 v12, v1, v8
	v_and_b32_e32 v1, 0x7fffffff, v4
	v_cmp_eq_u32_e32 vcc, 0, v1
	v_cmp_eq_f32_e64 s[0:1], 0, v5
	v_add_f32_e32 v16, v9, v10
	v_add_f32_e32 v10, v11, v13
	;; [unrolled: 1-line block ×5, first 2 shown]
	s_and_b64 s[0:1], vcc, s[0:1]
	s_and_saveexec_b64 s[4:5], s[0:1]
	s_xor_b64 s[0:1], exec, s[4:5]
	s_cbranch_execz .LBB131_36
; %bb.35:
	s_waitcnt lgkmcnt(0)
	v_mad_u64_u32 v[20:21], s[4:5], v6, 24, s[2:3]
	v_mov_b32_e32 v4, v21
	v_xor_b32_e32 v18, 0x80000000, v3
	v_mad_u64_u32 v[4:5], s[4:5], v7, 24, v[4:5]
	v_mov_b32_e32 v19, v2
	v_mov_b32_e32 v21, v4
	v_pk_mul_f32 v[4:5], v[16:17], v[18:19] op_sel_hi:[0,1]
	v_pk_mul_f32 v[6:7], v[14:15], v[18:19] op_sel_hi:[0,1]
	v_pk_fma_f32 v[4:5], v[2:3], v[12:13], v[4:5] op_sel_hi:[1,0,1]
	v_pk_fma_f32 v[6:7], v[2:3], v[10:11], v[6:7] op_sel_hi:[1,0,1]
	global_store_dwordx4 v[20:21], v[4:7], off
                                        ; implicit-def: $vgpr6_vgpr7
                                        ; implicit-def: $vgpr12
                                        ; implicit-def: $vgpr16
                                        ; implicit-def: $vgpr10
                                        ; implicit-def: $vgpr14
	s_nop 1
	v_pk_mul_f32 v[4:5], v[8:9], v[18:19] op_sel_hi:[0,1]
	v_pk_fma_f32 v[0:1], v[2:3], v[0:1], v[4:5] op_sel_hi:[1,0,1]
	global_store_dwordx2 v[20:21], v[0:1], off offset:16
                                        ; implicit-def: $vgpr3
                                        ; implicit-def: $vgpr4
                                        ; implicit-def: $vgpr0
                                        ; implicit-def: $vgpr8
.LBB131_36:
	s_andn2_saveexec_b64 s[0:1], s[0:1]
	s_cbranch_execz .LBB131_14
; %bb.37:
	s_waitcnt lgkmcnt(0)
	v_mad_u64_u32 v[22:23], s[0:1], v6, 24, s[2:3]
	v_mov_b32_e32 v6, v23
	v_mad_u64_u32 v[6:7], s[0:1], v7, 24, v[6:7]
	v_mov_b32_e32 v23, v6
	global_load_dwordx4 v[18:21], v[22:23], off
	global_load_dwordx2 v[6:7], v[22:23], off offset:16
	v_xor_b32_e32 v24, 0x80000000, v3
	v_mov_b32_e32 v25, v2
	v_pk_mul_f32 v[16:17], v[16:17], v[24:25] op_sel_hi:[0,1]
	v_pk_mul_f32 v[14:15], v[14:15], v[24:25] op_sel_hi:[0,1]
	;; [unrolled: 1-line block ×3, first 2 shown]
	v_pk_fma_f32 v[12:13], v[2:3], v[12:13], v[16:17] op_sel_hi:[1,0,1]
	v_pk_fma_f32 v[10:11], v[2:3], v[10:11], v[14:15] op_sel_hi:[1,0,1]
	v_xor_b32_e32 v26, 0x80000000, v5
	v_mov_b32_e32 v27, v4
	v_pk_fma_f32 v[0:1], v[2:3], v[0:1], v[8:9] op_sel_hi:[1,0,1]
	s_waitcnt vmcnt(1)
	v_pk_fma_f32 v[2:3], v[4:5], v[18:19], v[12:13] op_sel_hi:[1,0,1]
	v_pk_fma_f32 v[8:9], v[4:5], v[20:21], v[10:11] op_sel_hi:[1,0,1]
	v_mov_b32_e32 v10, v21
	s_waitcnt vmcnt(0)
	v_pk_fma_f32 v[4:5], v[4:5], v[6:7], v[0:1] op_sel_hi:[1,0,1]
	v_pk_fma_f32 v[0:1], v[26:27], v[18:19], v[2:3] op_sel:[0,1,0]
	v_pk_fma_f32 v[2:3], v[26:27], v[10:11], v[8:9] op_sel_hi:[1,0,1]
	v_pk_fma_f32 v[4:5], v[26:27], v[6:7], v[4:5] op_sel:[0,1,0]
	global_store_dwordx4 v[22:23], v[0:3], off
	global_store_dwordx2 v[22:23], v[4:5], off offset:16
	s_endpgm
	.section	.rodata,"a",@progbits
	.p2align	6, 0x0
	.amdhsa_kernel _ZN9rocsparseL18bsrxmvn_3x3_kernelILj256ELj8E21rocsparse_complex_numIfEllfS2_S2_EEvT3_20rocsparse_direction_NS_24const_host_device_scalarIT1_EES3_PKS3_PKT2_SC_S9_PKT4_PKT5_S7_PT6_21rocsparse_index_base_b
		.amdhsa_group_segment_fixed_size 0
		.amdhsa_private_segment_fixed_size 0
		.amdhsa_kernarg_size 104
		.amdhsa_user_sgpr_count 2
		.amdhsa_user_sgpr_dispatch_ptr 0
		.amdhsa_user_sgpr_queue_ptr 0
		.amdhsa_user_sgpr_kernarg_segment_ptr 1
		.amdhsa_user_sgpr_dispatch_id 0
		.amdhsa_user_sgpr_kernarg_preload_length 0
		.amdhsa_user_sgpr_kernarg_preload_offset 0
		.amdhsa_user_sgpr_private_segment_size 0
		.amdhsa_uses_dynamic_stack 0
		.amdhsa_enable_private_segment 0
		.amdhsa_system_sgpr_workgroup_id_x 1
		.amdhsa_system_sgpr_workgroup_id_y 0
		.amdhsa_system_sgpr_workgroup_id_z 0
		.amdhsa_system_sgpr_workgroup_info 0
		.amdhsa_system_vgpr_workitem_id 0
		.amdhsa_next_free_vgpr 48
		.amdhsa_next_free_sgpr 20
		.amdhsa_accum_offset 48
		.amdhsa_reserve_vcc 1
		.amdhsa_float_round_mode_32 0
		.amdhsa_float_round_mode_16_64 0
		.amdhsa_float_denorm_mode_32 3
		.amdhsa_float_denorm_mode_16_64 3
		.amdhsa_dx10_clamp 1
		.amdhsa_ieee_mode 1
		.amdhsa_fp16_overflow 0
		.amdhsa_tg_split 0
		.amdhsa_exception_fp_ieee_invalid_op 0
		.amdhsa_exception_fp_denorm_src 0
		.amdhsa_exception_fp_ieee_div_zero 0
		.amdhsa_exception_fp_ieee_overflow 0
		.amdhsa_exception_fp_ieee_underflow 0
		.amdhsa_exception_fp_ieee_inexact 0
		.amdhsa_exception_int_div_zero 0
	.end_amdhsa_kernel
	.section	.text._ZN9rocsparseL18bsrxmvn_3x3_kernelILj256ELj8E21rocsparse_complex_numIfEllfS2_S2_EEvT3_20rocsparse_direction_NS_24const_host_device_scalarIT1_EES3_PKS3_PKT2_SC_S9_PKT4_PKT5_S7_PT6_21rocsparse_index_base_b,"axG",@progbits,_ZN9rocsparseL18bsrxmvn_3x3_kernelILj256ELj8E21rocsparse_complex_numIfEllfS2_S2_EEvT3_20rocsparse_direction_NS_24const_host_device_scalarIT1_EES3_PKS3_PKT2_SC_S9_PKT4_PKT5_S7_PT6_21rocsparse_index_base_b,comdat
.Lfunc_end131:
	.size	_ZN9rocsparseL18bsrxmvn_3x3_kernelILj256ELj8E21rocsparse_complex_numIfEllfS2_S2_EEvT3_20rocsparse_direction_NS_24const_host_device_scalarIT1_EES3_PKS3_PKT2_SC_S9_PKT4_PKT5_S7_PT6_21rocsparse_index_base_b, .Lfunc_end131-_ZN9rocsparseL18bsrxmvn_3x3_kernelILj256ELj8E21rocsparse_complex_numIfEllfS2_S2_EEvT3_20rocsparse_direction_NS_24const_host_device_scalarIT1_EES3_PKS3_PKT2_SC_S9_PKT4_PKT5_S7_PT6_21rocsparse_index_base_b
                                        ; -- End function
	.section	.AMDGPU.csdata,"",@progbits
; Kernel info:
; codeLenInByte = 2128
; NumSgprs: 26
; NumVgprs: 48
; NumAgprs: 0
; TotalNumVgprs: 48
; ScratchSize: 0
; MemoryBound: 0
; FloatMode: 240
; IeeeMode: 1
; LDSByteSize: 0 bytes/workgroup (compile time only)
; SGPRBlocks: 3
; VGPRBlocks: 5
; NumSGPRsForWavesPerEU: 26
; NumVGPRsForWavesPerEU: 48
; AccumOffset: 48
; Occupancy: 8
; WaveLimiterHint : 1
; COMPUTE_PGM_RSRC2:SCRATCH_EN: 0
; COMPUTE_PGM_RSRC2:USER_SGPR: 2
; COMPUTE_PGM_RSRC2:TRAP_HANDLER: 0
; COMPUTE_PGM_RSRC2:TGID_X_EN: 1
; COMPUTE_PGM_RSRC2:TGID_Y_EN: 0
; COMPUTE_PGM_RSRC2:TGID_Z_EN: 0
; COMPUTE_PGM_RSRC2:TIDIG_COMP_CNT: 0
; COMPUTE_PGM_RSRC3_GFX90A:ACCUM_OFFSET: 11
; COMPUTE_PGM_RSRC3_GFX90A:TG_SPLIT: 0
	.section	.text._ZN9rocsparseL18bsrxmvn_3x3_kernelILj256ELj16E21rocsparse_complex_numIfEllfS2_S2_EEvT3_20rocsparse_direction_NS_24const_host_device_scalarIT1_EES3_PKS3_PKT2_SC_S9_PKT4_PKT5_S7_PT6_21rocsparse_index_base_b,"axG",@progbits,_ZN9rocsparseL18bsrxmvn_3x3_kernelILj256ELj16E21rocsparse_complex_numIfEllfS2_S2_EEvT3_20rocsparse_direction_NS_24const_host_device_scalarIT1_EES3_PKS3_PKT2_SC_S9_PKT4_PKT5_S7_PT6_21rocsparse_index_base_b,comdat
	.globl	_ZN9rocsparseL18bsrxmvn_3x3_kernelILj256ELj16E21rocsparse_complex_numIfEllfS2_S2_EEvT3_20rocsparse_direction_NS_24const_host_device_scalarIT1_EES3_PKS3_PKT2_SC_S9_PKT4_PKT5_S7_PT6_21rocsparse_index_base_b ; -- Begin function _ZN9rocsparseL18bsrxmvn_3x3_kernelILj256ELj16E21rocsparse_complex_numIfEllfS2_S2_EEvT3_20rocsparse_direction_NS_24const_host_device_scalarIT1_EES3_PKS3_PKT2_SC_S9_PKT4_PKT5_S7_PT6_21rocsparse_index_base_b
	.p2align	8
	.type	_ZN9rocsparseL18bsrxmvn_3x3_kernelILj256ELj16E21rocsparse_complex_numIfEllfS2_S2_EEvT3_20rocsparse_direction_NS_24const_host_device_scalarIT1_EES3_PKS3_PKT2_SC_S9_PKT4_PKT5_S7_PT6_21rocsparse_index_base_b,@function
_ZN9rocsparseL18bsrxmvn_3x3_kernelILj256ELj16E21rocsparse_complex_numIfEllfS2_S2_EEvT3_20rocsparse_direction_NS_24const_host_device_scalarIT1_EES3_PKS3_PKT2_SC_S9_PKT4_PKT5_S7_PT6_21rocsparse_index_base_b: ; @_ZN9rocsparseL18bsrxmvn_3x3_kernelILj256ELj16E21rocsparse_complex_numIfEllfS2_S2_EEvT3_20rocsparse_direction_NS_24const_host_device_scalarIT1_EES3_PKS3_PKT2_SC_S9_PKT4_PKT5_S7_PT6_21rocsparse_index_base_b
; %bb.0:
	s_load_dwordx2 s[12:13], s[0:1], 0x60
	s_load_dwordx4 s[8:11], s[0:1], 0x10
	s_load_dwordx2 s[6:7], s[0:1], 0x50
	s_waitcnt lgkmcnt(0)
	s_bitcmp1_b32 s13, 0
	s_cselect_b64 s[4:5], -1, 0
	s_xor_b64 s[14:15], s[4:5], -1
	s_and_b64 vcc, exec, s[4:5]
	v_mov_b32_e32 v2, s8
	s_cbranch_vccnz .LBB132_2
; %bb.1:
	v_mov_b64_e32 v[2:3], s[8:9]
	flat_load_dword v2, v[2:3]
.LBB132_2:
	v_cndmask_b32_e64 v1, 0, 1, s[14:15]
	v_cmp_ne_u32_e64 s[4:5], 1, v1
	s_andn2_b64 vcc, exec, s[14:15]
	v_mov_b32_e32 v3, s9
	s_cbranch_vccz .LBB132_15
; %bb.3:
	s_and_b64 vcc, exec, s[4:5]
	v_mov_b32_e32 v4, s6
	s_cbranch_vccz .LBB132_16
.LBB132_4:
	s_and_b64 vcc, exec, s[4:5]
	v_mov_b32_e32 v5, s7
	s_cbranch_vccnz .LBB132_6
.LBB132_5:
	v_mov_b64_e32 v[6:7], s[6:7]
	flat_load_dword v5, v[6:7] offset:4
.LBB132_6:
	s_waitcnt vmcnt(0) lgkmcnt(0)
	v_and_b32_e32 v1, 0x7fffffff, v2
	v_cmp_eq_u32_e32 vcc, 0, v1
	v_cmp_eq_f32_e64 s[4:5], 0, v3
	s_and_b64 s[8:9], vcc, s[4:5]
	s_mov_b64 s[4:5], -1
	s_and_saveexec_b64 s[6:7], s[8:9]
; %bb.7:
	v_and_b32_e32 v1, 0x7fffffff, v5
	v_cmp_neq_f32_e32 vcc, 1.0, v4
	v_cmp_ne_u32_e64 s[4:5], 0, v1
	s_or_b64 s[4:5], vcc, s[4:5]
	s_orn2_b64 s[4:5], s[4:5], exec
; %bb.8:
	s_or_b64 exec, exec, s[6:7]
	s_and_saveexec_b64 s[6:7], s[4:5]
	s_cbranch_execz .LBB132_14
; %bb.9:
	s_load_dwordx2 s[4:5], s[0:1], 0x20
	v_lshrrev_b32_e32 v1, 4, v0
	v_lshl_or_b32 v8, s2, 4, v1
	v_mov_b32_e32 v9, 0
	s_mov_b64 s[2:3], 0
	s_waitcnt lgkmcnt(0)
	s_cmp_lg_u64 s[4:5], 0
	s_cbranch_scc0 .LBB132_17
; %bb.10:
	v_cmp_gt_i64_e32 vcc, s[10:11], v[8:9]
                                        ; implicit-def: $vgpr6_vgpr7
	s_and_saveexec_b64 s[6:7], vcc
	s_xor_b64 s[6:7], exec, s[6:7]
                                        ; implicit-def: $sgpr14_sgpr15
	s_cbranch_execz .LBB132_12
; %bb.11:
	v_lshl_add_u64 v[6:7], v[8:9], 3, s[4:5]
	global_load_dwordx2 v[6:7], v[6:7], off
	s_mov_b64 s[2:3], exec
	s_mov_b32 s15, 0
	s_waitcnt vmcnt(0)
	v_subrev_co_u32_e32 v6, vcc, s12, v6
	s_nop 1
	v_subbrev_co_u32_e32 v7, vcc, 0, v7, vcc
.LBB132_12:
	s_or_b64 exec, exec, s[6:7]
.LBB132_13:
	s_and_b64 exec, exec, s[2:3]
	s_cbranch_execnz .LBB132_21
.LBB132_14:
	s_endpgm
.LBB132_15:
	v_mov_b64_e32 v[4:5], s[8:9]
	flat_load_dword v3, v[4:5] offset:4
	s_and_b64 vcc, exec, s[4:5]
	v_mov_b32_e32 v4, s6
	s_cbranch_vccnz .LBB132_4
.LBB132_16:
	v_mov_b64_e32 v[4:5], s[6:7]
	flat_load_dword v4, v[4:5]
	s_and_b64 vcc, exec, s[4:5]
	v_mov_b32_e32 v5, s7
	s_cbranch_vccz .LBB132_5
	s_branch .LBB132_6
.LBB132_17:
                                        ; implicit-def: $vgpr6_vgpr7
                                        ; implicit-def: $sgpr14_sgpr15
	s_cbranch_execz .LBB132_13
; %bb.18:
	s_load_dwordx2 s[4:5], s[0:1], 0x0
                                        ; implicit-def: $vgpr6_vgpr7
	s_waitcnt lgkmcnt(0)
	v_cmp_gt_i64_e32 vcc, s[4:5], v[8:9]
	s_and_saveexec_b64 s[4:5], vcc
                                        ; implicit-def: $sgpr14_sgpr15
; %bb.19:
	s_mov_b32 s15, 0
	s_or_b64 s[2:3], s[2:3], exec
	v_mov_b64_e32 v[6:7], v[8:9]
; %bb.20:
	s_or_b64 exec, exec, s[4:5]
	s_and_b64 exec, exec, s[2:3]
	s_cbranch_execz .LBB132_14
.LBB132_21:
	s_load_dwordx8 s[4:11], s[0:1], 0x28
	v_lshlrev_b64 v[8:9], 3, v[6:7]
	v_mov_b32_e32 v14, s15
	v_and_b32_e32 v0, 15, v0
	v_mov_b32_e32 v1, 0
	s_waitcnt lgkmcnt(0)
	v_lshl_add_u64 v[10:11], s[4:5], 0, v[8:9]
	s_cmp_eq_u64 s[6:7], 0
	global_load_dwordx2 v[12:13], v[10:11], off
	v_lshl_add_u64 v[8:9], s[6:7], 0, v[8:9]
	v_lshl_add_u64 v[10:11], v[10:11], 0, 8
	s_cselect_b64 vcc, -1, 0
	v_cndmask_b32_e32 v9, v9, v11, vcc
	v_cndmask_b32_e32 v8, v8, v10, vcc
	global_load_dwordx2 v[10:11], v[8:9], off
	s_load_dword s2, s[0:1], 0x8
	s_load_dwordx2 s[4:5], s[0:1], 0x48
	s_waitcnt lgkmcnt(0)
	s_cmp_eq_u32 s2, 1
	s_waitcnt vmcnt(1)
	v_subrev_co_u32_e32 v8, vcc, s12, v12
	s_nop 1
	v_subb_co_u32_e32 v9, vcc, v13, v14, vcc
	v_lshl_add_u64 v[8:9], v[8:9], 0, v[0:1]
	v_mad_u64_u32 v[12:13], s[2:3], v8, 36, s[10:11]
	s_waitcnt vmcnt(0)
	v_subrev_co_u32_e32 v10, vcc, s12, v10
	s_nop 1
	v_subb_co_u32_e32 v11, vcc, v11, v14, vcc
	v_mov_b32_e32 v14, v13
	v_mad_u64_u32 v[14:15], s[2:3], v9, 36, v[14:15]
	v_mov_b32_e32 v13, v14
	v_cmp_lt_i64_e64 s[2:3], v[8:9], v[10:11]
	s_cbranch_scc1 .LBB132_27
; %bb.22:
	v_mov_b32_e32 v18, v1
	v_mov_b32_e32 v17, v1
	;; [unrolled: 1-line block ×5, first 2 shown]
	s_and_saveexec_b64 s[6:7], s[2:3]
	s_cbranch_execz .LBB132_26
; %bb.23:
	v_mov_b32_e32 v23, 0
	v_lshl_add_u64 v[20:21], v[8:9], 3, s[8:9]
	s_mov_b64 s[10:11], 0
	v_mov_b32_e32 v1, s15
	s_mov_b64 s[16:17], 0x80
	s_mov_b64 s[18:19], 0x240
	v_bfrev_b32_e32 v24, 1
	v_mov_b64_e32 v[26:27], v[8:9]
	v_mov_b64_e32 v[28:29], v[12:13]
	v_mov_b32_e32 v14, v23
	v_mov_b32_e32 v15, v23
	;; [unrolled: 1-line block ×6, first 2 shown]
.LBB132_24:                             ; =>This Inner Loop Header: Depth=1
	global_load_dwordx2 v[38:39], v[20:21], off
	global_load_dwordx4 v[30:33], v[28:29], off offset:16
	global_load_dwordx4 v[34:37], v[28:29], off
	v_mov_b32_e32 v47, v23
	v_lshl_add_u64 v[26:27], v[26:27], 0, 16
	v_lshl_add_u64 v[20:21], v[20:21], 0, s[16:17]
	s_waitcnt vmcnt(2)
	v_subrev_co_u32_e32 v22, vcc, s12, v38
	v_mad_u64_u32 v[42:43], s[20:21], v22, 24, s[4:5]
	s_nop 0
	v_subb_co_u32_e32 v25, vcc, v39, v1, vcc
	v_mov_b32_e32 v22, v43
	v_mad_u64_u32 v[38:39], s[20:21], v25, 24, v[22:23]
	v_mov_b32_e32 v43, v38
	global_load_dwordx4 v[38:41], v[42:43], off
	global_load_dwordx2 v[44:45], v[42:43], off offset:16
	global_load_dword v46, v[28:29], off offset:32
	s_waitcnt vmcnt(3)
	v_mov_b32_e32 v22, v34
	v_mov_b32_e32 v25, v34
	v_cmp_ge_i64_e32 vcc, v[26:27], v[10:11]
	v_lshl_add_u64 v[28:29], v[28:29], 0, s[18:19]
	s_or_b64 s[10:11], vcc, s[10:11]
	s_waitcnt vmcnt(2)
	v_pk_fma_f32 v[18:19], v[38:39], v[22:23], v[18:19] op_sel_hi:[0,1,1]
	v_mov_b32_e32 v22, v35
	v_pk_fma_f32 v[18:19], v[38:39], v[24:25], v[18:19] op_sel:[1,0,0]
	v_mov_b32_e32 v34, v41
	v_mov_b32_e32 v25, v35
	v_pk_fma_f32 v[18:19], v[40:41], v[22:23], v[18:19] op_sel_hi:[0,1,1]
	v_mov_b32_e32 v22, v36
	v_pk_fma_f32 v[18:19], v[34:35], v[24:25], v[18:19] op_sel_hi:[0,1,1]
	v_mov_b32_e32 v25, v36
	s_waitcnt vmcnt(1)
	v_pk_fma_f32 v[18:19], v[44:45], v[22:23], v[18:19] op_sel_hi:[0,1,1]
	v_mov_b32_e32 v22, v37
	v_pk_fma_f32 v[18:19], v[44:45], v[24:25], v[18:19] op_sel:[1,0,0]
	v_pk_fma_f32 v[16:17], v[38:39], v[22:23], v[16:17] op_sel_hi:[0,1,1]
	v_mov_b32_e32 v25, v37
	v_mov_b32_e32 v22, v30
	v_pk_fma_f32 v[16:17], v[38:39], v[24:25], v[16:17] op_sel:[1,0,0]
	v_mov_b32_e32 v25, v30
	v_pk_fma_f32 v[16:17], v[40:41], v[22:23], v[16:17] op_sel_hi:[0,1,1]
	v_mov_b32_e32 v22, v31
	v_pk_fma_f32 v[16:17], v[34:35], v[24:25], v[16:17] op_sel_hi:[0,1,1]
	;; [unrolled: 2-line block ×3, first 2 shown]
	v_mov_b32_e32 v22, v32
	v_pk_fma_f32 v[16:17], v[44:45], v[24:25], v[16:17] op_sel:[1,0,0]
	v_pk_fma_f32 v[14:15], v[38:39], v[22:23], v[14:15] op_sel_hi:[0,1,1]
	v_mov_b32_e32 v25, v32
	v_mov_b32_e32 v22, v33
	v_pk_fma_f32 v[14:15], v[38:39], v[24:25], v[14:15] op_sel:[1,0,0]
	v_mov_b32_e32 v25, v33
	v_pk_fma_f32 v[14:15], v[40:41], v[22:23], v[14:15] op_sel_hi:[0,1,1]
	v_pk_fma_f32 v[14:15], v[34:35], v[24:25], v[14:15] op_sel_hi:[0,1,1]
	s_waitcnt vmcnt(0)
	v_mov_b32_e32 v25, v46
	v_pk_fma_f32 v[14:15], v[44:45], v[46:47], v[14:15] op_sel_hi:[0,1,1]
	v_pk_fma_f32 v[14:15], v[44:45], v[24:25], v[14:15] op_sel:[1,0,0]
	s_andn2_b64 exec, exec, s[10:11]
	s_cbranch_execnz .LBB132_24
; %bb.25:
	s_or_b64 exec, exec, s[10:11]
	v_mov_b32_e32 v1, v19
.LBB132_26:
	s_or_b64 exec, exec, s[6:7]
	v_mov_b32_e32 v19, v1
	s_cbranch_execz .LBB132_28
	s_branch .LBB132_33
.LBB132_27:
                                        ; implicit-def: $vgpr19
                                        ; implicit-def: $vgpr17
                                        ; implicit-def: $vgpr15
.LBB132_28:
	v_mov_b32_e32 v19, 0
	v_mov_b32_e32 v18, v19
	;; [unrolled: 1-line block ×6, first 2 shown]
	s_and_saveexec_b64 s[6:7], s[2:3]
	s_cbranch_execz .LBB132_32
; %bb.29:
	v_mov_b32_e32 v23, 0
	v_lshl_add_u64 v[20:21], v[8:9], 3, s[8:9]
	s_mov_b64 s[2:3], 0
	v_mov_b32_e32 v1, s15
	s_mov_b64 s[8:9], 0x80
	s_mov_b64 s[10:11], 0x240
	v_bfrev_b32_e32 v24, 1
	v_mov_b32_e32 v14, v23
	v_mov_b32_e32 v15, v23
	;; [unrolled: 1-line block ×6, first 2 shown]
.LBB132_30:                             ; =>This Inner Loop Header: Depth=1
	global_load_dwordx2 v[34:35], v[20:21], off
	global_load_dwordx4 v[26:29], v[12:13], off offset:16
	global_load_dwordx4 v[30:33], v[12:13], off
	v_mov_b32_e32 v43, v23
	v_lshl_add_u64 v[8:9], v[8:9], 0, 16
	v_lshl_add_u64 v[20:21], v[20:21], 0, s[8:9]
	s_waitcnt vmcnt(2)
	v_subrev_co_u32_e32 v22, vcc, s12, v34
	v_mad_u64_u32 v[38:39], s[14:15], v22, 24, s[4:5]
	s_nop 0
	v_subb_co_u32_e32 v25, vcc, v35, v1, vcc
	v_mov_b32_e32 v22, v39
	v_mad_u64_u32 v[34:35], s[14:15], v25, 24, v[22:23]
	v_mov_b32_e32 v39, v34
	global_load_dwordx4 v[34:37], v[38:39], off
	global_load_dwordx2 v[40:41], v[38:39], off offset:16
	global_load_dword v42, v[12:13], off offset:32
	s_waitcnt vmcnt(3)
	v_mov_b32_e32 v22, v30
	v_mov_b32_e32 v25, v30
	v_cmp_ge_i64_e32 vcc, v[8:9], v[10:11]
	v_lshl_add_u64 v[12:13], v[12:13], 0, s[10:11]
	s_or_b64 s[2:3], vcc, s[2:3]
	s_waitcnt vmcnt(2)
	v_pk_fma_f32 v[18:19], v[34:35], v[22:23], v[18:19] op_sel_hi:[0,1,1]
	v_mov_b32_e32 v22, v33
	v_pk_fma_f32 v[18:19], v[34:35], v[24:25], v[18:19] op_sel:[1,0,0]
	v_mov_b32_e32 v30, v37
	v_mov_b32_e32 v25, v33
	v_pk_fma_f32 v[18:19], v[36:37], v[22:23], v[18:19] op_sel_hi:[0,1,1]
	v_mov_b32_e32 v22, v28
	v_pk_fma_f32 v[18:19], v[30:31], v[24:25], v[18:19] op_sel_hi:[0,1,1]
	v_mov_b32_e32 v25, v28
	s_waitcnt vmcnt(1)
	v_pk_fma_f32 v[18:19], v[40:41], v[22:23], v[18:19] op_sel_hi:[0,1,1]
	v_mov_b32_e32 v22, v31
	v_pk_fma_f32 v[18:19], v[40:41], v[24:25], v[18:19] op_sel:[1,0,0]
	v_pk_fma_f32 v[16:17], v[34:35], v[22:23], v[16:17] op_sel_hi:[0,1,1]
	v_mov_b32_e32 v25, v31
	v_mov_b32_e32 v22, v26
	v_pk_fma_f32 v[16:17], v[34:35], v[24:25], v[16:17] op_sel:[1,0,0]
	v_mov_b32_e32 v25, v26
	v_pk_fma_f32 v[16:17], v[36:37], v[22:23], v[16:17] op_sel_hi:[0,1,1]
	v_mov_b32_e32 v22, v29
	v_pk_fma_f32 v[16:17], v[30:31], v[24:25], v[16:17] op_sel_hi:[0,1,1]
	v_mov_b32_e32 v33, v23
	v_mov_b32_e32 v25, v29
	v_pk_fma_f32 v[16:17], v[40:41], v[22:23], v[16:17] op_sel_hi:[0,1,1]
	v_pk_fma_f32 v[14:15], v[34:35], v[32:33], v[14:15] op_sel_hi:[0,1,1]
	v_pk_fma_f32 v[16:17], v[40:41], v[24:25], v[16:17] op_sel:[1,0,0]
	v_mov_b32_e32 v25, v32
	v_mov_b32_e32 v22, v27
	v_pk_fma_f32 v[14:15], v[34:35], v[24:25], v[14:15] op_sel:[1,0,0]
	v_mov_b32_e32 v25, v27
	v_pk_fma_f32 v[14:15], v[36:37], v[22:23], v[14:15] op_sel_hi:[0,1,1]
	v_pk_fma_f32 v[14:15], v[30:31], v[24:25], v[14:15] op_sel_hi:[0,1,1]
	s_waitcnt vmcnt(0)
	v_mov_b32_e32 v25, v42
	v_pk_fma_f32 v[14:15], v[40:41], v[42:43], v[14:15] op_sel_hi:[0,1,1]
	v_pk_fma_f32 v[14:15], v[40:41], v[24:25], v[14:15] op_sel:[1,0,0]
	s_andn2_b64 exec, exec, s[2:3]
	s_cbranch_execnz .LBB132_30
; %bb.31:
	s_or_b64 exec, exec, s[2:3]
.LBB132_32:
	s_or_b64 exec, exec, s[6:7]
.LBB132_33:
	v_mov_b32_dpp v11, v16 row_shr:1 row_mask:0xf bank_mask:0xf
	v_add_f32_e32 v11, v16, v11
	v_mov_b32_dpp v9, v19 row_shr:1 row_mask:0xf bank_mask:0xf
	v_mov_b32_dpp v1, v18 row_shr:1 row_mask:0xf bank_mask:0xf
	;; [unrolled: 1-line block ×3, first 2 shown]
	v_add_f32_e32 v11, v11, v12
	v_add_f32_e32 v9, v19, v9
	;; [unrolled: 1-line block ×3, first 2 shown]
	v_mov_b32_dpp v12, v11 row_shr:4 row_mask:0xf bank_mask:0xe
	v_add_f32_e32 v11, v11, v12
	v_mov_b32_dpp v8, v1 row_shr:2 row_mask:0xf bank_mask:0xf
	v_mov_b32_dpp v12, v17 row_shr:1 row_mask:0xf bank_mask:0xf
	v_add_f32_e32 v12, v17, v12
	v_mov_b32_dpp v10, v9 row_shr:2 row_mask:0xf bank_mask:0xf
	v_add_f32_e32 v1, v1, v8
	;; [unrolled: 2-line block ×3, first 2 shown]
	v_add_f32_e32 v9, v9, v10
	v_mov_b32_dpp v8, v1 row_shr:4 row_mask:0xf bank_mask:0xe
	v_mov_b32_dpp v16, v12 row_shr:4 row_mask:0xf bank_mask:0xe
	v_add_f32_e32 v17, v12, v16
	v_mov_b32_dpp v12, v14 row_shr:1 row_mask:0xf bank_mask:0xf
	v_add_f32_e32 v12, v14, v12
	;; [unrolled: 2-line block ×4, first 2 shown]
	v_add_f32_e32 v9, v9, v10
	v_mov_b32_dpp v8, v1 row_shr:8 row_mask:0xf bank_mask:0xc
	v_mov_b32_dpp v14, v12 row_shr:4 row_mask:0xf bank_mask:0xe
	v_add_f32_e32 v19, v12, v14
	v_mov_b32_dpp v12, v15 row_shr:1 row_mask:0xf bank_mask:0xf
	v_add_f32_e32 v12, v15, v12
	v_mov_b32_dpp v10, v9 row_shr:8 row_mask:0xf bank_mask:0xc
	v_mov_b32_dpp v13, v11 row_shr:8 row_mask:0xf bank_mask:0xc
	;; [unrolled: 1-line block ×3, first 2 shown]
	v_add_f32_e32 v12, v12, v14
	v_mov_b32_dpp v18, v17 row_shr:8 row_mask:0xf bank_mask:0xc
	v_mov_b32_dpp v20, v19 row_shr:8 row_mask:0xf bank_mask:0xc
	;; [unrolled: 1-line block ×3, first 2 shown]
	v_add_f32_e32 v15, v12, v14
	v_cmp_eq_u32_e32 vcc, 15, v0
	s_nop 0
	v_mov_b32_dpp v21, v15 row_shr:8 row_mask:0xf bank_mask:0xc
	s_and_b64 exec, exec, vcc
	s_cbranch_execz .LBB132_14
; %bb.34:
	s_load_dwordx2 s[2:3], s[0:1], 0x58
	v_add_f32_e32 v12, v1, v8
	v_and_b32_e32 v1, 0x7fffffff, v4
	v_cmp_eq_u32_e32 vcc, 0, v1
	v_cmp_eq_f32_e64 s[0:1], 0, v5
	v_add_f32_e32 v16, v9, v10
	v_add_f32_e32 v10, v11, v13
	;; [unrolled: 1-line block ×5, first 2 shown]
	s_and_b64 s[0:1], vcc, s[0:1]
	s_and_saveexec_b64 s[4:5], s[0:1]
	s_xor_b64 s[0:1], exec, s[4:5]
	s_cbranch_execz .LBB132_36
; %bb.35:
	s_waitcnt lgkmcnt(0)
	v_mad_u64_u32 v[20:21], s[4:5], v6, 24, s[2:3]
	v_mov_b32_e32 v4, v21
	v_xor_b32_e32 v18, 0x80000000, v3
	v_mad_u64_u32 v[4:5], s[4:5], v7, 24, v[4:5]
	v_mov_b32_e32 v19, v2
	v_mov_b32_e32 v21, v4
	v_pk_mul_f32 v[4:5], v[16:17], v[18:19] op_sel_hi:[0,1]
	v_pk_mul_f32 v[6:7], v[14:15], v[18:19] op_sel_hi:[0,1]
	v_pk_fma_f32 v[4:5], v[2:3], v[12:13], v[4:5] op_sel_hi:[1,0,1]
	v_pk_fma_f32 v[6:7], v[2:3], v[10:11], v[6:7] op_sel_hi:[1,0,1]
	global_store_dwordx4 v[20:21], v[4:7], off
                                        ; implicit-def: $vgpr6_vgpr7
                                        ; implicit-def: $vgpr12
                                        ; implicit-def: $vgpr16
                                        ; implicit-def: $vgpr10
                                        ; implicit-def: $vgpr14
	s_nop 1
	v_pk_mul_f32 v[4:5], v[8:9], v[18:19] op_sel_hi:[0,1]
	v_pk_fma_f32 v[0:1], v[2:3], v[0:1], v[4:5] op_sel_hi:[1,0,1]
	global_store_dwordx2 v[20:21], v[0:1], off offset:16
                                        ; implicit-def: $vgpr3
                                        ; implicit-def: $vgpr4
                                        ; implicit-def: $vgpr0
                                        ; implicit-def: $vgpr8
.LBB132_36:
	s_andn2_saveexec_b64 s[0:1], s[0:1]
	s_cbranch_execz .LBB132_14
; %bb.37:
	s_waitcnt lgkmcnt(0)
	v_mad_u64_u32 v[22:23], s[0:1], v6, 24, s[2:3]
	v_mov_b32_e32 v6, v23
	v_mad_u64_u32 v[6:7], s[0:1], v7, 24, v[6:7]
	v_mov_b32_e32 v23, v6
	global_load_dwordx4 v[18:21], v[22:23], off
	global_load_dwordx2 v[6:7], v[22:23], off offset:16
	v_xor_b32_e32 v24, 0x80000000, v3
	v_mov_b32_e32 v25, v2
	v_pk_mul_f32 v[16:17], v[16:17], v[24:25] op_sel_hi:[0,1]
	v_pk_mul_f32 v[14:15], v[14:15], v[24:25] op_sel_hi:[0,1]
	;; [unrolled: 1-line block ×3, first 2 shown]
	v_pk_fma_f32 v[12:13], v[2:3], v[12:13], v[16:17] op_sel_hi:[1,0,1]
	v_pk_fma_f32 v[10:11], v[2:3], v[10:11], v[14:15] op_sel_hi:[1,0,1]
	v_xor_b32_e32 v26, 0x80000000, v5
	v_mov_b32_e32 v27, v4
	v_pk_fma_f32 v[0:1], v[2:3], v[0:1], v[8:9] op_sel_hi:[1,0,1]
	s_waitcnt vmcnt(1)
	v_pk_fma_f32 v[2:3], v[4:5], v[18:19], v[12:13] op_sel_hi:[1,0,1]
	v_pk_fma_f32 v[8:9], v[4:5], v[20:21], v[10:11] op_sel_hi:[1,0,1]
	v_mov_b32_e32 v10, v21
	s_waitcnt vmcnt(0)
	v_pk_fma_f32 v[4:5], v[4:5], v[6:7], v[0:1] op_sel_hi:[1,0,1]
	v_pk_fma_f32 v[0:1], v[26:27], v[18:19], v[2:3] op_sel:[0,1,0]
	v_pk_fma_f32 v[2:3], v[26:27], v[10:11], v[8:9] op_sel_hi:[1,0,1]
	v_pk_fma_f32 v[4:5], v[26:27], v[6:7], v[4:5] op_sel:[0,1,0]
	global_store_dwordx4 v[22:23], v[0:3], off
	global_store_dwordx2 v[22:23], v[4:5], off offset:16
	s_endpgm
	.section	.rodata,"a",@progbits
	.p2align	6, 0x0
	.amdhsa_kernel _ZN9rocsparseL18bsrxmvn_3x3_kernelILj256ELj16E21rocsparse_complex_numIfEllfS2_S2_EEvT3_20rocsparse_direction_NS_24const_host_device_scalarIT1_EES3_PKS3_PKT2_SC_S9_PKT4_PKT5_S7_PT6_21rocsparse_index_base_b
		.amdhsa_group_segment_fixed_size 0
		.amdhsa_private_segment_fixed_size 0
		.amdhsa_kernarg_size 104
		.amdhsa_user_sgpr_count 2
		.amdhsa_user_sgpr_dispatch_ptr 0
		.amdhsa_user_sgpr_queue_ptr 0
		.amdhsa_user_sgpr_kernarg_segment_ptr 1
		.amdhsa_user_sgpr_dispatch_id 0
		.amdhsa_user_sgpr_kernarg_preload_length 0
		.amdhsa_user_sgpr_kernarg_preload_offset 0
		.amdhsa_user_sgpr_private_segment_size 0
		.amdhsa_uses_dynamic_stack 0
		.amdhsa_enable_private_segment 0
		.amdhsa_system_sgpr_workgroup_id_x 1
		.amdhsa_system_sgpr_workgroup_id_y 0
		.amdhsa_system_sgpr_workgroup_id_z 0
		.amdhsa_system_sgpr_workgroup_info 0
		.amdhsa_system_vgpr_workitem_id 0
		.amdhsa_next_free_vgpr 48
		.amdhsa_next_free_sgpr 22
		.amdhsa_accum_offset 48
		.amdhsa_reserve_vcc 1
		.amdhsa_float_round_mode_32 0
		.amdhsa_float_round_mode_16_64 0
		.amdhsa_float_denorm_mode_32 3
		.amdhsa_float_denorm_mode_16_64 3
		.amdhsa_dx10_clamp 1
		.amdhsa_ieee_mode 1
		.amdhsa_fp16_overflow 0
		.amdhsa_tg_split 0
		.amdhsa_exception_fp_ieee_invalid_op 0
		.amdhsa_exception_fp_denorm_src 0
		.amdhsa_exception_fp_ieee_div_zero 0
		.amdhsa_exception_fp_ieee_overflow 0
		.amdhsa_exception_fp_ieee_underflow 0
		.amdhsa_exception_fp_ieee_inexact 0
		.amdhsa_exception_int_div_zero 0
	.end_amdhsa_kernel
	.section	.text._ZN9rocsparseL18bsrxmvn_3x3_kernelILj256ELj16E21rocsparse_complex_numIfEllfS2_S2_EEvT3_20rocsparse_direction_NS_24const_host_device_scalarIT1_EES3_PKS3_PKT2_SC_S9_PKT4_PKT5_S7_PT6_21rocsparse_index_base_b,"axG",@progbits,_ZN9rocsparseL18bsrxmvn_3x3_kernelILj256ELj16E21rocsparse_complex_numIfEllfS2_S2_EEvT3_20rocsparse_direction_NS_24const_host_device_scalarIT1_EES3_PKS3_PKT2_SC_S9_PKT4_PKT5_S7_PT6_21rocsparse_index_base_b,comdat
.Lfunc_end132:
	.size	_ZN9rocsparseL18bsrxmvn_3x3_kernelILj256ELj16E21rocsparse_complex_numIfEllfS2_S2_EEvT3_20rocsparse_direction_NS_24const_host_device_scalarIT1_EES3_PKS3_PKT2_SC_S9_PKT4_PKT5_S7_PT6_21rocsparse_index_base_b, .Lfunc_end132-_ZN9rocsparseL18bsrxmvn_3x3_kernelILj256ELj16E21rocsparse_complex_numIfEllfS2_S2_EEvT3_20rocsparse_direction_NS_24const_host_device_scalarIT1_EES3_PKS3_PKT2_SC_S9_PKT4_PKT5_S7_PT6_21rocsparse_index_base_b
                                        ; -- End function
	.section	.AMDGPU.csdata,"",@progbits
; Kernel info:
; codeLenInByte = 2220
; NumSgprs: 28
; NumVgprs: 48
; NumAgprs: 0
; TotalNumVgprs: 48
; ScratchSize: 0
; MemoryBound: 0
; FloatMode: 240
; IeeeMode: 1
; LDSByteSize: 0 bytes/workgroup (compile time only)
; SGPRBlocks: 3
; VGPRBlocks: 5
; NumSGPRsForWavesPerEU: 28
; NumVGPRsForWavesPerEU: 48
; AccumOffset: 48
; Occupancy: 8
; WaveLimiterHint : 1
; COMPUTE_PGM_RSRC2:SCRATCH_EN: 0
; COMPUTE_PGM_RSRC2:USER_SGPR: 2
; COMPUTE_PGM_RSRC2:TRAP_HANDLER: 0
; COMPUTE_PGM_RSRC2:TGID_X_EN: 1
; COMPUTE_PGM_RSRC2:TGID_Y_EN: 0
; COMPUTE_PGM_RSRC2:TGID_Z_EN: 0
; COMPUTE_PGM_RSRC2:TIDIG_COMP_CNT: 0
; COMPUTE_PGM_RSRC3_GFX90A:ACCUM_OFFSET: 11
; COMPUTE_PGM_RSRC3_GFX90A:TG_SPLIT: 0
	.section	.text._ZN9rocsparseL18bsrxmvn_3x3_kernelILj256ELj32E21rocsparse_complex_numIfEllfS2_S2_EEvT3_20rocsparse_direction_NS_24const_host_device_scalarIT1_EES3_PKS3_PKT2_SC_S9_PKT4_PKT5_S7_PT6_21rocsparse_index_base_b,"axG",@progbits,_ZN9rocsparseL18bsrxmvn_3x3_kernelILj256ELj32E21rocsparse_complex_numIfEllfS2_S2_EEvT3_20rocsparse_direction_NS_24const_host_device_scalarIT1_EES3_PKS3_PKT2_SC_S9_PKT4_PKT5_S7_PT6_21rocsparse_index_base_b,comdat
	.globl	_ZN9rocsparseL18bsrxmvn_3x3_kernelILj256ELj32E21rocsparse_complex_numIfEllfS2_S2_EEvT3_20rocsparse_direction_NS_24const_host_device_scalarIT1_EES3_PKS3_PKT2_SC_S9_PKT4_PKT5_S7_PT6_21rocsparse_index_base_b ; -- Begin function _ZN9rocsparseL18bsrxmvn_3x3_kernelILj256ELj32E21rocsparse_complex_numIfEllfS2_S2_EEvT3_20rocsparse_direction_NS_24const_host_device_scalarIT1_EES3_PKS3_PKT2_SC_S9_PKT4_PKT5_S7_PT6_21rocsparse_index_base_b
	.p2align	8
	.type	_ZN9rocsparseL18bsrxmvn_3x3_kernelILj256ELj32E21rocsparse_complex_numIfEllfS2_S2_EEvT3_20rocsparse_direction_NS_24const_host_device_scalarIT1_EES3_PKS3_PKT2_SC_S9_PKT4_PKT5_S7_PT6_21rocsparse_index_base_b,@function
_ZN9rocsparseL18bsrxmvn_3x3_kernelILj256ELj32E21rocsparse_complex_numIfEllfS2_S2_EEvT3_20rocsparse_direction_NS_24const_host_device_scalarIT1_EES3_PKS3_PKT2_SC_S9_PKT4_PKT5_S7_PT6_21rocsparse_index_base_b: ; @_ZN9rocsparseL18bsrxmvn_3x3_kernelILj256ELj32E21rocsparse_complex_numIfEllfS2_S2_EEvT3_20rocsparse_direction_NS_24const_host_device_scalarIT1_EES3_PKS3_PKT2_SC_S9_PKT4_PKT5_S7_PT6_21rocsparse_index_base_b
; %bb.0:
	s_load_dwordx2 s[12:13], s[0:1], 0x60
	s_load_dwordx4 s[8:11], s[0:1], 0x10
	s_load_dwordx2 s[6:7], s[0:1], 0x50
	s_waitcnt lgkmcnt(0)
	s_bitcmp1_b32 s13, 0
	s_cselect_b64 s[4:5], -1, 0
	s_xor_b64 s[14:15], s[4:5], -1
	s_and_b64 vcc, exec, s[4:5]
	v_mov_b32_e32 v2, s8
	s_cbranch_vccnz .LBB133_2
; %bb.1:
	v_mov_b64_e32 v[2:3], s[8:9]
	flat_load_dword v2, v[2:3]
.LBB133_2:
	v_cndmask_b32_e64 v1, 0, 1, s[14:15]
	v_cmp_ne_u32_e64 s[4:5], 1, v1
	s_andn2_b64 vcc, exec, s[14:15]
	v_mov_b32_e32 v3, s9
	s_cbranch_vccz .LBB133_15
; %bb.3:
	s_and_b64 vcc, exec, s[4:5]
	v_mov_b32_e32 v4, s6
	s_cbranch_vccz .LBB133_16
.LBB133_4:
	s_and_b64 vcc, exec, s[4:5]
	v_mov_b32_e32 v5, s7
	s_cbranch_vccnz .LBB133_6
.LBB133_5:
	v_mov_b64_e32 v[6:7], s[6:7]
	flat_load_dword v5, v[6:7] offset:4
.LBB133_6:
	s_waitcnt vmcnt(0) lgkmcnt(0)
	v_and_b32_e32 v1, 0x7fffffff, v2
	v_cmp_eq_u32_e32 vcc, 0, v1
	v_cmp_eq_f32_e64 s[4:5], 0, v3
	s_and_b64 s[8:9], vcc, s[4:5]
	s_mov_b64 s[4:5], -1
	s_and_saveexec_b64 s[6:7], s[8:9]
; %bb.7:
	v_and_b32_e32 v1, 0x7fffffff, v5
	v_cmp_neq_f32_e32 vcc, 1.0, v4
	v_cmp_ne_u32_e64 s[4:5], 0, v1
	s_or_b64 s[4:5], vcc, s[4:5]
	s_orn2_b64 s[4:5], s[4:5], exec
; %bb.8:
	s_or_b64 exec, exec, s[6:7]
	s_and_saveexec_b64 s[6:7], s[4:5]
	s_cbranch_execz .LBB133_14
; %bb.9:
	s_load_dwordx2 s[4:5], s[0:1], 0x20
	v_lshrrev_b32_e32 v1, 5, v0
	v_lshl_or_b32 v8, s2, 3, v1
	v_mov_b32_e32 v9, 0
	s_mov_b64 s[2:3], 0
	s_waitcnt lgkmcnt(0)
	s_cmp_lg_u64 s[4:5], 0
	s_cbranch_scc0 .LBB133_17
; %bb.10:
	v_cmp_gt_i64_e32 vcc, s[10:11], v[8:9]
                                        ; implicit-def: $vgpr6_vgpr7
	s_and_saveexec_b64 s[6:7], vcc
	s_xor_b64 s[6:7], exec, s[6:7]
                                        ; implicit-def: $sgpr14_sgpr15
	s_cbranch_execz .LBB133_12
; %bb.11:
	v_lshl_add_u64 v[6:7], v[8:9], 3, s[4:5]
	global_load_dwordx2 v[6:7], v[6:7], off
	s_mov_b64 s[2:3], exec
	s_mov_b32 s15, 0
	s_waitcnt vmcnt(0)
	v_subrev_co_u32_e32 v6, vcc, s12, v6
	s_nop 1
	v_subbrev_co_u32_e32 v7, vcc, 0, v7, vcc
.LBB133_12:
	s_or_b64 exec, exec, s[6:7]
.LBB133_13:
	s_and_b64 exec, exec, s[2:3]
	s_cbranch_execnz .LBB133_21
.LBB133_14:
	s_endpgm
.LBB133_15:
	v_mov_b64_e32 v[4:5], s[8:9]
	flat_load_dword v3, v[4:5] offset:4
	s_and_b64 vcc, exec, s[4:5]
	v_mov_b32_e32 v4, s6
	s_cbranch_vccnz .LBB133_4
.LBB133_16:
	v_mov_b64_e32 v[4:5], s[6:7]
	flat_load_dword v4, v[4:5]
	s_and_b64 vcc, exec, s[4:5]
	v_mov_b32_e32 v5, s7
	s_cbranch_vccz .LBB133_5
	s_branch .LBB133_6
.LBB133_17:
                                        ; implicit-def: $vgpr6_vgpr7
                                        ; implicit-def: $sgpr14_sgpr15
	s_cbranch_execz .LBB133_13
; %bb.18:
	s_load_dwordx2 s[4:5], s[0:1], 0x0
                                        ; implicit-def: $vgpr6_vgpr7
	s_waitcnt lgkmcnt(0)
	v_cmp_gt_i64_e32 vcc, s[4:5], v[8:9]
	s_and_saveexec_b64 s[4:5], vcc
                                        ; implicit-def: $sgpr14_sgpr15
; %bb.19:
	s_mov_b32 s15, 0
	s_or_b64 s[2:3], s[2:3], exec
	v_mov_b64_e32 v[6:7], v[8:9]
; %bb.20:
	s_or_b64 exec, exec, s[4:5]
	s_and_b64 exec, exec, s[2:3]
	s_cbranch_execz .LBB133_14
.LBB133_21:
	s_load_dwordx8 s[4:11], s[0:1], 0x28
	v_lshlrev_b64 v[8:9], 3, v[6:7]
	v_mov_b32_e32 v14, s15
	v_and_b32_e32 v0, 31, v0
	v_mov_b32_e32 v1, 0
	s_waitcnt lgkmcnt(0)
	v_lshl_add_u64 v[10:11], s[4:5], 0, v[8:9]
	s_cmp_eq_u64 s[6:7], 0
	global_load_dwordx2 v[12:13], v[10:11], off
	v_lshl_add_u64 v[8:9], s[6:7], 0, v[8:9]
	v_lshl_add_u64 v[10:11], v[10:11], 0, 8
	s_cselect_b64 vcc, -1, 0
	v_cndmask_b32_e32 v9, v9, v11, vcc
	v_cndmask_b32_e32 v8, v8, v10, vcc
	global_load_dwordx2 v[10:11], v[8:9], off
	s_load_dword s2, s[0:1], 0x8
	s_load_dwordx2 s[4:5], s[0:1], 0x48
	s_waitcnt lgkmcnt(0)
	s_cmp_eq_u32 s2, 1
	s_waitcnt vmcnt(1)
	v_subrev_co_u32_e32 v8, vcc, s12, v12
	s_nop 1
	v_subb_co_u32_e32 v9, vcc, v13, v14, vcc
	v_lshl_add_u64 v[8:9], v[8:9], 0, v[0:1]
	v_mad_u64_u32 v[12:13], s[2:3], v8, 36, s[10:11]
	s_waitcnt vmcnt(0)
	v_subrev_co_u32_e32 v10, vcc, s12, v10
	s_nop 1
	v_subb_co_u32_e32 v11, vcc, v11, v14, vcc
	v_mov_b32_e32 v14, v13
	v_mad_u64_u32 v[14:15], s[2:3], v9, 36, v[14:15]
	v_mov_b32_e32 v13, v14
	v_cmp_lt_i64_e64 s[2:3], v[8:9], v[10:11]
	s_cbranch_scc1 .LBB133_27
; %bb.22:
	v_mov_b32_e32 v18, v1
	v_mov_b32_e32 v17, v1
	;; [unrolled: 1-line block ×5, first 2 shown]
	s_and_saveexec_b64 s[6:7], s[2:3]
	s_cbranch_execz .LBB133_26
; %bb.23:
	v_mov_b32_e32 v23, 0
	v_lshl_add_u64 v[20:21], v[8:9], 3, s[8:9]
	s_mov_b64 s[10:11], 0
	v_mov_b32_e32 v1, s15
	s_mov_b64 s[16:17], 0x100
	s_mov_b64 s[18:19], 0x480
	v_bfrev_b32_e32 v24, 1
	v_mov_b64_e32 v[26:27], v[8:9]
	v_mov_b64_e32 v[28:29], v[12:13]
	v_mov_b32_e32 v14, v23
	v_mov_b32_e32 v15, v23
	;; [unrolled: 1-line block ×6, first 2 shown]
.LBB133_24:                             ; =>This Inner Loop Header: Depth=1
	global_load_dwordx2 v[38:39], v[20:21], off
	global_load_dwordx4 v[30:33], v[28:29], off offset:16
	global_load_dwordx4 v[34:37], v[28:29], off
	v_mov_b32_e32 v47, v23
	v_lshl_add_u64 v[26:27], v[26:27], 0, 32
	v_lshl_add_u64 v[20:21], v[20:21], 0, s[16:17]
	s_waitcnt vmcnt(2)
	v_subrev_co_u32_e32 v22, vcc, s12, v38
	v_mad_u64_u32 v[42:43], s[20:21], v22, 24, s[4:5]
	s_nop 0
	v_subb_co_u32_e32 v25, vcc, v39, v1, vcc
	v_mov_b32_e32 v22, v43
	v_mad_u64_u32 v[38:39], s[20:21], v25, 24, v[22:23]
	v_mov_b32_e32 v43, v38
	global_load_dwordx4 v[38:41], v[42:43], off
	global_load_dwordx2 v[44:45], v[42:43], off offset:16
	global_load_dword v46, v[28:29], off offset:32
	s_waitcnt vmcnt(3)
	v_mov_b32_e32 v22, v34
	v_mov_b32_e32 v25, v34
	v_cmp_ge_i64_e32 vcc, v[26:27], v[10:11]
	v_lshl_add_u64 v[28:29], v[28:29], 0, s[18:19]
	s_or_b64 s[10:11], vcc, s[10:11]
	s_waitcnt vmcnt(2)
	v_pk_fma_f32 v[18:19], v[38:39], v[22:23], v[18:19] op_sel_hi:[0,1,1]
	v_mov_b32_e32 v22, v35
	v_pk_fma_f32 v[18:19], v[38:39], v[24:25], v[18:19] op_sel:[1,0,0]
	v_mov_b32_e32 v34, v41
	v_mov_b32_e32 v25, v35
	v_pk_fma_f32 v[18:19], v[40:41], v[22:23], v[18:19] op_sel_hi:[0,1,1]
	v_mov_b32_e32 v22, v36
	v_pk_fma_f32 v[18:19], v[34:35], v[24:25], v[18:19] op_sel_hi:[0,1,1]
	v_mov_b32_e32 v25, v36
	s_waitcnt vmcnt(1)
	v_pk_fma_f32 v[18:19], v[44:45], v[22:23], v[18:19] op_sel_hi:[0,1,1]
	v_mov_b32_e32 v22, v37
	v_pk_fma_f32 v[18:19], v[44:45], v[24:25], v[18:19] op_sel:[1,0,0]
	v_pk_fma_f32 v[16:17], v[38:39], v[22:23], v[16:17] op_sel_hi:[0,1,1]
	v_mov_b32_e32 v25, v37
	v_mov_b32_e32 v22, v30
	v_pk_fma_f32 v[16:17], v[38:39], v[24:25], v[16:17] op_sel:[1,0,0]
	v_mov_b32_e32 v25, v30
	v_pk_fma_f32 v[16:17], v[40:41], v[22:23], v[16:17] op_sel_hi:[0,1,1]
	v_mov_b32_e32 v22, v31
	v_pk_fma_f32 v[16:17], v[34:35], v[24:25], v[16:17] op_sel_hi:[0,1,1]
	;; [unrolled: 2-line block ×3, first 2 shown]
	v_mov_b32_e32 v22, v32
	v_pk_fma_f32 v[16:17], v[44:45], v[24:25], v[16:17] op_sel:[1,0,0]
	v_pk_fma_f32 v[14:15], v[38:39], v[22:23], v[14:15] op_sel_hi:[0,1,1]
	v_mov_b32_e32 v25, v32
	v_mov_b32_e32 v22, v33
	v_pk_fma_f32 v[14:15], v[38:39], v[24:25], v[14:15] op_sel:[1,0,0]
	v_mov_b32_e32 v25, v33
	v_pk_fma_f32 v[14:15], v[40:41], v[22:23], v[14:15] op_sel_hi:[0,1,1]
	v_pk_fma_f32 v[14:15], v[34:35], v[24:25], v[14:15] op_sel_hi:[0,1,1]
	s_waitcnt vmcnt(0)
	v_mov_b32_e32 v25, v46
	v_pk_fma_f32 v[14:15], v[44:45], v[46:47], v[14:15] op_sel_hi:[0,1,1]
	v_pk_fma_f32 v[14:15], v[44:45], v[24:25], v[14:15] op_sel:[1,0,0]
	s_andn2_b64 exec, exec, s[10:11]
	s_cbranch_execnz .LBB133_24
; %bb.25:
	s_or_b64 exec, exec, s[10:11]
	v_mov_b32_e32 v1, v19
.LBB133_26:
	s_or_b64 exec, exec, s[6:7]
	v_mov_b32_e32 v19, v1
	s_cbranch_execz .LBB133_28
	s_branch .LBB133_33
.LBB133_27:
                                        ; implicit-def: $vgpr19
                                        ; implicit-def: $vgpr17
                                        ; implicit-def: $vgpr15
.LBB133_28:
	v_mov_b32_e32 v19, 0
	v_mov_b32_e32 v18, v19
	;; [unrolled: 1-line block ×6, first 2 shown]
	s_and_saveexec_b64 s[6:7], s[2:3]
	s_cbranch_execz .LBB133_32
; %bb.29:
	v_mov_b32_e32 v23, 0
	v_lshl_add_u64 v[20:21], v[8:9], 3, s[8:9]
	s_mov_b64 s[2:3], 0
	v_mov_b32_e32 v1, s15
	s_mov_b64 s[8:9], 0x100
	s_mov_b64 s[10:11], 0x480
	v_bfrev_b32_e32 v24, 1
	v_mov_b32_e32 v14, v23
	v_mov_b32_e32 v15, v23
	;; [unrolled: 1-line block ×6, first 2 shown]
.LBB133_30:                             ; =>This Inner Loop Header: Depth=1
	global_load_dwordx2 v[34:35], v[20:21], off
	global_load_dwordx4 v[26:29], v[12:13], off offset:16
	global_load_dwordx4 v[30:33], v[12:13], off
	v_mov_b32_e32 v43, v23
	v_lshl_add_u64 v[8:9], v[8:9], 0, 32
	v_lshl_add_u64 v[20:21], v[20:21], 0, s[8:9]
	s_waitcnt vmcnt(2)
	v_subrev_co_u32_e32 v22, vcc, s12, v34
	v_mad_u64_u32 v[38:39], s[14:15], v22, 24, s[4:5]
	s_nop 0
	v_subb_co_u32_e32 v25, vcc, v35, v1, vcc
	v_mov_b32_e32 v22, v39
	v_mad_u64_u32 v[34:35], s[14:15], v25, 24, v[22:23]
	v_mov_b32_e32 v39, v34
	global_load_dwordx4 v[34:37], v[38:39], off
	global_load_dwordx2 v[40:41], v[38:39], off offset:16
	global_load_dword v42, v[12:13], off offset:32
	s_waitcnt vmcnt(3)
	v_mov_b32_e32 v22, v30
	v_mov_b32_e32 v25, v30
	v_cmp_ge_i64_e32 vcc, v[8:9], v[10:11]
	v_lshl_add_u64 v[12:13], v[12:13], 0, s[10:11]
	s_or_b64 s[2:3], vcc, s[2:3]
	s_waitcnt vmcnt(2)
	v_pk_fma_f32 v[18:19], v[34:35], v[22:23], v[18:19] op_sel_hi:[0,1,1]
	v_mov_b32_e32 v22, v33
	v_pk_fma_f32 v[18:19], v[34:35], v[24:25], v[18:19] op_sel:[1,0,0]
	v_mov_b32_e32 v30, v37
	v_mov_b32_e32 v25, v33
	v_pk_fma_f32 v[18:19], v[36:37], v[22:23], v[18:19] op_sel_hi:[0,1,1]
	v_mov_b32_e32 v22, v28
	v_pk_fma_f32 v[18:19], v[30:31], v[24:25], v[18:19] op_sel_hi:[0,1,1]
	v_mov_b32_e32 v25, v28
	s_waitcnt vmcnt(1)
	v_pk_fma_f32 v[18:19], v[40:41], v[22:23], v[18:19] op_sel_hi:[0,1,1]
	v_mov_b32_e32 v22, v31
	v_pk_fma_f32 v[18:19], v[40:41], v[24:25], v[18:19] op_sel:[1,0,0]
	v_pk_fma_f32 v[16:17], v[34:35], v[22:23], v[16:17] op_sel_hi:[0,1,1]
	v_mov_b32_e32 v25, v31
	v_mov_b32_e32 v22, v26
	v_pk_fma_f32 v[16:17], v[34:35], v[24:25], v[16:17] op_sel:[1,0,0]
	v_mov_b32_e32 v25, v26
	v_pk_fma_f32 v[16:17], v[36:37], v[22:23], v[16:17] op_sel_hi:[0,1,1]
	v_mov_b32_e32 v22, v29
	v_pk_fma_f32 v[16:17], v[30:31], v[24:25], v[16:17] op_sel_hi:[0,1,1]
	v_mov_b32_e32 v33, v23
	v_mov_b32_e32 v25, v29
	v_pk_fma_f32 v[16:17], v[40:41], v[22:23], v[16:17] op_sel_hi:[0,1,1]
	v_pk_fma_f32 v[14:15], v[34:35], v[32:33], v[14:15] op_sel_hi:[0,1,1]
	v_pk_fma_f32 v[16:17], v[40:41], v[24:25], v[16:17] op_sel:[1,0,0]
	v_mov_b32_e32 v25, v32
	v_mov_b32_e32 v22, v27
	v_pk_fma_f32 v[14:15], v[34:35], v[24:25], v[14:15] op_sel:[1,0,0]
	v_mov_b32_e32 v25, v27
	v_pk_fma_f32 v[14:15], v[36:37], v[22:23], v[14:15] op_sel_hi:[0,1,1]
	v_pk_fma_f32 v[14:15], v[30:31], v[24:25], v[14:15] op_sel_hi:[0,1,1]
	s_waitcnt vmcnt(0)
	v_mov_b32_e32 v25, v42
	v_pk_fma_f32 v[14:15], v[40:41], v[42:43], v[14:15] op_sel_hi:[0,1,1]
	v_pk_fma_f32 v[14:15], v[40:41], v[24:25], v[14:15] op_sel:[1,0,0]
	s_andn2_b64 exec, exec, s[2:3]
	s_cbranch_execnz .LBB133_30
; %bb.31:
	s_or_b64 exec, exec, s[2:3]
.LBB133_32:
	s_or_b64 exec, exec, s[6:7]
.LBB133_33:
	v_mov_b32_dpp v11, v16 row_shr:1 row_mask:0xf bank_mask:0xf
	v_add_f32_e32 v11, v16, v11
	v_mov_b32_dpp v9, v19 row_shr:1 row_mask:0xf bank_mask:0xf
	v_mov_b32_dpp v1, v18 row_shr:1 row_mask:0xf bank_mask:0xf
	v_mov_b32_dpp v12, v11 row_shr:2 row_mask:0xf bank_mask:0xf
	v_add_f32_e32 v11, v11, v12
	v_add_f32_e32 v9, v19, v9
	;; [unrolled: 1-line block ×3, first 2 shown]
	v_mov_b32_dpp v12, v11 row_shr:4 row_mask:0xf bank_mask:0xe
	v_add_f32_e32 v11, v11, v12
	v_mov_b32_dpp v8, v1 row_shr:2 row_mask:0xf bank_mask:0xf
	v_mov_b32_dpp v10, v9 row_shr:2 row_mask:0xf bank_mask:0xf
	;; [unrolled: 1-line block ×3, first 2 shown]
	v_add_f32_e32 v11, v11, v12
	v_add_f32_e32 v1, v1, v8
	v_mov_b32_dpp v12, v17 row_shr:1 row_mask:0xf bank_mask:0xf
	v_add_f32_e32 v12, v17, v12
	v_add_f32_e32 v9, v9, v10
	v_mov_b32_dpp v8, v1 row_shr:4 row_mask:0xf bank_mask:0xe
	v_mov_b32_dpp v16, v12 row_shr:2 row_mask:0xf bank_mask:0xf
	v_add_f32_e32 v12, v12, v16
	v_mov_b32_dpp v10, v9 row_shr:4 row_mask:0xf bank_mask:0xe
	v_add_f32_e32 v1, v1, v8
	;; [unrolled: 2-line block ×3, first 2 shown]
	v_add_f32_e32 v9, v9, v10
	v_mov_b32_dpp v8, v1 row_shr:8 row_mask:0xf bank_mask:0xc
	v_mov_b32_dpp v16, v12 row_shr:8 row_mask:0xf bank_mask:0xc
	v_add_f32_e32 v17, v12, v16
	v_mov_b32_dpp v12, v14 row_shr:1 row_mask:0xf bank_mask:0xf
	v_add_f32_e32 v12, v14, v12
	;; [unrolled: 2-line block ×4, first 2 shown]
	v_add_f32_e32 v9, v9, v10
	v_mov_b32_dpp v8, v1 row_bcast:15 row_mask:0xa bank_mask:0xf
	v_mov_b32_dpp v14, v12 row_shr:4 row_mask:0xf bank_mask:0xe
	v_add_f32_e32 v12, v12, v14
	v_mov_b32_dpp v10, v9 row_bcast:15 row_mask:0xa bank_mask:0xf
	v_mov_b32_dpp v13, v11 row_bcast:15 row_mask:0xa bank_mask:0xf
	v_mov_b32_dpp v14, v12 row_shr:8 row_mask:0xf bank_mask:0xc
	v_add_f32_e32 v19, v12, v14
	v_mov_b32_dpp v12, v15 row_shr:1 row_mask:0xf bank_mask:0xf
	v_add_f32_e32 v12, v15, v12
	v_mov_b32_dpp v18, v17 row_bcast:15 row_mask:0xa bank_mask:0xf
	v_mov_b32_dpp v20, v19 row_bcast:15 row_mask:0xa bank_mask:0xf
	v_mov_b32_dpp v14, v12 row_shr:2 row_mask:0xf bank_mask:0xf
	v_add_f32_e32 v12, v12, v14
	v_cmp_eq_u32_e32 vcc, 31, v0
	s_nop 0
	v_mov_b32_dpp v14, v12 row_shr:4 row_mask:0xf bank_mask:0xe
	v_add_f32_e32 v12, v12, v14
	s_nop 1
	v_mov_b32_dpp v14, v12 row_shr:8 row_mask:0xf bank_mask:0xc
	v_add_f32_e32 v15, v12, v14
	s_nop 1
	v_mov_b32_dpp v21, v15 row_bcast:15 row_mask:0xa bank_mask:0xf
	s_and_b64 exec, exec, vcc
	s_cbranch_execz .LBB133_14
; %bb.34:
	s_load_dwordx2 s[2:3], s[0:1], 0x58
	v_add_f32_e32 v12, v1, v8
	v_and_b32_e32 v1, 0x7fffffff, v4
	v_cmp_eq_u32_e32 vcc, 0, v1
	v_cmp_eq_f32_e64 s[0:1], 0, v5
	v_add_f32_e32 v16, v9, v10
	v_add_f32_e32 v10, v11, v13
	;; [unrolled: 1-line block ×5, first 2 shown]
	s_and_b64 s[0:1], vcc, s[0:1]
	s_and_saveexec_b64 s[4:5], s[0:1]
	s_xor_b64 s[0:1], exec, s[4:5]
	s_cbranch_execz .LBB133_36
; %bb.35:
	s_waitcnt lgkmcnt(0)
	v_mad_u64_u32 v[20:21], s[4:5], v6, 24, s[2:3]
	v_mov_b32_e32 v4, v21
	v_xor_b32_e32 v18, 0x80000000, v3
	v_mad_u64_u32 v[4:5], s[4:5], v7, 24, v[4:5]
	v_mov_b32_e32 v19, v2
	v_mov_b32_e32 v21, v4
	v_pk_mul_f32 v[4:5], v[16:17], v[18:19] op_sel_hi:[0,1]
	v_pk_mul_f32 v[6:7], v[14:15], v[18:19] op_sel_hi:[0,1]
	v_pk_fma_f32 v[4:5], v[2:3], v[12:13], v[4:5] op_sel_hi:[1,0,1]
	v_pk_fma_f32 v[6:7], v[2:3], v[10:11], v[6:7] op_sel_hi:[1,0,1]
	global_store_dwordx4 v[20:21], v[4:7], off
                                        ; implicit-def: $vgpr6_vgpr7
                                        ; implicit-def: $vgpr12
                                        ; implicit-def: $vgpr16
                                        ; implicit-def: $vgpr10
                                        ; implicit-def: $vgpr14
	s_nop 1
	v_pk_mul_f32 v[4:5], v[8:9], v[18:19] op_sel_hi:[0,1]
	v_pk_fma_f32 v[0:1], v[2:3], v[0:1], v[4:5] op_sel_hi:[1,0,1]
	global_store_dwordx2 v[20:21], v[0:1], off offset:16
                                        ; implicit-def: $vgpr3
                                        ; implicit-def: $vgpr4
                                        ; implicit-def: $vgpr0
                                        ; implicit-def: $vgpr8
.LBB133_36:
	s_andn2_saveexec_b64 s[0:1], s[0:1]
	s_cbranch_execz .LBB133_14
; %bb.37:
	s_waitcnt lgkmcnt(0)
	v_mad_u64_u32 v[22:23], s[0:1], v6, 24, s[2:3]
	v_mov_b32_e32 v6, v23
	v_mad_u64_u32 v[6:7], s[0:1], v7, 24, v[6:7]
	v_mov_b32_e32 v23, v6
	global_load_dwordx4 v[18:21], v[22:23], off
	global_load_dwordx2 v[6:7], v[22:23], off offset:16
	v_xor_b32_e32 v24, 0x80000000, v3
	v_mov_b32_e32 v25, v2
	v_pk_mul_f32 v[16:17], v[16:17], v[24:25] op_sel_hi:[0,1]
	v_pk_mul_f32 v[14:15], v[14:15], v[24:25] op_sel_hi:[0,1]
	;; [unrolled: 1-line block ×3, first 2 shown]
	v_pk_fma_f32 v[12:13], v[2:3], v[12:13], v[16:17] op_sel_hi:[1,0,1]
	v_pk_fma_f32 v[10:11], v[2:3], v[10:11], v[14:15] op_sel_hi:[1,0,1]
	v_xor_b32_e32 v26, 0x80000000, v5
	v_mov_b32_e32 v27, v4
	v_pk_fma_f32 v[0:1], v[2:3], v[0:1], v[8:9] op_sel_hi:[1,0,1]
	s_waitcnt vmcnt(1)
	v_pk_fma_f32 v[2:3], v[4:5], v[18:19], v[12:13] op_sel_hi:[1,0,1]
	v_pk_fma_f32 v[8:9], v[4:5], v[20:21], v[10:11] op_sel_hi:[1,0,1]
	v_mov_b32_e32 v10, v21
	s_waitcnt vmcnt(0)
	v_pk_fma_f32 v[4:5], v[4:5], v[6:7], v[0:1] op_sel_hi:[1,0,1]
	v_pk_fma_f32 v[0:1], v[26:27], v[18:19], v[2:3] op_sel:[0,1,0]
	v_pk_fma_f32 v[2:3], v[26:27], v[10:11], v[8:9] op_sel_hi:[1,0,1]
	v_pk_fma_f32 v[4:5], v[26:27], v[6:7], v[4:5] op_sel:[0,1,0]
	global_store_dwordx4 v[22:23], v[0:3], off
	global_store_dwordx2 v[22:23], v[4:5], off offset:16
	s_endpgm
	.section	.rodata,"a",@progbits
	.p2align	6, 0x0
	.amdhsa_kernel _ZN9rocsparseL18bsrxmvn_3x3_kernelILj256ELj32E21rocsparse_complex_numIfEllfS2_S2_EEvT3_20rocsparse_direction_NS_24const_host_device_scalarIT1_EES3_PKS3_PKT2_SC_S9_PKT4_PKT5_S7_PT6_21rocsparse_index_base_b
		.amdhsa_group_segment_fixed_size 0
		.amdhsa_private_segment_fixed_size 0
		.amdhsa_kernarg_size 104
		.amdhsa_user_sgpr_count 2
		.amdhsa_user_sgpr_dispatch_ptr 0
		.amdhsa_user_sgpr_queue_ptr 0
		.amdhsa_user_sgpr_kernarg_segment_ptr 1
		.amdhsa_user_sgpr_dispatch_id 0
		.amdhsa_user_sgpr_kernarg_preload_length 0
		.amdhsa_user_sgpr_kernarg_preload_offset 0
		.amdhsa_user_sgpr_private_segment_size 0
		.amdhsa_uses_dynamic_stack 0
		.amdhsa_enable_private_segment 0
		.amdhsa_system_sgpr_workgroup_id_x 1
		.amdhsa_system_sgpr_workgroup_id_y 0
		.amdhsa_system_sgpr_workgroup_id_z 0
		.amdhsa_system_sgpr_workgroup_info 0
		.amdhsa_system_vgpr_workitem_id 0
		.amdhsa_next_free_vgpr 48
		.amdhsa_next_free_sgpr 22
		.amdhsa_accum_offset 48
		.amdhsa_reserve_vcc 1
		.amdhsa_float_round_mode_32 0
		.amdhsa_float_round_mode_16_64 0
		.amdhsa_float_denorm_mode_32 3
		.amdhsa_float_denorm_mode_16_64 3
		.amdhsa_dx10_clamp 1
		.amdhsa_ieee_mode 1
		.amdhsa_fp16_overflow 0
		.amdhsa_tg_split 0
		.amdhsa_exception_fp_ieee_invalid_op 0
		.amdhsa_exception_fp_denorm_src 0
		.amdhsa_exception_fp_ieee_div_zero 0
		.amdhsa_exception_fp_ieee_overflow 0
		.amdhsa_exception_fp_ieee_underflow 0
		.amdhsa_exception_fp_ieee_inexact 0
		.amdhsa_exception_int_div_zero 0
	.end_amdhsa_kernel
	.section	.text._ZN9rocsparseL18bsrxmvn_3x3_kernelILj256ELj32E21rocsparse_complex_numIfEllfS2_S2_EEvT3_20rocsparse_direction_NS_24const_host_device_scalarIT1_EES3_PKS3_PKT2_SC_S9_PKT4_PKT5_S7_PT6_21rocsparse_index_base_b,"axG",@progbits,_ZN9rocsparseL18bsrxmvn_3x3_kernelILj256ELj32E21rocsparse_complex_numIfEllfS2_S2_EEvT3_20rocsparse_direction_NS_24const_host_device_scalarIT1_EES3_PKS3_PKT2_SC_S9_PKT4_PKT5_S7_PT6_21rocsparse_index_base_b,comdat
.Lfunc_end133:
	.size	_ZN9rocsparseL18bsrxmvn_3x3_kernelILj256ELj32E21rocsparse_complex_numIfEllfS2_S2_EEvT3_20rocsparse_direction_NS_24const_host_device_scalarIT1_EES3_PKS3_PKT2_SC_S9_PKT4_PKT5_S7_PT6_21rocsparse_index_base_b, .Lfunc_end133-_ZN9rocsparseL18bsrxmvn_3x3_kernelILj256ELj32E21rocsparse_complex_numIfEllfS2_S2_EEvT3_20rocsparse_direction_NS_24const_host_device_scalarIT1_EES3_PKS3_PKT2_SC_S9_PKT4_PKT5_S7_PT6_21rocsparse_index_base_b
                                        ; -- End function
	.section	.AMDGPU.csdata,"",@progbits
; Kernel info:
; codeLenInByte = 2300
; NumSgprs: 28
; NumVgprs: 48
; NumAgprs: 0
; TotalNumVgprs: 48
; ScratchSize: 0
; MemoryBound: 0
; FloatMode: 240
; IeeeMode: 1
; LDSByteSize: 0 bytes/workgroup (compile time only)
; SGPRBlocks: 3
; VGPRBlocks: 5
; NumSGPRsForWavesPerEU: 28
; NumVGPRsForWavesPerEU: 48
; AccumOffset: 48
; Occupancy: 8
; WaveLimiterHint : 1
; COMPUTE_PGM_RSRC2:SCRATCH_EN: 0
; COMPUTE_PGM_RSRC2:USER_SGPR: 2
; COMPUTE_PGM_RSRC2:TRAP_HANDLER: 0
; COMPUTE_PGM_RSRC2:TGID_X_EN: 1
; COMPUTE_PGM_RSRC2:TGID_Y_EN: 0
; COMPUTE_PGM_RSRC2:TGID_Z_EN: 0
; COMPUTE_PGM_RSRC2:TIDIG_COMP_CNT: 0
; COMPUTE_PGM_RSRC3_GFX90A:ACCUM_OFFSET: 11
; COMPUTE_PGM_RSRC3_GFX90A:TG_SPLIT: 0
	.section	.text._ZN9rocsparseL18bsrxmvn_3x3_kernelILj256ELj64E21rocsparse_complex_numIfEllfS2_S2_EEvT3_20rocsparse_direction_NS_24const_host_device_scalarIT1_EES3_PKS3_PKT2_SC_S9_PKT4_PKT5_S7_PT6_21rocsparse_index_base_b,"axG",@progbits,_ZN9rocsparseL18bsrxmvn_3x3_kernelILj256ELj64E21rocsparse_complex_numIfEllfS2_S2_EEvT3_20rocsparse_direction_NS_24const_host_device_scalarIT1_EES3_PKS3_PKT2_SC_S9_PKT4_PKT5_S7_PT6_21rocsparse_index_base_b,comdat
	.globl	_ZN9rocsparseL18bsrxmvn_3x3_kernelILj256ELj64E21rocsparse_complex_numIfEllfS2_S2_EEvT3_20rocsparse_direction_NS_24const_host_device_scalarIT1_EES3_PKS3_PKT2_SC_S9_PKT4_PKT5_S7_PT6_21rocsparse_index_base_b ; -- Begin function _ZN9rocsparseL18bsrxmvn_3x3_kernelILj256ELj64E21rocsparse_complex_numIfEllfS2_S2_EEvT3_20rocsparse_direction_NS_24const_host_device_scalarIT1_EES3_PKS3_PKT2_SC_S9_PKT4_PKT5_S7_PT6_21rocsparse_index_base_b
	.p2align	8
	.type	_ZN9rocsparseL18bsrxmvn_3x3_kernelILj256ELj64E21rocsparse_complex_numIfEllfS2_S2_EEvT3_20rocsparse_direction_NS_24const_host_device_scalarIT1_EES3_PKS3_PKT2_SC_S9_PKT4_PKT5_S7_PT6_21rocsparse_index_base_b,@function
_ZN9rocsparseL18bsrxmvn_3x3_kernelILj256ELj64E21rocsparse_complex_numIfEllfS2_S2_EEvT3_20rocsparse_direction_NS_24const_host_device_scalarIT1_EES3_PKS3_PKT2_SC_S9_PKT4_PKT5_S7_PT6_21rocsparse_index_base_b: ; @_ZN9rocsparseL18bsrxmvn_3x3_kernelILj256ELj64E21rocsparse_complex_numIfEllfS2_S2_EEvT3_20rocsparse_direction_NS_24const_host_device_scalarIT1_EES3_PKS3_PKT2_SC_S9_PKT4_PKT5_S7_PT6_21rocsparse_index_base_b
; %bb.0:
	s_load_dwordx2 s[12:13], s[0:1], 0x60
	s_load_dwordx4 s[8:11], s[0:1], 0x10
	s_load_dwordx2 s[6:7], s[0:1], 0x50
	s_waitcnt lgkmcnt(0)
	s_bitcmp1_b32 s13, 0
	s_cselect_b64 s[4:5], -1, 0
	s_xor_b64 s[14:15], s[4:5], -1
	s_and_b64 vcc, exec, s[4:5]
	v_mov_b32_e32 v2, s8
	s_cbranch_vccnz .LBB134_2
; %bb.1:
	v_mov_b64_e32 v[2:3], s[8:9]
	flat_load_dword v2, v[2:3]
.LBB134_2:
	v_cndmask_b32_e64 v1, 0, 1, s[14:15]
	v_cmp_ne_u32_e64 s[4:5], 1, v1
	s_andn2_b64 vcc, exec, s[14:15]
	v_mov_b32_e32 v3, s9
	s_cbranch_vccz .LBB134_15
; %bb.3:
	s_and_b64 vcc, exec, s[4:5]
	v_mov_b32_e32 v4, s6
	s_cbranch_vccz .LBB134_16
.LBB134_4:
	s_and_b64 vcc, exec, s[4:5]
	v_mov_b32_e32 v5, s7
	s_cbranch_vccnz .LBB134_6
.LBB134_5:
	v_mov_b64_e32 v[6:7], s[6:7]
	flat_load_dword v5, v[6:7] offset:4
.LBB134_6:
	s_waitcnt vmcnt(0) lgkmcnt(0)
	v_and_b32_e32 v1, 0x7fffffff, v2
	v_cmp_eq_u32_e32 vcc, 0, v1
	v_cmp_eq_f32_e64 s[4:5], 0, v3
	s_and_b64 s[8:9], vcc, s[4:5]
	s_mov_b64 s[4:5], -1
	s_and_saveexec_b64 s[6:7], s[8:9]
; %bb.7:
	v_and_b32_e32 v1, 0x7fffffff, v5
	v_cmp_neq_f32_e32 vcc, 1.0, v4
	v_cmp_ne_u32_e64 s[4:5], 0, v1
	s_or_b64 s[4:5], vcc, s[4:5]
	s_orn2_b64 s[4:5], s[4:5], exec
; %bb.8:
	s_or_b64 exec, exec, s[6:7]
	s_and_saveexec_b64 s[6:7], s[4:5]
	s_cbranch_execz .LBB134_14
; %bb.9:
	s_load_dwordx2 s[4:5], s[0:1], 0x20
	v_lshrrev_b32_e32 v1, 6, v0
	v_lshl_or_b32 v8, s2, 2, v1
	v_mov_b32_e32 v9, 0
	s_mov_b64 s[2:3], 0
	s_waitcnt lgkmcnt(0)
	s_cmp_lg_u64 s[4:5], 0
	s_cbranch_scc0 .LBB134_17
; %bb.10:
	v_cmp_gt_i64_e32 vcc, s[10:11], v[8:9]
                                        ; implicit-def: $vgpr6_vgpr7
	s_and_saveexec_b64 s[6:7], vcc
	s_xor_b64 s[6:7], exec, s[6:7]
                                        ; implicit-def: $sgpr14_sgpr15
	s_cbranch_execz .LBB134_12
; %bb.11:
	v_lshl_add_u64 v[6:7], v[8:9], 3, s[4:5]
	global_load_dwordx2 v[6:7], v[6:7], off
	s_mov_b64 s[2:3], exec
	s_mov_b32 s15, 0
	s_waitcnt vmcnt(0)
	v_subrev_co_u32_e32 v6, vcc, s12, v6
	s_nop 1
	v_subbrev_co_u32_e32 v7, vcc, 0, v7, vcc
.LBB134_12:
	s_or_b64 exec, exec, s[6:7]
.LBB134_13:
	s_and_b64 exec, exec, s[2:3]
	s_cbranch_execnz .LBB134_21
.LBB134_14:
	s_endpgm
.LBB134_15:
	v_mov_b64_e32 v[4:5], s[8:9]
	flat_load_dword v3, v[4:5] offset:4
	s_and_b64 vcc, exec, s[4:5]
	v_mov_b32_e32 v4, s6
	s_cbranch_vccnz .LBB134_4
.LBB134_16:
	v_mov_b64_e32 v[4:5], s[6:7]
	flat_load_dword v4, v[4:5]
	s_and_b64 vcc, exec, s[4:5]
	v_mov_b32_e32 v5, s7
	s_cbranch_vccz .LBB134_5
	s_branch .LBB134_6
.LBB134_17:
                                        ; implicit-def: $vgpr6_vgpr7
                                        ; implicit-def: $sgpr14_sgpr15
	s_cbranch_execz .LBB134_13
; %bb.18:
	s_load_dwordx2 s[4:5], s[0:1], 0x0
                                        ; implicit-def: $vgpr6_vgpr7
	s_waitcnt lgkmcnt(0)
	v_cmp_gt_i64_e32 vcc, s[4:5], v[8:9]
	s_and_saveexec_b64 s[4:5], vcc
                                        ; implicit-def: $sgpr14_sgpr15
; %bb.19:
	s_mov_b32 s15, 0
	s_or_b64 s[2:3], s[2:3], exec
	v_mov_b64_e32 v[6:7], v[8:9]
; %bb.20:
	s_or_b64 exec, exec, s[4:5]
	s_and_b64 exec, exec, s[2:3]
	s_cbranch_execz .LBB134_14
.LBB134_21:
	s_load_dwordx8 s[4:11], s[0:1], 0x28
	v_lshlrev_b64 v[8:9], 3, v[6:7]
	v_mov_b32_e32 v14, s15
	v_and_b32_e32 v0, 63, v0
	v_mov_b32_e32 v1, 0
	s_waitcnt lgkmcnt(0)
	v_lshl_add_u64 v[10:11], s[4:5], 0, v[8:9]
	s_cmp_eq_u64 s[6:7], 0
	v_lshl_add_u64 v[8:9], s[6:7], 0, v[8:9]
	global_load_dwordx2 v[12:13], v[10:11], off
	v_lshl_add_u64 v[10:11], v[10:11], 0, 8
	s_cselect_b64 vcc, -1, 0
	v_cndmask_b32_e32 v9, v9, v11, vcc
	v_cndmask_b32_e32 v8, v8, v10, vcc
	global_load_dwordx2 v[8:9], v[8:9], off
	s_load_dword s2, s[0:1], 0x8
	s_load_dwordx2 s[4:5], s[0:1], 0x48
	s_waitcnt lgkmcnt(0)
	s_cmp_eq_u32 s2, 1
	s_waitcnt vmcnt(1)
	v_subrev_co_u32_e32 v10, vcc, s12, v12
	s_nop 1
	v_subb_co_u32_e32 v11, vcc, v13, v14, vcc
	v_lshl_add_u64 v[10:11], v[10:11], 0, v[0:1]
	s_waitcnt vmcnt(0)
	v_subrev_co_u32_e32 v12, vcc, s12, v8
	s_nop 1
	v_subb_co_u32_e32 v13, vcc, v9, v14, vcc
	v_mad_u64_u32 v[14:15], s[2:3], v10, 36, s[10:11]
	v_mov_b32_e32 v8, v15
	v_mad_u64_u32 v[8:9], s[2:3], v11, 36, v[8:9]
	v_mov_b32_e32 v15, v8
	v_cmp_lt_i64_e64 s[2:3], v[10:11], v[12:13]
	s_cbranch_scc1 .LBB134_27
; %bb.22:
	v_mov_b32_e32 v18, v1
	v_mov_b32_e32 v17, v1
	;; [unrolled: 1-line block ×5, first 2 shown]
	s_and_saveexec_b64 s[6:7], s[2:3]
	s_cbranch_execz .LBB134_26
; %bb.23:
	v_mov_b32_e32 v23, 0
	v_lshl_add_u64 v[20:21], v[10:11], 3, s[8:9]
	s_mov_b64 s[10:11], 0
	v_mov_b32_e32 v1, s15
	s_mov_b64 s[16:17], 0x200
	s_mov_b64 s[18:19], 0x900
	v_bfrev_b32_e32 v24, 1
	v_mov_b64_e32 v[26:27], v[10:11]
	v_mov_b64_e32 v[28:29], v[14:15]
	v_mov_b32_e32 v8, v23
	v_mov_b32_e32 v9, v23
	v_mov_b32_e32 v16, v23
	v_mov_b32_e32 v17, v23
	v_mov_b32_e32 v18, v23
	v_mov_b32_e32 v19, v23
.LBB134_24:                             ; =>This Inner Loop Header: Depth=1
	global_load_dwordx2 v[38:39], v[20:21], off
	global_load_dwordx4 v[30:33], v[28:29], off offset:16
	global_load_dwordx4 v[34:37], v[28:29], off
	v_mov_b32_e32 v47, v23
	v_lshl_add_u64 v[26:27], v[26:27], 0, 64
	v_lshl_add_u64 v[20:21], v[20:21], 0, s[16:17]
	s_waitcnt vmcnt(2)
	v_subrev_co_u32_e32 v22, vcc, s12, v38
	v_mad_u64_u32 v[42:43], s[20:21], v22, 24, s[4:5]
	s_nop 0
	v_subb_co_u32_e32 v25, vcc, v39, v1, vcc
	v_mov_b32_e32 v22, v43
	v_mad_u64_u32 v[38:39], s[20:21], v25, 24, v[22:23]
	v_mov_b32_e32 v43, v38
	global_load_dwordx4 v[38:41], v[42:43], off
	global_load_dwordx2 v[44:45], v[42:43], off offset:16
	global_load_dword v46, v[28:29], off offset:32
	s_waitcnt vmcnt(3)
	v_mov_b32_e32 v22, v34
	v_mov_b32_e32 v25, v34
	v_cmp_ge_i64_e32 vcc, v[26:27], v[12:13]
	v_lshl_add_u64 v[28:29], v[28:29], 0, s[18:19]
	s_or_b64 s[10:11], vcc, s[10:11]
	s_waitcnt vmcnt(2)
	v_pk_fma_f32 v[18:19], v[38:39], v[22:23], v[18:19] op_sel_hi:[0,1,1]
	v_mov_b32_e32 v22, v35
	v_pk_fma_f32 v[18:19], v[38:39], v[24:25], v[18:19] op_sel:[1,0,0]
	v_mov_b32_e32 v34, v41
	v_mov_b32_e32 v25, v35
	v_pk_fma_f32 v[18:19], v[40:41], v[22:23], v[18:19] op_sel_hi:[0,1,1]
	v_mov_b32_e32 v22, v36
	v_pk_fma_f32 v[18:19], v[34:35], v[24:25], v[18:19] op_sel_hi:[0,1,1]
	v_mov_b32_e32 v25, v36
	s_waitcnt vmcnt(1)
	v_pk_fma_f32 v[18:19], v[44:45], v[22:23], v[18:19] op_sel_hi:[0,1,1]
	v_mov_b32_e32 v22, v37
	v_pk_fma_f32 v[18:19], v[44:45], v[24:25], v[18:19] op_sel:[1,0,0]
	v_pk_fma_f32 v[16:17], v[38:39], v[22:23], v[16:17] op_sel_hi:[0,1,1]
	v_mov_b32_e32 v25, v37
	v_mov_b32_e32 v22, v30
	v_pk_fma_f32 v[16:17], v[38:39], v[24:25], v[16:17] op_sel:[1,0,0]
	v_mov_b32_e32 v25, v30
	v_pk_fma_f32 v[16:17], v[40:41], v[22:23], v[16:17] op_sel_hi:[0,1,1]
	v_mov_b32_e32 v22, v31
	v_pk_fma_f32 v[16:17], v[34:35], v[24:25], v[16:17] op_sel_hi:[0,1,1]
	;; [unrolled: 2-line block ×3, first 2 shown]
	v_mov_b32_e32 v22, v32
	v_pk_fma_f32 v[16:17], v[44:45], v[24:25], v[16:17] op_sel:[1,0,0]
	v_pk_fma_f32 v[8:9], v[38:39], v[22:23], v[8:9] op_sel_hi:[0,1,1]
	v_mov_b32_e32 v25, v32
	v_mov_b32_e32 v22, v33
	v_pk_fma_f32 v[8:9], v[38:39], v[24:25], v[8:9] op_sel:[1,0,0]
	v_mov_b32_e32 v25, v33
	v_pk_fma_f32 v[8:9], v[40:41], v[22:23], v[8:9] op_sel_hi:[0,1,1]
	v_pk_fma_f32 v[8:9], v[34:35], v[24:25], v[8:9] op_sel_hi:[0,1,1]
	s_waitcnt vmcnt(0)
	v_mov_b32_e32 v25, v46
	v_pk_fma_f32 v[8:9], v[44:45], v[46:47], v[8:9] op_sel_hi:[0,1,1]
	v_pk_fma_f32 v[8:9], v[44:45], v[24:25], v[8:9] op_sel:[1,0,0]
	s_andn2_b64 exec, exec, s[10:11]
	s_cbranch_execnz .LBB134_24
; %bb.25:
	s_or_b64 exec, exec, s[10:11]
	v_mov_b32_e32 v1, v19
.LBB134_26:
	s_or_b64 exec, exec, s[6:7]
	v_mov_b32_e32 v19, v1
	s_cbranch_execz .LBB134_28
	s_branch .LBB134_33
.LBB134_27:
                                        ; implicit-def: $vgpr19
                                        ; implicit-def: $vgpr17
                                        ; implicit-def: $vgpr9
.LBB134_28:
	v_mov_b32_e32 v19, 0
	v_mov_b32_e32 v18, v19
	;; [unrolled: 1-line block ×6, first 2 shown]
	s_and_saveexec_b64 s[6:7], s[2:3]
	s_cbranch_execz .LBB134_32
; %bb.29:
	v_mov_b32_e32 v23, 0
	v_lshl_add_u64 v[20:21], v[10:11], 3, s[8:9]
	s_mov_b64 s[2:3], 0
	v_mov_b32_e32 v1, s15
	s_mov_b64 s[8:9], 0x200
	s_mov_b64 s[10:11], 0x900
	v_bfrev_b32_e32 v24, 1
	v_mov_b32_e32 v8, v23
	v_mov_b32_e32 v9, v23
	;; [unrolled: 1-line block ×6, first 2 shown]
.LBB134_30:                             ; =>This Inner Loop Header: Depth=1
	global_load_dwordx2 v[34:35], v[20:21], off
	global_load_dwordx4 v[26:29], v[14:15], off offset:16
	global_load_dwordx4 v[30:33], v[14:15], off
	v_mov_b32_e32 v43, v23
	v_lshl_add_u64 v[10:11], v[10:11], 0, 64
	v_lshl_add_u64 v[20:21], v[20:21], 0, s[8:9]
	s_waitcnt vmcnt(2)
	v_subrev_co_u32_e32 v22, vcc, s12, v34
	v_mad_u64_u32 v[38:39], s[14:15], v22, 24, s[4:5]
	s_nop 0
	v_subb_co_u32_e32 v25, vcc, v35, v1, vcc
	v_mov_b32_e32 v22, v39
	v_mad_u64_u32 v[34:35], s[14:15], v25, 24, v[22:23]
	v_mov_b32_e32 v39, v34
	global_load_dwordx4 v[34:37], v[38:39], off
	global_load_dwordx2 v[40:41], v[38:39], off offset:16
	global_load_dword v42, v[14:15], off offset:32
	s_waitcnt vmcnt(3)
	v_mov_b32_e32 v22, v30
	v_mov_b32_e32 v25, v30
	v_cmp_ge_i64_e32 vcc, v[10:11], v[12:13]
	v_lshl_add_u64 v[14:15], v[14:15], 0, s[10:11]
	s_or_b64 s[2:3], vcc, s[2:3]
	s_waitcnt vmcnt(2)
	v_pk_fma_f32 v[18:19], v[34:35], v[22:23], v[18:19] op_sel_hi:[0,1,1]
	v_mov_b32_e32 v22, v33
	v_pk_fma_f32 v[18:19], v[34:35], v[24:25], v[18:19] op_sel:[1,0,0]
	v_mov_b32_e32 v30, v37
	v_mov_b32_e32 v25, v33
	v_pk_fma_f32 v[18:19], v[36:37], v[22:23], v[18:19] op_sel_hi:[0,1,1]
	v_mov_b32_e32 v22, v28
	v_pk_fma_f32 v[18:19], v[30:31], v[24:25], v[18:19] op_sel_hi:[0,1,1]
	v_mov_b32_e32 v25, v28
	s_waitcnt vmcnt(1)
	v_pk_fma_f32 v[18:19], v[40:41], v[22:23], v[18:19] op_sel_hi:[0,1,1]
	v_mov_b32_e32 v22, v31
	v_pk_fma_f32 v[18:19], v[40:41], v[24:25], v[18:19] op_sel:[1,0,0]
	v_pk_fma_f32 v[16:17], v[34:35], v[22:23], v[16:17] op_sel_hi:[0,1,1]
	v_mov_b32_e32 v25, v31
	v_mov_b32_e32 v22, v26
	v_pk_fma_f32 v[16:17], v[34:35], v[24:25], v[16:17] op_sel:[1,0,0]
	v_mov_b32_e32 v25, v26
	v_pk_fma_f32 v[16:17], v[36:37], v[22:23], v[16:17] op_sel_hi:[0,1,1]
	v_mov_b32_e32 v22, v29
	v_pk_fma_f32 v[16:17], v[30:31], v[24:25], v[16:17] op_sel_hi:[0,1,1]
	v_mov_b32_e32 v33, v23
	v_mov_b32_e32 v25, v29
	v_pk_fma_f32 v[16:17], v[40:41], v[22:23], v[16:17] op_sel_hi:[0,1,1]
	v_pk_fma_f32 v[8:9], v[34:35], v[32:33], v[8:9] op_sel_hi:[0,1,1]
	v_pk_fma_f32 v[16:17], v[40:41], v[24:25], v[16:17] op_sel:[1,0,0]
	v_mov_b32_e32 v25, v32
	v_mov_b32_e32 v22, v27
	v_pk_fma_f32 v[8:9], v[34:35], v[24:25], v[8:9] op_sel:[1,0,0]
	v_mov_b32_e32 v25, v27
	v_pk_fma_f32 v[8:9], v[36:37], v[22:23], v[8:9] op_sel_hi:[0,1,1]
	v_pk_fma_f32 v[8:9], v[30:31], v[24:25], v[8:9] op_sel_hi:[0,1,1]
	s_waitcnt vmcnt(0)
	v_mov_b32_e32 v25, v42
	v_pk_fma_f32 v[8:9], v[40:41], v[42:43], v[8:9] op_sel_hi:[0,1,1]
	v_pk_fma_f32 v[8:9], v[40:41], v[24:25], v[8:9] op_sel:[1,0,0]
	s_andn2_b64 exec, exec, s[2:3]
	s_cbranch_execnz .LBB134_30
; %bb.31:
	s_or_b64 exec, exec, s[2:3]
.LBB134_32:
	s_or_b64 exec, exec, s[6:7]
.LBB134_33:
	v_mov_b32_dpp v11, v19 row_shr:1 row_mask:0xf bank_mask:0xf
	v_add_f32_e32 v11, v19, v11
	v_mov_b32_dpp v1, v18 row_shr:1 row_mask:0xf bank_mask:0xf
	v_add_f32_e32 v1, v18, v1
	;; [unrolled: 2-line block ×8, first 2 shown]
	v_mov_b32_dpp v12, v11 row_bcast:15 row_mask:0xa bank_mask:0xf
	v_add_f32_e32 v11, v11, v12
	v_mov_b32_dpp v10, v1 row_bcast:15 row_mask:0xa bank_mask:0xf
	v_mov_b32_dpp v12, v16 row_shr:1 row_mask:0xf bank_mask:0xf
	v_add_f32_e32 v12, v16, v12
	v_add_f32_e32 v1, v1, v10
	v_mov_b32_dpp v13, v11 row_bcast:31 row_mask:0xc bank_mask:0xf
	v_mov_b32_dpp v14, v12 row_shr:2 row_mask:0xf bank_mask:0xf
	v_add_f32_e32 v12, v12, v14
	v_mov_b32_dpp v10, v1 row_bcast:31 row_mask:0xc bank_mask:0xf
	v_cmp_eq_u32_e32 vcc, 63, v0
	v_mov_b32_dpp v14, v12 row_shr:4 row_mask:0xf bank_mask:0xe
	v_add_f32_e32 v12, v12, v14
	s_nop 1
	v_mov_b32_dpp v14, v12 row_shr:8 row_mask:0xf bank_mask:0xc
	v_add_f32_e32 v12, v12, v14
	s_nop 1
	v_mov_b32_dpp v14, v12 row_bcast:15 row_mask:0xa bank_mask:0xf
	v_add_f32_e32 v14, v12, v14
	v_mov_b32_dpp v12, v17 row_shr:1 row_mask:0xf bank_mask:0xf
	v_add_f32_e32 v12, v17, v12
	v_mov_b32_dpp v15, v14 row_bcast:31 row_mask:0xc bank_mask:0xf
	s_nop 0
	v_mov_b32_dpp v16, v12 row_shr:2 row_mask:0xf bank_mask:0xf
	v_add_f32_e32 v12, v12, v16
	s_nop 1
	v_mov_b32_dpp v16, v12 row_shr:4 row_mask:0xf bank_mask:0xe
	v_add_f32_e32 v12, v12, v16
	;; [unrolled: 3-line block ×3, first 2 shown]
	s_nop 1
	v_mov_b32_dpp v16, v12 row_bcast:15 row_mask:0xa bank_mask:0xf
	v_add_f32_e32 v17, v12, v16
	v_mov_b32_dpp v12, v8 row_shr:1 row_mask:0xf bank_mask:0xf
	v_add_f32_e32 v8, v8, v12
	v_mov_b32_dpp v18, v17 row_bcast:31 row_mask:0xc bank_mask:0xf
	s_nop 0
	v_mov_b32_dpp v12, v8 row_shr:2 row_mask:0xf bank_mask:0xf
	v_add_f32_e32 v8, v8, v12
	s_nop 1
	v_mov_b32_dpp v12, v8 row_shr:4 row_mask:0xf bank_mask:0xe
	v_add_f32_e32 v8, v8, v12
	;; [unrolled: 3-line block ×3, first 2 shown]
	s_nop 1
	v_mov_b32_dpp v12, v8 row_bcast:15 row_mask:0xa bank_mask:0xf
	v_add_f32_e32 v8, v8, v12
	s_nop 0
	v_mov_b32_dpp v12, v9 row_shr:1 row_mask:0xf bank_mask:0xf
	v_add_f32_e32 v9, v9, v12
	v_mov_b32_dpp v19, v8 row_bcast:31 row_mask:0xc bank_mask:0xf
	s_nop 0
	v_mov_b32_dpp v12, v9 row_shr:2 row_mask:0xf bank_mask:0xf
	v_add_f32_e32 v9, v9, v12
	s_nop 1
	v_mov_b32_dpp v12, v9 row_shr:4 row_mask:0xf bank_mask:0xe
	v_add_f32_e32 v9, v9, v12
	;; [unrolled: 3-line block ×3, first 2 shown]
	s_nop 1
	v_mov_b32_dpp v12, v9 row_bcast:15 row_mask:0xa bank_mask:0xf
	v_add_f32_e32 v9, v9, v12
	s_nop 1
	v_mov_b32_dpp v20, v9 row_bcast:31 row_mask:0xc bank_mask:0xf
	s_and_b64 exec, exec, vcc
	s_cbranch_execz .LBB134_14
; %bb.34:
	s_load_dwordx2 s[2:3], s[0:1], 0x58
	v_add_f32_e32 v12, v1, v10
	v_and_b32_e32 v1, 0x7fffffff, v4
	v_cmp_eq_u32_e32 vcc, 0, v1
	v_cmp_eq_f32_e64 s[0:1], 0, v5
	v_add_f32_e32 v16, v11, v13
	v_add_f32_e32 v10, v14, v15
	;; [unrolled: 1-line block ×5, first 2 shown]
	s_and_b64 s[0:1], vcc, s[0:1]
	s_and_saveexec_b64 s[4:5], s[0:1]
	s_xor_b64 s[0:1], exec, s[4:5]
	s_cbranch_execz .LBB134_36
; %bb.35:
	s_waitcnt lgkmcnt(0)
	v_mad_u64_u32 v[20:21], s[4:5], v6, 24, s[2:3]
	v_mov_b32_e32 v4, v21
	v_xor_b32_e32 v18, 0x80000000, v3
	v_mad_u64_u32 v[4:5], s[4:5], v7, 24, v[4:5]
	v_mov_b32_e32 v19, v2
	v_mov_b32_e32 v21, v4
	v_pk_mul_f32 v[4:5], v[16:17], v[18:19] op_sel_hi:[0,1]
	v_pk_mul_f32 v[6:7], v[14:15], v[18:19] op_sel_hi:[0,1]
	v_pk_fma_f32 v[4:5], v[2:3], v[12:13], v[4:5] op_sel_hi:[1,0,1]
	v_pk_fma_f32 v[6:7], v[2:3], v[10:11], v[6:7] op_sel_hi:[1,0,1]
	global_store_dwordx4 v[20:21], v[4:7], off
                                        ; implicit-def: $vgpr6_vgpr7
                                        ; implicit-def: $vgpr12
                                        ; implicit-def: $vgpr16
                                        ; implicit-def: $vgpr10
                                        ; implicit-def: $vgpr14
	s_nop 1
	v_pk_mul_f32 v[4:5], v[8:9], v[18:19] op_sel_hi:[0,1]
	v_pk_fma_f32 v[0:1], v[2:3], v[0:1], v[4:5] op_sel_hi:[1,0,1]
	global_store_dwordx2 v[20:21], v[0:1], off offset:16
                                        ; implicit-def: $vgpr3
                                        ; implicit-def: $vgpr4
                                        ; implicit-def: $vgpr0
                                        ; implicit-def: $vgpr8
.LBB134_36:
	s_andn2_saveexec_b64 s[0:1], s[0:1]
	s_cbranch_execz .LBB134_14
; %bb.37:
	s_waitcnt lgkmcnt(0)
	v_mad_u64_u32 v[22:23], s[0:1], v6, 24, s[2:3]
	v_mov_b32_e32 v6, v23
	v_mad_u64_u32 v[6:7], s[0:1], v7, 24, v[6:7]
	v_mov_b32_e32 v23, v6
	global_load_dwordx4 v[18:21], v[22:23], off
	global_load_dwordx2 v[6:7], v[22:23], off offset:16
	v_xor_b32_e32 v24, 0x80000000, v3
	v_mov_b32_e32 v25, v2
	v_pk_mul_f32 v[16:17], v[16:17], v[24:25] op_sel_hi:[0,1]
	v_pk_mul_f32 v[14:15], v[14:15], v[24:25] op_sel_hi:[0,1]
	;; [unrolled: 1-line block ×3, first 2 shown]
	v_pk_fma_f32 v[12:13], v[2:3], v[12:13], v[16:17] op_sel_hi:[1,0,1]
	v_pk_fma_f32 v[10:11], v[2:3], v[10:11], v[14:15] op_sel_hi:[1,0,1]
	v_xor_b32_e32 v26, 0x80000000, v5
	v_mov_b32_e32 v27, v4
	v_pk_fma_f32 v[0:1], v[2:3], v[0:1], v[8:9] op_sel_hi:[1,0,1]
	s_waitcnt vmcnt(1)
	v_pk_fma_f32 v[2:3], v[4:5], v[18:19], v[12:13] op_sel_hi:[1,0,1]
	v_pk_fma_f32 v[8:9], v[4:5], v[20:21], v[10:11] op_sel_hi:[1,0,1]
	v_mov_b32_e32 v10, v21
	s_waitcnt vmcnt(0)
	v_pk_fma_f32 v[4:5], v[4:5], v[6:7], v[0:1] op_sel_hi:[1,0,1]
	v_pk_fma_f32 v[0:1], v[26:27], v[18:19], v[2:3] op_sel:[0,1,0]
	v_pk_fma_f32 v[2:3], v[26:27], v[10:11], v[8:9] op_sel_hi:[1,0,1]
	v_pk_fma_f32 v[4:5], v[26:27], v[6:7], v[4:5] op_sel:[0,1,0]
	global_store_dwordx4 v[22:23], v[0:3], off
	global_store_dwordx2 v[22:23], v[4:5], off offset:16
	s_endpgm
	.section	.rodata,"a",@progbits
	.p2align	6, 0x0
	.amdhsa_kernel _ZN9rocsparseL18bsrxmvn_3x3_kernelILj256ELj64E21rocsparse_complex_numIfEllfS2_S2_EEvT3_20rocsparse_direction_NS_24const_host_device_scalarIT1_EES3_PKS3_PKT2_SC_S9_PKT4_PKT5_S7_PT6_21rocsparse_index_base_b
		.amdhsa_group_segment_fixed_size 0
		.amdhsa_private_segment_fixed_size 0
		.amdhsa_kernarg_size 104
		.amdhsa_user_sgpr_count 2
		.amdhsa_user_sgpr_dispatch_ptr 0
		.amdhsa_user_sgpr_queue_ptr 0
		.amdhsa_user_sgpr_kernarg_segment_ptr 1
		.amdhsa_user_sgpr_dispatch_id 0
		.amdhsa_user_sgpr_kernarg_preload_length 0
		.amdhsa_user_sgpr_kernarg_preload_offset 0
		.amdhsa_user_sgpr_private_segment_size 0
		.amdhsa_uses_dynamic_stack 0
		.amdhsa_enable_private_segment 0
		.amdhsa_system_sgpr_workgroup_id_x 1
		.amdhsa_system_sgpr_workgroup_id_y 0
		.amdhsa_system_sgpr_workgroup_id_z 0
		.amdhsa_system_sgpr_workgroup_info 0
		.amdhsa_system_vgpr_workitem_id 0
		.amdhsa_next_free_vgpr 48
		.amdhsa_next_free_sgpr 22
		.amdhsa_accum_offset 48
		.amdhsa_reserve_vcc 1
		.amdhsa_float_round_mode_32 0
		.amdhsa_float_round_mode_16_64 0
		.amdhsa_float_denorm_mode_32 3
		.amdhsa_float_denorm_mode_16_64 3
		.amdhsa_dx10_clamp 1
		.amdhsa_ieee_mode 1
		.amdhsa_fp16_overflow 0
		.amdhsa_tg_split 0
		.amdhsa_exception_fp_ieee_invalid_op 0
		.amdhsa_exception_fp_denorm_src 0
		.amdhsa_exception_fp_ieee_div_zero 0
		.amdhsa_exception_fp_ieee_overflow 0
		.amdhsa_exception_fp_ieee_underflow 0
		.amdhsa_exception_fp_ieee_inexact 0
		.amdhsa_exception_int_div_zero 0
	.end_amdhsa_kernel
	.section	.text._ZN9rocsparseL18bsrxmvn_3x3_kernelILj256ELj64E21rocsparse_complex_numIfEllfS2_S2_EEvT3_20rocsparse_direction_NS_24const_host_device_scalarIT1_EES3_PKS3_PKT2_SC_S9_PKT4_PKT5_S7_PT6_21rocsparse_index_base_b,"axG",@progbits,_ZN9rocsparseL18bsrxmvn_3x3_kernelILj256ELj64E21rocsparse_complex_numIfEllfS2_S2_EEvT3_20rocsparse_direction_NS_24const_host_device_scalarIT1_EES3_PKS3_PKT2_SC_S9_PKT4_PKT5_S7_PT6_21rocsparse_index_base_b,comdat
.Lfunc_end134:
	.size	_ZN9rocsparseL18bsrxmvn_3x3_kernelILj256ELj64E21rocsparse_complex_numIfEllfS2_S2_EEvT3_20rocsparse_direction_NS_24const_host_device_scalarIT1_EES3_PKS3_PKT2_SC_S9_PKT4_PKT5_S7_PT6_21rocsparse_index_base_b, .Lfunc_end134-_ZN9rocsparseL18bsrxmvn_3x3_kernelILj256ELj64E21rocsparse_complex_numIfEllfS2_S2_EEvT3_20rocsparse_direction_NS_24const_host_device_scalarIT1_EES3_PKS3_PKT2_SC_S9_PKT4_PKT5_S7_PT6_21rocsparse_index_base_b
                                        ; -- End function
	.section	.AMDGPU.csdata,"",@progbits
; Kernel info:
; codeLenInByte = 2424
; NumSgprs: 28
; NumVgprs: 48
; NumAgprs: 0
; TotalNumVgprs: 48
; ScratchSize: 0
; MemoryBound: 0
; FloatMode: 240
; IeeeMode: 1
; LDSByteSize: 0 bytes/workgroup (compile time only)
; SGPRBlocks: 3
; VGPRBlocks: 5
; NumSGPRsForWavesPerEU: 28
; NumVGPRsForWavesPerEU: 48
; AccumOffset: 48
; Occupancy: 8
; WaveLimiterHint : 1
; COMPUTE_PGM_RSRC2:SCRATCH_EN: 0
; COMPUTE_PGM_RSRC2:USER_SGPR: 2
; COMPUTE_PGM_RSRC2:TRAP_HANDLER: 0
; COMPUTE_PGM_RSRC2:TGID_X_EN: 1
; COMPUTE_PGM_RSRC2:TGID_Y_EN: 0
; COMPUTE_PGM_RSRC2:TGID_Z_EN: 0
; COMPUTE_PGM_RSRC2:TIDIG_COMP_CNT: 0
; COMPUTE_PGM_RSRC3_GFX90A:ACCUM_OFFSET: 11
; COMPUTE_PGM_RSRC3_GFX90A:TG_SPLIT: 0
	.section	.text._ZN9rocsparseL18bsrxmvn_3x3_kernelILj256ELj4E21rocsparse_complex_numIdEiidS2_S2_EEvT3_20rocsparse_direction_NS_24const_host_device_scalarIT1_EES3_PKS3_PKT2_SC_S9_PKT4_PKT5_S7_PT6_21rocsparse_index_base_b,"axG",@progbits,_ZN9rocsparseL18bsrxmvn_3x3_kernelILj256ELj4E21rocsparse_complex_numIdEiidS2_S2_EEvT3_20rocsparse_direction_NS_24const_host_device_scalarIT1_EES3_PKS3_PKT2_SC_S9_PKT4_PKT5_S7_PT6_21rocsparse_index_base_b,comdat
	.globl	_ZN9rocsparseL18bsrxmvn_3x3_kernelILj256ELj4E21rocsparse_complex_numIdEiidS2_S2_EEvT3_20rocsparse_direction_NS_24const_host_device_scalarIT1_EES3_PKS3_PKT2_SC_S9_PKT4_PKT5_S7_PT6_21rocsparse_index_base_b ; -- Begin function _ZN9rocsparseL18bsrxmvn_3x3_kernelILj256ELj4E21rocsparse_complex_numIdEiidS2_S2_EEvT3_20rocsparse_direction_NS_24const_host_device_scalarIT1_EES3_PKS3_PKT2_SC_S9_PKT4_PKT5_S7_PT6_21rocsparse_index_base_b
	.p2align	8
	.type	_ZN9rocsparseL18bsrxmvn_3x3_kernelILj256ELj4E21rocsparse_complex_numIdEiidS2_S2_EEvT3_20rocsparse_direction_NS_24const_host_device_scalarIT1_EES3_PKS3_PKT2_SC_S9_PKT4_PKT5_S7_PT6_21rocsparse_index_base_b,@function
_ZN9rocsparseL18bsrxmvn_3x3_kernelILj256ELj4E21rocsparse_complex_numIdEiidS2_S2_EEvT3_20rocsparse_direction_NS_24const_host_device_scalarIT1_EES3_PKS3_PKT2_SC_S9_PKT4_PKT5_S7_PT6_21rocsparse_index_base_b: ; @_ZN9rocsparseL18bsrxmvn_3x3_kernelILj256ELj4E21rocsparse_complex_numIdEiidS2_S2_EEvT3_20rocsparse_direction_NS_24const_host_device_scalarIT1_EES3_PKS3_PKT2_SC_S9_PKT4_PKT5_S7_PT6_21rocsparse_index_base_b
; %bb.0:
	s_load_dwordx2 s[16:17], s[2:3], 0x68
	s_load_dwordx4 s[8:11], s[2:3], 0x8
	s_load_dwordx2 s[18:19], s[0:1], 0x4
	s_load_dwordx4 s[12:15], s[2:3], 0x50
	s_mov_b64 s[6:7], src_shared_base
	v_and_b32_e32 v2, 0x3ff, v0
	s_waitcnt lgkmcnt(0)
	s_bitcmp1_b32 s17, 0
	s_cselect_b64 s[0:1], -1, 0
	s_and_b64 vcc, s[0:1], exec
	s_cselect_b32 s5, s7, s9
	s_lshr_b32 s6, s18, 16
	s_mul_i32 s6, s6, s19
	v_mul_lo_u32 v3, s6, v2
	v_bfe_u32 v4, v0, 10, 10
	v_mad_u32_u24 v3, v4, s19, v3
	v_bfe_u32 v0, v0, 20, 10
	v_add_lshl_u32 v0, v3, v0, 3
	v_mov_b32_e32 v1, s8
	v_add_u32_e32 v3, 0x800, v0
	v_mov_b64_e32 v[4:5], s[8:9]
	v_mov_b64_e32 v[6:7], s[12:13]
	ds_write2st64_b64 v0, v[6:7], v[4:5] offset1:4
	v_cndmask_b32_e64 v4, v1, v3, s[0:1]
	v_mov_b32_e32 v5, s5
	flat_load_dwordx2 v[16:17], v[4:5]
	s_xor_b64 s[18:19], s[0:1], -1
	v_mov_b64_e32 v[18:19], s[10:11]
	s_cbranch_vccnz .LBB135_2
; %bb.1:
	v_mov_b64_e32 v[4:5], s[8:9]
	flat_load_dwordx2 v[18:19], v[4:5] offset:8
.LBB135_2:
	s_and_b64 s[8:9], s[0:1], exec
	s_cselect_b32 s5, s7, s13
	v_mov_b32_e32 v1, s12
	v_cndmask_b32_e64 v0, v1, v0, s[0:1]
	v_mov_b32_e32 v1, s5
	flat_load_dwordx2 v[12:13], v[0:1]
	s_andn2_b64 vcc, exec, s[18:19]
	v_mov_b64_e32 v[14:15], s[14:15]
	s_cbranch_vccnz .LBB135_4
; %bb.3:
	v_mov_b64_e32 v[0:1], s[12:13]
	flat_load_dwordx2 v[14:15], v[0:1] offset:8
.LBB135_4:
	s_waitcnt vmcnt(0) lgkmcnt(0)
	v_cmp_eq_f64_e32 vcc, 0, v[16:17]
	v_cmp_eq_f64_e64 s[0:1], 0, v[18:19]
	s_and_b64 s[8:9], vcc, s[0:1]
	s_mov_b64 s[0:1], -1
	s_and_saveexec_b64 s[6:7], s[8:9]
; %bb.5:
	v_cmp_neq_f64_e32 vcc, 1.0, v[12:13]
	v_cmp_neq_f64_e64 s[0:1], 0, v[14:15]
	s_or_b64 s[0:1], vcc, s[0:1]
	s_orn2_b64 s[0:1], s[0:1], exec
; %bb.6:
	s_or_b64 exec, exec, s[6:7]
	s_and_saveexec_b64 s[6:7], s[0:1]
	s_cbranch_execz .LBB135_12
; %bb.7:
	s_load_dwordx2 s[6:7], s[2:3], 0x20
	s_load_dwordx2 s[0:1], s[2:3], 0x0
	v_lshrrev_b32_e32 v0, 2, v2
	v_lshl_or_b32 v0, s4, 6, v0
	s_mov_b64 s[4:5], 0
	s_waitcnt lgkmcnt(0)
	s_cmp_lg_u64 s[6:7], 0
	s_cbranch_scc0 .LBB135_13
; %bb.8:
	s_load_dword s8, s[2:3], 0x18
                                        ; implicit-def: $vgpr1
	s_waitcnt lgkmcnt(0)
	v_cmp_gt_i32_e32 vcc, s8, v0
	s_and_saveexec_b64 s[8:9], vcc
	s_xor_b64 s[8:9], exec, s[8:9]
	s_cbranch_execz .LBB135_10
; %bb.9:
	v_ashrrev_i32_e32 v1, 31, v0
	v_lshl_add_u64 v[4:5], v[0:1], 2, s[6:7]
	global_load_dword v1, v[4:5], off
	s_mov_b64 s[4:5], exec
	s_waitcnt vmcnt(0)
	v_subrev_u32_e32 v1, s16, v1
.LBB135_10:
	s_or_b64 exec, exec, s[8:9]
	s_branch .LBB135_14
.LBB135_11:
	v_cmp_gt_i32_e32 vcc, s0, v0
	s_andn2_b64 s[4:5], s[4:5], exec
	s_and_b64 s[6:7], vcc, exec
	s_or_b64 s[4:5], s[4:5], s[6:7]
	s_and_b64 exec, exec, s[4:5]
	s_cbranch_execnz .LBB135_15
.LBB135_12:
	s_endpgm
.LBB135_13:
                                        ; implicit-def: $vgpr1
	s_cbranch_execnz .LBB135_11
.LBB135_14:
	v_mov_b32_e32 v0, v1
	s_and_b64 exec, exec, s[4:5]
	s_cbranch_execz .LBB135_12
.LBB135_15:
	s_load_dwordx8 s[4:11], s[2:3], 0x28
	v_ashrrev_i32_e32 v1, 31, v0
	v_lshlrev_b64 v[4:5], 2, v[0:1]
	v_and_b32_e32 v1, 3, v2
	s_movk_i32 s0, 0x48
	s_waitcnt lgkmcnt(0)
	v_lshl_add_u64 v[6:7], s[4:5], 0, v[4:5]
	s_cmp_eq_u64 s[6:7], 0
	global_load_dword v8, v[6:7], off
	v_lshl_add_u64 v[6:7], v[6:7], 0, 4
	v_lshl_add_u64 v[4:5], s[6:7], 0, v[4:5]
	s_cselect_b64 vcc, -1, 0
	v_cndmask_b32_e32 v5, v5, v7, vcc
	v_cndmask_b32_e32 v4, v4, v6, vcc
	global_load_dword v4, v[4:5], off
	s_load_dwordx2 s[4:5], s[2:3], 0x48
	v_mov_b64_e32 v[2:3], s[10:11]
	s_cmp_eq_u32 s1, 1
	s_waitcnt vmcnt(1)
	v_subrev_u32_e32 v5, s16, v8
	v_add_u32_e32 v22, v5, v1
	v_mad_i64_i32 v[24:25], s[6:7], v22, s0, v[2:3]
	s_waitcnt vmcnt(0)
	v_subrev_u32_e32 v30, s16, v4
	v_cmp_lt_i32_e64 s[0:1], v22, v30
	s_cbranch_scc1 .LBB135_21
; %bb.16:
	v_mov_b64_e32 v[2:3], 0
	s_mov_b64 s[6:7], 0
	v_mov_b64_e32 v[20:21], v[2:3]
	v_mov_b64_e32 v[6:7], v[2:3]
	;; [unrolled: 1-line block ×5, first 2 shown]
	s_and_saveexec_b64 s[10:11], s[0:1]
	s_cbranch_execz .LBB135_20
; %bb.17:
	v_mov_b64_e32 v[2:3], 0
	s_mov_b64 s[12:13], 0
	s_mov_b64 s[14:15], 0x120
	v_mov_b32_e32 v26, v22
	v_mov_b64_e32 v[28:29], v[24:25]
	v_mov_b64_e32 v[20:21], v[2:3]
	;; [unrolled: 1-line block ×6, first 2 shown]
.LBB135_18:                             ; =>This Inner Loop Header: Depth=1
	v_ashrrev_i32_e32 v27, 31, v26
	v_lshl_add_u64 v[48:49], v[26:27], 2, s[8:9]
	global_load_dword v23, v[48:49], off
	global_load_dwordx4 v[32:35], v[28:29], off offset:48
	global_load_dwordx4 v[36:39], v[28:29], off offset:32
	;; [unrolled: 1-line block ×3, first 2 shown]
	global_load_dwordx4 v[44:47], v[28:29], off
	global_load_dwordx2 v[60:61], v[28:29], off offset:64
	v_add_u32_e32 v26, 4, v26
	v_cmp_ge_i32_e32 vcc, v26, v30
	v_lshl_add_u64 v[28:29], v[28:29], 0, s[14:15]
	s_or_b64 s[12:13], vcc, s[12:13]
	s_waitcnt vmcnt(5)
	v_subrev_u32_e32 v23, s16, v23
	v_lshl_add_u32 v48, v23, 1, v23
	v_ashrrev_i32_e32 v49, 31, v48
	s_waitcnt lgkmcnt(0)
	v_lshl_add_u64 v[62:63], v[48:49], 4, s[4:5]
	global_load_dwordx4 v[48:51], v[62:63], off
	global_load_dwordx4 v[52:55], v[62:63], off offset:16
	global_load_dwordx4 v[56:59], v[62:63], off offset:32
	s_waitcnt vmcnt(2)
	v_fmac_f64_e32 v[20:21], v[44:45], v[48:49]
	v_fmac_f64_e32 v[2:3], 0, v[48:49]
	v_fmac_f64_e32 v[10:11], v[42:43], v[48:49]
	v_fmac_f64_e32 v[6:7], 0, v[48:49]
	v_fmac_f64_e32 v[8:9], v[32:33], v[48:49]
	v_fmac_f64_e32 v[4:5], 0, v[48:49]
	v_fmac_f64_e32 v[20:21], 0x80000000, v[50:51]
	v_fmac_f64_e32 v[2:3], v[44:45], v[50:51]
	v_fmac_f64_e32 v[10:11], 0x80000000, v[50:51]
	v_fmac_f64_e32 v[6:7], v[42:43], v[50:51]
	v_fmac_f64_e32 v[8:9], 0x80000000, v[50:51]
	v_fmac_f64_e32 v[4:5], v[32:33], v[50:51]
	s_waitcnt vmcnt(1)
	v_fmac_f64_e32 v[20:21], v[46:47], v[52:53]
	v_fmac_f64_e32 v[2:3], 0, v[52:53]
	v_fmac_f64_e32 v[10:11], v[36:37], v[52:53]
	v_fmac_f64_e32 v[6:7], 0, v[52:53]
	v_fmac_f64_e32 v[8:9], v[34:35], v[52:53]
	v_fmac_f64_e32 v[4:5], 0, v[52:53]
	v_fmac_f64_e32 v[20:21], 0x80000000, v[54:55]
	v_fmac_f64_e32 v[2:3], v[46:47], v[54:55]
	v_fmac_f64_e32 v[10:11], 0x80000000, v[54:55]
	v_fmac_f64_e32 v[6:7], v[36:37], v[54:55]
	v_fmac_f64_e32 v[8:9], 0x80000000, v[54:55]
	v_fmac_f64_e32 v[4:5], v[34:35], v[54:55]
	s_waitcnt vmcnt(0)
	v_fmac_f64_e32 v[20:21], v[40:41], v[56:57]
	v_fmac_f64_e32 v[2:3], 0, v[56:57]
	v_fmac_f64_e32 v[10:11], v[38:39], v[56:57]
	v_fmac_f64_e32 v[6:7], 0, v[56:57]
	v_fmac_f64_e32 v[8:9], v[60:61], v[56:57]
	v_fmac_f64_e32 v[4:5], 0, v[56:57]
	v_fmac_f64_e32 v[20:21], 0x80000000, v[58:59]
	v_fmac_f64_e32 v[2:3], v[40:41], v[58:59]
	v_fmac_f64_e32 v[10:11], 0x80000000, v[58:59]
	v_fmac_f64_e32 v[6:7], v[38:39], v[58:59]
	v_fmac_f64_e32 v[8:9], 0x80000000, v[58:59]
	v_fmac_f64_e32 v[4:5], v[60:61], v[58:59]
	s_andn2_b64 exec, exec, s[12:13]
	s_cbranch_execnz .LBB135_18
; %bb.19:
	s_or_b64 exec, exec, s[12:13]
.LBB135_20:
	s_or_b64 exec, exec, s[10:11]
	s_andn2_b64 vcc, exec, s[6:7]
	s_cbranch_vccz .LBB135_22
	s_branch .LBB135_27
.LBB135_21:
                                        ; implicit-def: $vgpr2_vgpr3
                                        ; implicit-def: $vgpr20_vgpr21
                                        ; implicit-def: $vgpr6_vgpr7
                                        ; implicit-def: $vgpr10_vgpr11
                                        ; implicit-def: $vgpr4_vgpr5
                                        ; implicit-def: $vgpr8_vgpr9
.LBB135_22:
	v_mov_b64_e32 v[2:3], 0
	v_mov_b64_e32 v[20:21], v[2:3]
	v_mov_b64_e32 v[6:7], v[2:3]
	v_mov_b64_e32 v[10:11], v[2:3]
	v_mov_b64_e32 v[4:5], v[2:3]
	v_mov_b64_e32 v[8:9], v[2:3]
	s_and_saveexec_b64 s[6:7], s[0:1]
	s_cbranch_execz .LBB135_26
; %bb.23:
	v_mov_b64_e32 v[2:3], 0
	s_mov_b64 s[0:1], 0
	s_mov_b64 s[10:11], 0x120
	v_mov_b64_e32 v[20:21], v[2:3]
	v_mov_b64_e32 v[6:7], v[2:3]
	;; [unrolled: 1-line block ×5, first 2 shown]
.LBB135_24:                             ; =>This Inner Loop Header: Depth=1
	v_ashrrev_i32_e32 v23, 31, v22
	v_lshl_add_u64 v[44:45], v[22:23], 2, s[8:9]
	global_load_dword v23, v[44:45], off
	global_load_dwordx4 v[26:29], v[24:25], off offset:48
	global_load_dwordx4 v[32:35], v[24:25], off offset:32
	;; [unrolled: 1-line block ×3, first 2 shown]
	global_load_dwordx4 v[40:43], v[24:25], off
	global_load_dwordx2 v[56:57], v[24:25], off offset:64
	v_add_u32_e32 v22, 4, v22
	v_cmp_ge_i32_e32 vcc, v22, v30
	v_lshl_add_u64 v[24:25], v[24:25], 0, s[10:11]
	s_or_b64 s[0:1], vcc, s[0:1]
	s_waitcnt vmcnt(5)
	v_subrev_u32_e32 v23, s16, v23
	v_lshl_add_u32 v44, v23, 1, v23
	v_ashrrev_i32_e32 v45, 31, v44
	s_waitcnt lgkmcnt(0)
	v_lshl_add_u64 v[58:59], v[44:45], 4, s[4:5]
	global_load_dwordx4 v[44:47], v[58:59], off
	global_load_dwordx4 v[48:51], v[58:59], off offset:16
	global_load_dwordx4 v[52:55], v[58:59], off offset:32
	s_waitcnt vmcnt(2)
	v_fmac_f64_e32 v[20:21], v[40:41], v[44:45]
	v_fmac_f64_e32 v[2:3], 0, v[44:45]
	v_fmac_f64_e32 v[10:11], v[42:43], v[44:45]
	v_fmac_f64_e32 v[6:7], 0, v[44:45]
	v_fmac_f64_e32 v[8:9], v[36:37], v[44:45]
	v_fmac_f64_e32 v[4:5], 0, v[44:45]
	v_fmac_f64_e32 v[20:21], 0x80000000, v[46:47]
	v_fmac_f64_e32 v[2:3], v[40:41], v[46:47]
	v_fmac_f64_e32 v[10:11], 0x80000000, v[46:47]
	v_fmac_f64_e32 v[6:7], v[42:43], v[46:47]
	v_fmac_f64_e32 v[8:9], 0x80000000, v[46:47]
	v_fmac_f64_e32 v[4:5], v[36:37], v[46:47]
	s_waitcnt vmcnt(1)
	v_fmac_f64_e32 v[20:21], v[38:39], v[48:49]
	v_fmac_f64_e32 v[2:3], 0, v[48:49]
	v_fmac_f64_e32 v[10:11], v[32:33], v[48:49]
	v_fmac_f64_e32 v[6:7], 0, v[48:49]
	v_fmac_f64_e32 v[8:9], v[34:35], v[48:49]
	v_fmac_f64_e32 v[4:5], 0, v[48:49]
	v_fmac_f64_e32 v[20:21], 0x80000000, v[50:51]
	v_fmac_f64_e32 v[2:3], v[38:39], v[50:51]
	v_fmac_f64_e32 v[10:11], 0x80000000, v[50:51]
	v_fmac_f64_e32 v[6:7], v[32:33], v[50:51]
	v_fmac_f64_e32 v[8:9], 0x80000000, v[50:51]
	v_fmac_f64_e32 v[4:5], v[34:35], v[50:51]
	;; [unrolled: 13-line block ×3, first 2 shown]
	s_andn2_b64 exec, exec, s[0:1]
	s_cbranch_execnz .LBB135_24
; %bb.25:
	s_or_b64 exec, exec, s[0:1]
.LBB135_26:
	s_or_b64 exec, exec, s[6:7]
.LBB135_27:
	v_mov_b32_dpp v22, v20 row_shr:1 row_mask:0xf bank_mask:0xf
	v_mov_b32_dpp v23, v21 row_shr:1 row_mask:0xf bank_mask:0xf
	;; [unrolled: 1-line block ×12, first 2 shown]
	v_add_f64 v[20:21], v[20:21], v[22:23]
	v_add_f64 v[2:3], v[2:3], v[24:25]
	;; [unrolled: 1-line block ×6, first 2 shown]
	v_mov_b32_dpp v22, v20 row_shr:2 row_mask:0xf bank_mask:0xf
	v_mov_b32_dpp v23, v21 row_shr:2 row_mask:0xf bank_mask:0xf
	;; [unrolled: 1-line block ×12, first 2 shown]
	v_cmp_eq_u32_e32 vcc, 3, v1
	s_and_b64 exec, exec, vcc
	s_cbranch_execz .LBB135_12
; %bb.28:
	s_load_dwordx2 s[2:3], s[2:3], 0x60
	v_add_f64 v[2:3], v[2:3], v[24:25]
	v_add_f64 v[6:7], v[6:7], v[28:29]
	;; [unrolled: 1-line block ×6, first 2 shown]
	v_cmp_eq_f64_e32 vcc, 0, v[12:13]
	v_cmp_eq_f64_e64 s[0:1], 0, v[14:15]
	v_mul_f64 v[8:9], v[2:3], -v[18:19]
	v_mul_f64 v[10:11], v[16:17], v[2:3]
	v_lshl_add_u32 v20, v0, 1, v0
	v_mul_f64 v[4:5], v[6:7], -v[18:19]
	v_mul_f64 v[6:7], v[16:17], v[6:7]
	v_mul_f64 v[0:1], v[28:29], -v[18:19]
	v_mul_f64 v[2:3], v[16:17], v[28:29]
	s_and_b64 s[0:1], vcc, s[0:1]
	v_fmac_f64_e32 v[8:9], v[16:17], v[22:23]
	v_fmac_f64_e32 v[10:11], v[18:19], v[22:23]
	v_ashrrev_i32_e32 v21, 31, v20
	v_fmac_f64_e32 v[4:5], v[16:17], v[24:25]
	v_fmac_f64_e32 v[6:7], v[18:19], v[24:25]
	;; [unrolled: 1-line block ×4, first 2 shown]
	s_waitcnt lgkmcnt(0)
	s_and_saveexec_b64 s[4:5], s[0:1]
	s_xor_b64 s[0:1], exec, s[4:5]
	s_cbranch_execz .LBB135_30
; %bb.29:
	v_lshl_add_u64 v[12:13], v[20:21], 4, s[2:3]
	global_store_dwordx4 v[12:13], v[8:11], off
	global_store_dwordx4 v[12:13], v[4:7], off offset:16
	global_store_dwordx4 v[12:13], v[0:3], off offset:32
                                        ; implicit-def: $vgpr12_vgpr13
                                        ; implicit-def: $vgpr14_vgpr15
                                        ; implicit-def: $vgpr20
                                        ; implicit-def: $vgpr8_vgpr9
                                        ; implicit-def: $vgpr4_vgpr5
                                        ; implicit-def: $vgpr0_vgpr1
.LBB135_30:
	s_andn2_saveexec_b64 s[0:1], s[0:1]
	s_cbranch_execz .LBB135_12
; %bb.31:
	v_lshl_add_u64 v[28:29], v[20:21], 4, s[2:3]
	global_load_dwordx4 v[16:19], v[28:29], off
	global_load_dwordx4 v[20:23], v[28:29], off offset:16
	global_load_dwordx4 v[24:27], v[28:29], off offset:32
	s_waitcnt vmcnt(2)
	v_fmac_f64_e32 v[8:9], v[12:13], v[16:17]
	v_fmac_f64_e32 v[10:11], v[14:15], v[16:17]
	s_waitcnt vmcnt(1)
	v_fmac_f64_e32 v[4:5], v[12:13], v[20:21]
	v_fmac_f64_e32 v[6:7], v[14:15], v[20:21]
	;; [unrolled: 3-line block ×3, first 2 shown]
	v_fma_f64 v[8:9], -v[14:15], v[18:19], v[8:9]
	v_fmac_f64_e32 v[10:11], v[12:13], v[18:19]
	v_fma_f64 v[4:5], -v[14:15], v[22:23], v[4:5]
	v_fmac_f64_e32 v[6:7], v[12:13], v[22:23]
	;; [unrolled: 2-line block ×3, first 2 shown]
	global_store_dwordx4 v[28:29], v[8:11], off
	global_store_dwordx4 v[28:29], v[4:7], off offset:16
	global_store_dwordx4 v[28:29], v[0:3], off offset:32
	s_endpgm
	.section	.rodata,"a",@progbits
	.p2align	6, 0x0
	.amdhsa_kernel _ZN9rocsparseL18bsrxmvn_3x3_kernelILj256ELj4E21rocsparse_complex_numIdEiidS2_S2_EEvT3_20rocsparse_direction_NS_24const_host_device_scalarIT1_EES3_PKS3_PKT2_SC_S9_PKT4_PKT5_S7_PT6_21rocsparse_index_base_b
		.amdhsa_group_segment_fixed_size 4096
		.amdhsa_private_segment_fixed_size 0
		.amdhsa_kernarg_size 112
		.amdhsa_user_sgpr_count 4
		.amdhsa_user_sgpr_dispatch_ptr 1
		.amdhsa_user_sgpr_queue_ptr 0
		.amdhsa_user_sgpr_kernarg_segment_ptr 1
		.amdhsa_user_sgpr_dispatch_id 0
		.amdhsa_user_sgpr_kernarg_preload_length 0
		.amdhsa_user_sgpr_kernarg_preload_offset 0
		.amdhsa_user_sgpr_private_segment_size 0
		.amdhsa_uses_dynamic_stack 0
		.amdhsa_enable_private_segment 0
		.amdhsa_system_sgpr_workgroup_id_x 1
		.amdhsa_system_sgpr_workgroup_id_y 0
		.amdhsa_system_sgpr_workgroup_id_z 0
		.amdhsa_system_sgpr_workgroup_info 0
		.amdhsa_system_vgpr_workitem_id 2
		.amdhsa_next_free_vgpr 64
		.amdhsa_next_free_sgpr 20
		.amdhsa_accum_offset 64
		.amdhsa_reserve_vcc 1
		.amdhsa_float_round_mode_32 0
		.amdhsa_float_round_mode_16_64 0
		.amdhsa_float_denorm_mode_32 3
		.amdhsa_float_denorm_mode_16_64 3
		.amdhsa_dx10_clamp 1
		.amdhsa_ieee_mode 1
		.amdhsa_fp16_overflow 0
		.amdhsa_tg_split 0
		.amdhsa_exception_fp_ieee_invalid_op 0
		.amdhsa_exception_fp_denorm_src 0
		.amdhsa_exception_fp_ieee_div_zero 0
		.amdhsa_exception_fp_ieee_overflow 0
		.amdhsa_exception_fp_ieee_underflow 0
		.amdhsa_exception_fp_ieee_inexact 0
		.amdhsa_exception_int_div_zero 0
	.end_amdhsa_kernel
	.section	.text._ZN9rocsparseL18bsrxmvn_3x3_kernelILj256ELj4E21rocsparse_complex_numIdEiidS2_S2_EEvT3_20rocsparse_direction_NS_24const_host_device_scalarIT1_EES3_PKS3_PKT2_SC_S9_PKT4_PKT5_S7_PT6_21rocsparse_index_base_b,"axG",@progbits,_ZN9rocsparseL18bsrxmvn_3x3_kernelILj256ELj4E21rocsparse_complex_numIdEiidS2_S2_EEvT3_20rocsparse_direction_NS_24const_host_device_scalarIT1_EES3_PKS3_PKT2_SC_S9_PKT4_PKT5_S7_PT6_21rocsparse_index_base_b,comdat
.Lfunc_end135:
	.size	_ZN9rocsparseL18bsrxmvn_3x3_kernelILj256ELj4E21rocsparse_complex_numIdEiidS2_S2_EEvT3_20rocsparse_direction_NS_24const_host_device_scalarIT1_EES3_PKS3_PKT2_SC_S9_PKT4_PKT5_S7_PT6_21rocsparse_index_base_b, .Lfunc_end135-_ZN9rocsparseL18bsrxmvn_3x3_kernelILj256ELj4E21rocsparse_complex_numIdEiidS2_S2_EEvT3_20rocsparse_direction_NS_24const_host_device_scalarIT1_EES3_PKS3_PKT2_SC_S9_PKT4_PKT5_S7_PT6_21rocsparse_index_base_b
                                        ; -- End function
	.section	.AMDGPU.csdata,"",@progbits
; Kernel info:
; codeLenInByte = 2044
; NumSgprs: 26
; NumVgprs: 64
; NumAgprs: 0
; TotalNumVgprs: 64
; ScratchSize: 0
; MemoryBound: 0
; FloatMode: 240
; IeeeMode: 1
; LDSByteSize: 4096 bytes/workgroup (compile time only)
; SGPRBlocks: 3
; VGPRBlocks: 7
; NumSGPRsForWavesPerEU: 26
; NumVGPRsForWavesPerEU: 64
; AccumOffset: 64
; Occupancy: 8
; WaveLimiterHint : 1
; COMPUTE_PGM_RSRC2:SCRATCH_EN: 0
; COMPUTE_PGM_RSRC2:USER_SGPR: 4
; COMPUTE_PGM_RSRC2:TRAP_HANDLER: 0
; COMPUTE_PGM_RSRC2:TGID_X_EN: 1
; COMPUTE_PGM_RSRC2:TGID_Y_EN: 0
; COMPUTE_PGM_RSRC2:TGID_Z_EN: 0
; COMPUTE_PGM_RSRC2:TIDIG_COMP_CNT: 2
; COMPUTE_PGM_RSRC3_GFX90A:ACCUM_OFFSET: 15
; COMPUTE_PGM_RSRC3_GFX90A:TG_SPLIT: 0
	.section	.text._ZN9rocsparseL18bsrxmvn_3x3_kernelILj256ELj8E21rocsparse_complex_numIdEiidS2_S2_EEvT3_20rocsparse_direction_NS_24const_host_device_scalarIT1_EES3_PKS3_PKT2_SC_S9_PKT4_PKT5_S7_PT6_21rocsparse_index_base_b,"axG",@progbits,_ZN9rocsparseL18bsrxmvn_3x3_kernelILj256ELj8E21rocsparse_complex_numIdEiidS2_S2_EEvT3_20rocsparse_direction_NS_24const_host_device_scalarIT1_EES3_PKS3_PKT2_SC_S9_PKT4_PKT5_S7_PT6_21rocsparse_index_base_b,comdat
	.globl	_ZN9rocsparseL18bsrxmvn_3x3_kernelILj256ELj8E21rocsparse_complex_numIdEiidS2_S2_EEvT3_20rocsparse_direction_NS_24const_host_device_scalarIT1_EES3_PKS3_PKT2_SC_S9_PKT4_PKT5_S7_PT6_21rocsparse_index_base_b ; -- Begin function _ZN9rocsparseL18bsrxmvn_3x3_kernelILj256ELj8E21rocsparse_complex_numIdEiidS2_S2_EEvT3_20rocsparse_direction_NS_24const_host_device_scalarIT1_EES3_PKS3_PKT2_SC_S9_PKT4_PKT5_S7_PT6_21rocsparse_index_base_b
	.p2align	8
	.type	_ZN9rocsparseL18bsrxmvn_3x3_kernelILj256ELj8E21rocsparse_complex_numIdEiidS2_S2_EEvT3_20rocsparse_direction_NS_24const_host_device_scalarIT1_EES3_PKS3_PKT2_SC_S9_PKT4_PKT5_S7_PT6_21rocsparse_index_base_b,@function
_ZN9rocsparseL18bsrxmvn_3x3_kernelILj256ELj8E21rocsparse_complex_numIdEiidS2_S2_EEvT3_20rocsparse_direction_NS_24const_host_device_scalarIT1_EES3_PKS3_PKT2_SC_S9_PKT4_PKT5_S7_PT6_21rocsparse_index_base_b: ; @_ZN9rocsparseL18bsrxmvn_3x3_kernelILj256ELj8E21rocsparse_complex_numIdEiidS2_S2_EEvT3_20rocsparse_direction_NS_24const_host_device_scalarIT1_EES3_PKS3_PKT2_SC_S9_PKT4_PKT5_S7_PT6_21rocsparse_index_base_b
; %bb.0:
	s_load_dwordx2 s[16:17], s[2:3], 0x68
	s_load_dwordx4 s[8:11], s[2:3], 0x8
	s_load_dwordx2 s[18:19], s[0:1], 0x4
	s_load_dwordx4 s[12:15], s[2:3], 0x50
	s_mov_b64 s[6:7], src_shared_base
	v_and_b32_e32 v2, 0x3ff, v0
	s_waitcnt lgkmcnt(0)
	s_bitcmp1_b32 s17, 0
	s_cselect_b64 s[0:1], -1, 0
	s_and_b64 vcc, s[0:1], exec
	s_cselect_b32 s5, s7, s9
	s_lshr_b32 s6, s18, 16
	s_mul_i32 s6, s6, s19
	v_mul_lo_u32 v3, s6, v2
	v_bfe_u32 v4, v0, 10, 10
	v_mad_u32_u24 v3, v4, s19, v3
	v_bfe_u32 v0, v0, 20, 10
	v_add_lshl_u32 v0, v3, v0, 3
	v_mov_b32_e32 v1, s8
	v_add_u32_e32 v3, 0x800, v0
	v_mov_b64_e32 v[4:5], s[8:9]
	v_mov_b64_e32 v[6:7], s[12:13]
	ds_write2st64_b64 v0, v[6:7], v[4:5] offset1:4
	v_cndmask_b32_e64 v4, v1, v3, s[0:1]
	v_mov_b32_e32 v5, s5
	flat_load_dwordx2 v[16:17], v[4:5]
	s_xor_b64 s[18:19], s[0:1], -1
	v_mov_b64_e32 v[18:19], s[10:11]
	s_cbranch_vccnz .LBB136_2
; %bb.1:
	v_mov_b64_e32 v[4:5], s[8:9]
	flat_load_dwordx2 v[18:19], v[4:5] offset:8
.LBB136_2:
	s_and_b64 s[8:9], s[0:1], exec
	s_cselect_b32 s5, s7, s13
	v_mov_b32_e32 v1, s12
	v_cndmask_b32_e64 v0, v1, v0, s[0:1]
	v_mov_b32_e32 v1, s5
	flat_load_dwordx2 v[12:13], v[0:1]
	s_andn2_b64 vcc, exec, s[18:19]
	v_mov_b64_e32 v[14:15], s[14:15]
	s_cbranch_vccnz .LBB136_4
; %bb.3:
	v_mov_b64_e32 v[0:1], s[12:13]
	flat_load_dwordx2 v[14:15], v[0:1] offset:8
.LBB136_4:
	s_waitcnt vmcnt(0) lgkmcnt(0)
	v_cmp_eq_f64_e32 vcc, 0, v[16:17]
	v_cmp_eq_f64_e64 s[0:1], 0, v[18:19]
	s_and_b64 s[8:9], vcc, s[0:1]
	s_mov_b64 s[0:1], -1
	s_and_saveexec_b64 s[6:7], s[8:9]
; %bb.5:
	v_cmp_neq_f64_e32 vcc, 1.0, v[12:13]
	v_cmp_neq_f64_e64 s[0:1], 0, v[14:15]
	s_or_b64 s[0:1], vcc, s[0:1]
	s_orn2_b64 s[0:1], s[0:1], exec
; %bb.6:
	s_or_b64 exec, exec, s[6:7]
	s_and_saveexec_b64 s[6:7], s[0:1]
	s_cbranch_execz .LBB136_12
; %bb.7:
	s_load_dwordx2 s[6:7], s[2:3], 0x20
	s_load_dwordx2 s[0:1], s[2:3], 0x0
	v_lshrrev_b32_e32 v0, 3, v2
	v_lshl_or_b32 v0, s4, 5, v0
	s_mov_b64 s[4:5], 0
	s_waitcnt lgkmcnt(0)
	s_cmp_lg_u64 s[6:7], 0
	s_cbranch_scc0 .LBB136_13
; %bb.8:
	s_load_dword s8, s[2:3], 0x18
                                        ; implicit-def: $vgpr1
	s_waitcnt lgkmcnt(0)
	v_cmp_gt_i32_e32 vcc, s8, v0
	s_and_saveexec_b64 s[8:9], vcc
	s_xor_b64 s[8:9], exec, s[8:9]
	s_cbranch_execz .LBB136_10
; %bb.9:
	v_ashrrev_i32_e32 v1, 31, v0
	v_lshl_add_u64 v[4:5], v[0:1], 2, s[6:7]
	global_load_dword v1, v[4:5], off
	s_mov_b64 s[4:5], exec
	s_waitcnt vmcnt(0)
	v_subrev_u32_e32 v1, s16, v1
.LBB136_10:
	s_or_b64 exec, exec, s[8:9]
	s_branch .LBB136_14
.LBB136_11:
	v_cmp_gt_i32_e32 vcc, s0, v0
	s_andn2_b64 s[4:5], s[4:5], exec
	s_and_b64 s[6:7], vcc, exec
	s_or_b64 s[4:5], s[4:5], s[6:7]
	s_and_b64 exec, exec, s[4:5]
	s_cbranch_execnz .LBB136_15
.LBB136_12:
	s_endpgm
.LBB136_13:
                                        ; implicit-def: $vgpr1
	s_cbranch_execnz .LBB136_11
.LBB136_14:
	v_mov_b32_e32 v0, v1
	s_and_b64 exec, exec, s[4:5]
	s_cbranch_execz .LBB136_12
.LBB136_15:
	s_load_dwordx8 s[4:11], s[2:3], 0x28
	v_ashrrev_i32_e32 v1, 31, v0
	v_lshlrev_b64 v[4:5], 2, v[0:1]
	v_and_b32_e32 v1, 7, v2
	s_movk_i32 s0, 0x48
	s_waitcnt lgkmcnt(0)
	v_lshl_add_u64 v[6:7], s[4:5], 0, v[4:5]
	s_cmp_eq_u64 s[6:7], 0
	global_load_dword v8, v[6:7], off
	v_lshl_add_u64 v[6:7], v[6:7], 0, 4
	v_lshl_add_u64 v[4:5], s[6:7], 0, v[4:5]
	s_cselect_b64 vcc, -1, 0
	v_cndmask_b32_e32 v5, v5, v7, vcc
	v_cndmask_b32_e32 v4, v4, v6, vcc
	global_load_dword v4, v[4:5], off
	s_load_dwordx2 s[4:5], s[2:3], 0x48
	v_mov_b64_e32 v[2:3], s[10:11]
	s_cmp_eq_u32 s1, 1
	s_waitcnt vmcnt(1)
	v_subrev_u32_e32 v5, s16, v8
	v_add_u32_e32 v22, v5, v1
	v_mad_i64_i32 v[24:25], s[6:7], v22, s0, v[2:3]
	s_waitcnt vmcnt(0)
	v_subrev_u32_e32 v30, s16, v4
	v_cmp_lt_i32_e64 s[0:1], v22, v30
	s_cbranch_scc1 .LBB136_21
; %bb.16:
	v_mov_b64_e32 v[6:7], 0
	s_mov_b64 s[6:7], 0
	v_mov_b64_e32 v[20:21], v[6:7]
	v_mov_b64_e32 v[4:5], v[6:7]
	;; [unrolled: 1-line block ×5, first 2 shown]
	s_and_saveexec_b64 s[10:11], s[0:1]
	s_cbranch_execz .LBB136_20
; %bb.17:
	v_mov_b64_e32 v[6:7], 0
	s_mov_b64 s[12:13], 0
	s_mov_b64 s[14:15], 0x240
	v_mov_b32_e32 v26, v22
	v_mov_b64_e32 v[28:29], v[24:25]
	v_mov_b64_e32 v[20:21], v[6:7]
	;; [unrolled: 1-line block ×6, first 2 shown]
.LBB136_18:                             ; =>This Inner Loop Header: Depth=1
	v_ashrrev_i32_e32 v27, 31, v26
	v_lshl_add_u64 v[48:49], v[26:27], 2, s[8:9]
	global_load_dword v23, v[48:49], off
	global_load_dwordx4 v[32:35], v[28:29], off offset:48
	global_load_dwordx4 v[36:39], v[28:29], off offset:32
	;; [unrolled: 1-line block ×3, first 2 shown]
	global_load_dwordx4 v[44:47], v[28:29], off
	global_load_dwordx2 v[60:61], v[28:29], off offset:64
	v_add_u32_e32 v26, 8, v26
	v_cmp_ge_i32_e32 vcc, v26, v30
	v_lshl_add_u64 v[28:29], v[28:29], 0, s[14:15]
	s_or_b64 s[12:13], vcc, s[12:13]
	s_waitcnt vmcnt(5)
	v_subrev_u32_e32 v23, s16, v23
	v_lshl_add_u32 v48, v23, 1, v23
	v_ashrrev_i32_e32 v49, 31, v48
	s_waitcnt lgkmcnt(0)
	v_lshl_add_u64 v[62:63], v[48:49], 4, s[4:5]
	global_load_dwordx4 v[48:51], v[62:63], off
	global_load_dwordx4 v[52:55], v[62:63], off offset:16
	global_load_dwordx4 v[56:59], v[62:63], off offset:32
	s_waitcnt vmcnt(2)
	v_fmac_f64_e32 v[20:21], v[44:45], v[48:49]
	v_fmac_f64_e32 v[6:7], 0, v[48:49]
	v_fmac_f64_e32 v[10:11], v[42:43], v[48:49]
	v_fmac_f64_e32 v[4:5], 0, v[48:49]
	v_fmac_f64_e32 v[8:9], v[32:33], v[48:49]
	v_fmac_f64_e32 v[2:3], 0, v[48:49]
	v_fmac_f64_e32 v[20:21], 0x80000000, v[50:51]
	v_fmac_f64_e32 v[6:7], v[44:45], v[50:51]
	v_fmac_f64_e32 v[10:11], 0x80000000, v[50:51]
	v_fmac_f64_e32 v[4:5], v[42:43], v[50:51]
	v_fmac_f64_e32 v[8:9], 0x80000000, v[50:51]
	v_fmac_f64_e32 v[2:3], v[32:33], v[50:51]
	s_waitcnt vmcnt(1)
	v_fmac_f64_e32 v[20:21], v[46:47], v[52:53]
	v_fmac_f64_e32 v[6:7], 0, v[52:53]
	v_fmac_f64_e32 v[10:11], v[36:37], v[52:53]
	v_fmac_f64_e32 v[4:5], 0, v[52:53]
	v_fmac_f64_e32 v[8:9], v[34:35], v[52:53]
	v_fmac_f64_e32 v[2:3], 0, v[52:53]
	v_fmac_f64_e32 v[20:21], 0x80000000, v[54:55]
	v_fmac_f64_e32 v[6:7], v[46:47], v[54:55]
	v_fmac_f64_e32 v[10:11], 0x80000000, v[54:55]
	v_fmac_f64_e32 v[4:5], v[36:37], v[54:55]
	v_fmac_f64_e32 v[8:9], 0x80000000, v[54:55]
	v_fmac_f64_e32 v[2:3], v[34:35], v[54:55]
	;; [unrolled: 13-line block ×3, first 2 shown]
	s_andn2_b64 exec, exec, s[12:13]
	s_cbranch_execnz .LBB136_18
; %bb.19:
	s_or_b64 exec, exec, s[12:13]
.LBB136_20:
	s_or_b64 exec, exec, s[10:11]
	s_andn2_b64 vcc, exec, s[6:7]
	s_cbranch_vccz .LBB136_22
	s_branch .LBB136_27
.LBB136_21:
                                        ; implicit-def: $vgpr6_vgpr7
                                        ; implicit-def: $vgpr20_vgpr21
                                        ; implicit-def: $vgpr4_vgpr5
                                        ; implicit-def: $vgpr10_vgpr11
                                        ; implicit-def: $vgpr2_vgpr3
                                        ; implicit-def: $vgpr8_vgpr9
.LBB136_22:
	v_mov_b64_e32 v[6:7], 0
	v_mov_b64_e32 v[20:21], v[6:7]
	;; [unrolled: 1-line block ×6, first 2 shown]
	s_and_saveexec_b64 s[6:7], s[0:1]
	s_cbranch_execz .LBB136_26
; %bb.23:
	v_mov_b64_e32 v[6:7], 0
	s_mov_b64 s[0:1], 0
	s_mov_b64 s[10:11], 0x240
	v_mov_b64_e32 v[20:21], v[6:7]
	v_mov_b64_e32 v[4:5], v[6:7]
	;; [unrolled: 1-line block ×5, first 2 shown]
.LBB136_24:                             ; =>This Inner Loop Header: Depth=1
	v_ashrrev_i32_e32 v23, 31, v22
	v_lshl_add_u64 v[44:45], v[22:23], 2, s[8:9]
	global_load_dword v23, v[44:45], off
	global_load_dwordx4 v[26:29], v[24:25], off offset:48
	global_load_dwordx4 v[32:35], v[24:25], off offset:32
	;; [unrolled: 1-line block ×3, first 2 shown]
	global_load_dwordx4 v[40:43], v[24:25], off
	global_load_dwordx2 v[56:57], v[24:25], off offset:64
	v_add_u32_e32 v22, 8, v22
	v_cmp_ge_i32_e32 vcc, v22, v30
	v_lshl_add_u64 v[24:25], v[24:25], 0, s[10:11]
	s_or_b64 s[0:1], vcc, s[0:1]
	s_waitcnt vmcnt(5)
	v_subrev_u32_e32 v23, s16, v23
	v_lshl_add_u32 v44, v23, 1, v23
	v_ashrrev_i32_e32 v45, 31, v44
	s_waitcnt lgkmcnt(0)
	v_lshl_add_u64 v[58:59], v[44:45], 4, s[4:5]
	global_load_dwordx4 v[44:47], v[58:59], off
	global_load_dwordx4 v[48:51], v[58:59], off offset:16
	global_load_dwordx4 v[52:55], v[58:59], off offset:32
	s_waitcnt vmcnt(2)
	v_fmac_f64_e32 v[20:21], v[40:41], v[44:45]
	v_fmac_f64_e32 v[6:7], 0, v[44:45]
	v_fmac_f64_e32 v[10:11], v[42:43], v[44:45]
	v_fmac_f64_e32 v[4:5], 0, v[44:45]
	v_fmac_f64_e32 v[8:9], v[36:37], v[44:45]
	v_fmac_f64_e32 v[2:3], 0, v[44:45]
	v_fmac_f64_e32 v[20:21], 0x80000000, v[46:47]
	v_fmac_f64_e32 v[6:7], v[40:41], v[46:47]
	v_fmac_f64_e32 v[10:11], 0x80000000, v[46:47]
	v_fmac_f64_e32 v[4:5], v[42:43], v[46:47]
	v_fmac_f64_e32 v[8:9], 0x80000000, v[46:47]
	v_fmac_f64_e32 v[2:3], v[36:37], v[46:47]
	s_waitcnt vmcnt(1)
	v_fmac_f64_e32 v[20:21], v[38:39], v[48:49]
	v_fmac_f64_e32 v[6:7], 0, v[48:49]
	v_fmac_f64_e32 v[10:11], v[32:33], v[48:49]
	v_fmac_f64_e32 v[4:5], 0, v[48:49]
	v_fmac_f64_e32 v[8:9], v[34:35], v[48:49]
	v_fmac_f64_e32 v[2:3], 0, v[48:49]
	v_fmac_f64_e32 v[20:21], 0x80000000, v[50:51]
	v_fmac_f64_e32 v[6:7], v[38:39], v[50:51]
	v_fmac_f64_e32 v[10:11], 0x80000000, v[50:51]
	v_fmac_f64_e32 v[4:5], v[32:33], v[50:51]
	v_fmac_f64_e32 v[8:9], 0x80000000, v[50:51]
	v_fmac_f64_e32 v[2:3], v[34:35], v[50:51]
	;; [unrolled: 13-line block ×3, first 2 shown]
	s_andn2_b64 exec, exec, s[0:1]
	s_cbranch_execnz .LBB136_24
; %bb.25:
	s_or_b64 exec, exec, s[0:1]
.LBB136_26:
	s_or_b64 exec, exec, s[6:7]
.LBB136_27:
	v_mov_b32_dpp v22, v20 row_shr:1 row_mask:0xf bank_mask:0xf
	v_mov_b32_dpp v23, v21 row_shr:1 row_mask:0xf bank_mask:0xf
	;; [unrolled: 1-line block ×12, first 2 shown]
	v_add_f64 v[20:21], v[20:21], v[22:23]
	v_add_f64 v[6:7], v[6:7], v[24:25]
	;; [unrolled: 1-line block ×6, first 2 shown]
	v_mov_b32_dpp v22, v20 row_shr:2 row_mask:0xf bank_mask:0xf
	v_mov_b32_dpp v23, v21 row_shr:2 row_mask:0xf bank_mask:0xf
	;; [unrolled: 1-line block ×12, first 2 shown]
	v_add_f64 v[20:21], v[20:21], v[22:23]
	v_add_f64 v[6:7], v[6:7], v[24:25]
	;; [unrolled: 1-line block ×6, first 2 shown]
	v_mov_b32_dpp v22, v20 row_shr:4 row_mask:0xf bank_mask:0xe
	v_mov_b32_dpp v23, v21 row_shr:4 row_mask:0xf bank_mask:0xe
	v_mov_b32_dpp v24, v6 row_shr:4 row_mask:0xf bank_mask:0xe
	v_mov_b32_dpp v25, v7 row_shr:4 row_mask:0xf bank_mask:0xe
	v_mov_b32_dpp v26, v10 row_shr:4 row_mask:0xf bank_mask:0xe
	v_mov_b32_dpp v27, v11 row_shr:4 row_mask:0xf bank_mask:0xe
	v_mov_b32_dpp v28, v4 row_shr:4 row_mask:0xf bank_mask:0xe
	v_mov_b32_dpp v29, v5 row_shr:4 row_mask:0xf bank_mask:0xe
	v_mov_b32_dpp v30, v8 row_shr:4 row_mask:0xf bank_mask:0xe
	v_mov_b32_dpp v31, v9 row_shr:4 row_mask:0xf bank_mask:0xe
	v_mov_b32_dpp v32, v2 row_shr:4 row_mask:0xf bank_mask:0xe
	v_mov_b32_dpp v33, v3 row_shr:4 row_mask:0xf bank_mask:0xe
	v_cmp_eq_u32_e32 vcc, 7, v1
	s_and_b64 exec, exec, vcc
	s_cbranch_execz .LBB136_12
; %bb.28:
	s_load_dwordx2 s[2:3], s[2:3], 0x60
	v_add_f64 v[6:7], v[6:7], v[24:25]
	v_add_f64 v[24:25], v[10:11], v[26:27]
	;; [unrolled: 1-line block ×6, first 2 shown]
	v_cmp_eq_f64_e32 vcc, 0, v[12:13]
	v_cmp_eq_f64_e64 s[0:1], 0, v[14:15]
	v_mul_f64 v[8:9], v[6:7], -v[18:19]
	v_mul_f64 v[10:11], v[16:17], v[6:7]
	v_lshl_add_u32 v20, v0, 1, v0
	v_mul_f64 v[4:5], v[26:27], -v[18:19]
	v_mul_f64 v[6:7], v[16:17], v[26:27]
	v_mul_f64 v[0:1], v[2:3], -v[18:19]
	v_mul_f64 v[2:3], v[16:17], v[2:3]
	s_and_b64 s[0:1], vcc, s[0:1]
	v_fmac_f64_e32 v[8:9], v[16:17], v[22:23]
	v_fmac_f64_e32 v[10:11], v[18:19], v[22:23]
	v_ashrrev_i32_e32 v21, 31, v20
	v_fmac_f64_e32 v[4:5], v[16:17], v[24:25]
	v_fmac_f64_e32 v[6:7], v[18:19], v[24:25]
	;; [unrolled: 1-line block ×4, first 2 shown]
	s_waitcnt lgkmcnt(0)
	s_and_saveexec_b64 s[4:5], s[0:1]
	s_xor_b64 s[0:1], exec, s[4:5]
	s_cbranch_execz .LBB136_30
; %bb.29:
	v_lshl_add_u64 v[12:13], v[20:21], 4, s[2:3]
	global_store_dwordx4 v[12:13], v[8:11], off
	global_store_dwordx4 v[12:13], v[4:7], off offset:16
	global_store_dwordx4 v[12:13], v[0:3], off offset:32
                                        ; implicit-def: $vgpr12_vgpr13
                                        ; implicit-def: $vgpr14_vgpr15
                                        ; implicit-def: $vgpr20
                                        ; implicit-def: $vgpr8_vgpr9
                                        ; implicit-def: $vgpr4_vgpr5
                                        ; implicit-def: $vgpr0_vgpr1
.LBB136_30:
	s_andn2_saveexec_b64 s[0:1], s[0:1]
	s_cbranch_execz .LBB136_12
; %bb.31:
	v_lshl_add_u64 v[28:29], v[20:21], 4, s[2:3]
	global_load_dwordx4 v[16:19], v[28:29], off
	global_load_dwordx4 v[20:23], v[28:29], off offset:16
	global_load_dwordx4 v[24:27], v[28:29], off offset:32
	s_waitcnt vmcnt(2)
	v_fmac_f64_e32 v[8:9], v[12:13], v[16:17]
	v_fmac_f64_e32 v[10:11], v[14:15], v[16:17]
	s_waitcnt vmcnt(1)
	v_fmac_f64_e32 v[4:5], v[12:13], v[20:21]
	v_fmac_f64_e32 v[6:7], v[14:15], v[20:21]
	;; [unrolled: 3-line block ×3, first 2 shown]
	v_fma_f64 v[8:9], -v[14:15], v[18:19], v[8:9]
	v_fmac_f64_e32 v[10:11], v[12:13], v[18:19]
	v_fma_f64 v[4:5], -v[14:15], v[22:23], v[4:5]
	v_fmac_f64_e32 v[6:7], v[12:13], v[22:23]
	;; [unrolled: 2-line block ×3, first 2 shown]
	global_store_dwordx4 v[28:29], v[8:11], off
	global_store_dwordx4 v[28:29], v[4:7], off offset:16
	global_store_dwordx4 v[28:29], v[0:3], off offset:32
	s_endpgm
	.section	.rodata,"a",@progbits
	.p2align	6, 0x0
	.amdhsa_kernel _ZN9rocsparseL18bsrxmvn_3x3_kernelILj256ELj8E21rocsparse_complex_numIdEiidS2_S2_EEvT3_20rocsparse_direction_NS_24const_host_device_scalarIT1_EES3_PKS3_PKT2_SC_S9_PKT4_PKT5_S7_PT6_21rocsparse_index_base_b
		.amdhsa_group_segment_fixed_size 4096
		.amdhsa_private_segment_fixed_size 0
		.amdhsa_kernarg_size 112
		.amdhsa_user_sgpr_count 4
		.amdhsa_user_sgpr_dispatch_ptr 1
		.amdhsa_user_sgpr_queue_ptr 0
		.amdhsa_user_sgpr_kernarg_segment_ptr 1
		.amdhsa_user_sgpr_dispatch_id 0
		.amdhsa_user_sgpr_kernarg_preload_length 0
		.amdhsa_user_sgpr_kernarg_preload_offset 0
		.amdhsa_user_sgpr_private_segment_size 0
		.amdhsa_uses_dynamic_stack 0
		.amdhsa_enable_private_segment 0
		.amdhsa_system_sgpr_workgroup_id_x 1
		.amdhsa_system_sgpr_workgroup_id_y 0
		.amdhsa_system_sgpr_workgroup_id_z 0
		.amdhsa_system_sgpr_workgroup_info 0
		.amdhsa_system_vgpr_workitem_id 2
		.amdhsa_next_free_vgpr 64
		.amdhsa_next_free_sgpr 20
		.amdhsa_accum_offset 64
		.amdhsa_reserve_vcc 1
		.amdhsa_float_round_mode_32 0
		.amdhsa_float_round_mode_16_64 0
		.amdhsa_float_denorm_mode_32 3
		.amdhsa_float_denorm_mode_16_64 3
		.amdhsa_dx10_clamp 1
		.amdhsa_ieee_mode 1
		.amdhsa_fp16_overflow 0
		.amdhsa_tg_split 0
		.amdhsa_exception_fp_ieee_invalid_op 0
		.amdhsa_exception_fp_denorm_src 0
		.amdhsa_exception_fp_ieee_div_zero 0
		.amdhsa_exception_fp_ieee_overflow 0
		.amdhsa_exception_fp_ieee_underflow 0
		.amdhsa_exception_fp_ieee_inexact 0
		.amdhsa_exception_int_div_zero 0
	.end_amdhsa_kernel
	.section	.text._ZN9rocsparseL18bsrxmvn_3x3_kernelILj256ELj8E21rocsparse_complex_numIdEiidS2_S2_EEvT3_20rocsparse_direction_NS_24const_host_device_scalarIT1_EES3_PKS3_PKT2_SC_S9_PKT4_PKT5_S7_PT6_21rocsparse_index_base_b,"axG",@progbits,_ZN9rocsparseL18bsrxmvn_3x3_kernelILj256ELj8E21rocsparse_complex_numIdEiidS2_S2_EEvT3_20rocsparse_direction_NS_24const_host_device_scalarIT1_EES3_PKS3_PKT2_SC_S9_PKT4_PKT5_S7_PT6_21rocsparse_index_base_b,comdat
.Lfunc_end136:
	.size	_ZN9rocsparseL18bsrxmvn_3x3_kernelILj256ELj8E21rocsparse_complex_numIdEiidS2_S2_EEvT3_20rocsparse_direction_NS_24const_host_device_scalarIT1_EES3_PKS3_PKT2_SC_S9_PKT4_PKT5_S7_PT6_21rocsparse_index_base_b, .Lfunc_end136-_ZN9rocsparseL18bsrxmvn_3x3_kernelILj256ELj8E21rocsparse_complex_numIdEiidS2_S2_EEvT3_20rocsparse_direction_NS_24const_host_device_scalarIT1_EES3_PKS3_PKT2_SC_S9_PKT4_PKT5_S7_PT6_21rocsparse_index_base_b
                                        ; -- End function
	.section	.AMDGPU.csdata,"",@progbits
; Kernel info:
; codeLenInByte = 2188
; NumSgprs: 26
; NumVgprs: 64
; NumAgprs: 0
; TotalNumVgprs: 64
; ScratchSize: 0
; MemoryBound: 0
; FloatMode: 240
; IeeeMode: 1
; LDSByteSize: 4096 bytes/workgroup (compile time only)
; SGPRBlocks: 3
; VGPRBlocks: 7
; NumSGPRsForWavesPerEU: 26
; NumVGPRsForWavesPerEU: 64
; AccumOffset: 64
; Occupancy: 8
; WaveLimiterHint : 1
; COMPUTE_PGM_RSRC2:SCRATCH_EN: 0
; COMPUTE_PGM_RSRC2:USER_SGPR: 4
; COMPUTE_PGM_RSRC2:TRAP_HANDLER: 0
; COMPUTE_PGM_RSRC2:TGID_X_EN: 1
; COMPUTE_PGM_RSRC2:TGID_Y_EN: 0
; COMPUTE_PGM_RSRC2:TGID_Z_EN: 0
; COMPUTE_PGM_RSRC2:TIDIG_COMP_CNT: 2
; COMPUTE_PGM_RSRC3_GFX90A:ACCUM_OFFSET: 15
; COMPUTE_PGM_RSRC3_GFX90A:TG_SPLIT: 0
	.section	.text._ZN9rocsparseL18bsrxmvn_3x3_kernelILj256ELj16E21rocsparse_complex_numIdEiidS2_S2_EEvT3_20rocsparse_direction_NS_24const_host_device_scalarIT1_EES3_PKS3_PKT2_SC_S9_PKT4_PKT5_S7_PT6_21rocsparse_index_base_b,"axG",@progbits,_ZN9rocsparseL18bsrxmvn_3x3_kernelILj256ELj16E21rocsparse_complex_numIdEiidS2_S2_EEvT3_20rocsparse_direction_NS_24const_host_device_scalarIT1_EES3_PKS3_PKT2_SC_S9_PKT4_PKT5_S7_PT6_21rocsparse_index_base_b,comdat
	.globl	_ZN9rocsparseL18bsrxmvn_3x3_kernelILj256ELj16E21rocsparse_complex_numIdEiidS2_S2_EEvT3_20rocsparse_direction_NS_24const_host_device_scalarIT1_EES3_PKS3_PKT2_SC_S9_PKT4_PKT5_S7_PT6_21rocsparse_index_base_b ; -- Begin function _ZN9rocsparseL18bsrxmvn_3x3_kernelILj256ELj16E21rocsparse_complex_numIdEiidS2_S2_EEvT3_20rocsparse_direction_NS_24const_host_device_scalarIT1_EES3_PKS3_PKT2_SC_S9_PKT4_PKT5_S7_PT6_21rocsparse_index_base_b
	.p2align	8
	.type	_ZN9rocsparseL18bsrxmvn_3x3_kernelILj256ELj16E21rocsparse_complex_numIdEiidS2_S2_EEvT3_20rocsparse_direction_NS_24const_host_device_scalarIT1_EES3_PKS3_PKT2_SC_S9_PKT4_PKT5_S7_PT6_21rocsparse_index_base_b,@function
_ZN9rocsparseL18bsrxmvn_3x3_kernelILj256ELj16E21rocsparse_complex_numIdEiidS2_S2_EEvT3_20rocsparse_direction_NS_24const_host_device_scalarIT1_EES3_PKS3_PKT2_SC_S9_PKT4_PKT5_S7_PT6_21rocsparse_index_base_b: ; @_ZN9rocsparseL18bsrxmvn_3x3_kernelILj256ELj16E21rocsparse_complex_numIdEiidS2_S2_EEvT3_20rocsparse_direction_NS_24const_host_device_scalarIT1_EES3_PKS3_PKT2_SC_S9_PKT4_PKT5_S7_PT6_21rocsparse_index_base_b
; %bb.0:
	s_load_dwordx2 s[16:17], s[2:3], 0x68
	s_load_dwordx4 s[8:11], s[2:3], 0x8
	s_load_dwordx2 s[18:19], s[0:1], 0x4
	s_load_dwordx4 s[12:15], s[2:3], 0x50
	s_mov_b64 s[6:7], src_shared_base
	v_and_b32_e32 v2, 0x3ff, v0
	s_waitcnt lgkmcnt(0)
	s_bitcmp1_b32 s17, 0
	s_cselect_b64 s[0:1], -1, 0
	s_and_b64 vcc, s[0:1], exec
	s_cselect_b32 s5, s7, s9
	s_lshr_b32 s6, s18, 16
	s_mul_i32 s6, s6, s19
	v_mul_lo_u32 v3, s6, v2
	v_bfe_u32 v4, v0, 10, 10
	v_mad_u32_u24 v3, v4, s19, v3
	v_bfe_u32 v0, v0, 20, 10
	v_add_lshl_u32 v0, v3, v0, 3
	v_mov_b32_e32 v1, s8
	v_add_u32_e32 v3, 0x800, v0
	v_mov_b64_e32 v[4:5], s[8:9]
	v_mov_b64_e32 v[6:7], s[12:13]
	ds_write2st64_b64 v0, v[6:7], v[4:5] offset1:4
	v_cndmask_b32_e64 v4, v1, v3, s[0:1]
	v_mov_b32_e32 v5, s5
	flat_load_dwordx2 v[16:17], v[4:5]
	s_xor_b64 s[18:19], s[0:1], -1
	v_mov_b64_e32 v[18:19], s[10:11]
	s_cbranch_vccnz .LBB137_2
; %bb.1:
	v_mov_b64_e32 v[4:5], s[8:9]
	flat_load_dwordx2 v[18:19], v[4:5] offset:8
.LBB137_2:
	s_and_b64 s[8:9], s[0:1], exec
	s_cselect_b32 s5, s7, s13
	v_mov_b32_e32 v1, s12
	v_cndmask_b32_e64 v0, v1, v0, s[0:1]
	v_mov_b32_e32 v1, s5
	flat_load_dwordx2 v[12:13], v[0:1]
	s_andn2_b64 vcc, exec, s[18:19]
	v_mov_b64_e32 v[14:15], s[14:15]
	s_cbranch_vccnz .LBB137_4
; %bb.3:
	v_mov_b64_e32 v[0:1], s[12:13]
	flat_load_dwordx2 v[14:15], v[0:1] offset:8
.LBB137_4:
	s_waitcnt vmcnt(0) lgkmcnt(0)
	v_cmp_eq_f64_e32 vcc, 0, v[16:17]
	v_cmp_eq_f64_e64 s[0:1], 0, v[18:19]
	s_and_b64 s[8:9], vcc, s[0:1]
	s_mov_b64 s[0:1], -1
	s_and_saveexec_b64 s[6:7], s[8:9]
; %bb.5:
	v_cmp_neq_f64_e32 vcc, 1.0, v[12:13]
	v_cmp_neq_f64_e64 s[0:1], 0, v[14:15]
	s_or_b64 s[0:1], vcc, s[0:1]
	s_orn2_b64 s[0:1], s[0:1], exec
; %bb.6:
	s_or_b64 exec, exec, s[6:7]
	s_and_saveexec_b64 s[6:7], s[0:1]
	s_cbranch_execz .LBB137_12
; %bb.7:
	s_load_dwordx2 s[6:7], s[2:3], 0x20
	s_load_dwordx2 s[0:1], s[2:3], 0x0
	v_lshrrev_b32_e32 v0, 4, v2
	v_lshl_or_b32 v0, s4, 4, v0
	s_mov_b64 s[4:5], 0
	s_waitcnt lgkmcnt(0)
	s_cmp_lg_u64 s[6:7], 0
	s_cbranch_scc0 .LBB137_13
; %bb.8:
	s_load_dword s8, s[2:3], 0x18
                                        ; implicit-def: $vgpr1
	s_waitcnt lgkmcnt(0)
	v_cmp_gt_i32_e32 vcc, s8, v0
	s_and_saveexec_b64 s[8:9], vcc
	s_xor_b64 s[8:9], exec, s[8:9]
	s_cbranch_execz .LBB137_10
; %bb.9:
	v_ashrrev_i32_e32 v1, 31, v0
	v_lshl_add_u64 v[4:5], v[0:1], 2, s[6:7]
	global_load_dword v1, v[4:5], off
	s_mov_b64 s[4:5], exec
	s_waitcnt vmcnt(0)
	v_subrev_u32_e32 v1, s16, v1
.LBB137_10:
	s_or_b64 exec, exec, s[8:9]
	s_branch .LBB137_14
.LBB137_11:
	v_cmp_gt_i32_e32 vcc, s0, v0
	s_andn2_b64 s[4:5], s[4:5], exec
	s_and_b64 s[6:7], vcc, exec
	s_or_b64 s[4:5], s[4:5], s[6:7]
	s_and_b64 exec, exec, s[4:5]
	s_cbranch_execnz .LBB137_15
.LBB137_12:
	s_endpgm
.LBB137_13:
                                        ; implicit-def: $vgpr1
	s_cbranch_execnz .LBB137_11
.LBB137_14:
	v_mov_b32_e32 v0, v1
	s_and_b64 exec, exec, s[4:5]
	s_cbranch_execz .LBB137_12
.LBB137_15:
	s_load_dwordx8 s[4:11], s[2:3], 0x28
	v_ashrrev_i32_e32 v1, 31, v0
	v_lshlrev_b64 v[4:5], 2, v[0:1]
	v_and_b32_e32 v1, 15, v2
	s_movk_i32 s0, 0x48
	s_waitcnt lgkmcnt(0)
	v_lshl_add_u64 v[6:7], s[4:5], 0, v[4:5]
	s_cmp_eq_u64 s[6:7], 0
	global_load_dword v8, v[6:7], off
	v_lshl_add_u64 v[6:7], v[6:7], 0, 4
	v_lshl_add_u64 v[4:5], s[6:7], 0, v[4:5]
	s_cselect_b64 vcc, -1, 0
	v_cndmask_b32_e32 v5, v5, v7, vcc
	v_cndmask_b32_e32 v4, v4, v6, vcc
	global_load_dword v4, v[4:5], off
	s_load_dwordx2 s[4:5], s[2:3], 0x48
	v_mov_b64_e32 v[2:3], s[10:11]
	s_cmp_eq_u32 s1, 1
	s_waitcnt vmcnt(1)
	v_subrev_u32_e32 v5, s16, v8
	v_add_u32_e32 v22, v5, v1
	v_mad_i64_i32 v[24:25], s[6:7], v22, s0, v[2:3]
	s_waitcnt vmcnt(0)
	v_subrev_u32_e32 v30, s16, v4
	v_cmp_lt_i32_e64 s[0:1], v22, v30
	s_cbranch_scc1 .LBB137_21
; %bb.16:
	v_mov_b64_e32 v[8:9], 0
	s_mov_b64 s[6:7], 0
	v_mov_b64_e32 v[20:21], v[8:9]
	v_mov_b64_e32 v[6:7], v[8:9]
	v_mov_b64_e32 v[10:11], v[8:9]
	v_mov_b64_e32 v[2:3], v[8:9]
	v_mov_b64_e32 v[4:5], v[8:9]
	s_and_saveexec_b64 s[10:11], s[0:1]
	s_cbranch_execz .LBB137_20
; %bb.17:
	v_mov_b64_e32 v[8:9], 0
	s_mov_b64 s[12:13], 0
	s_mov_b64 s[14:15], 0x480
	v_mov_b32_e32 v26, v22
	v_mov_b64_e32 v[28:29], v[24:25]
	v_mov_b64_e32 v[20:21], v[8:9]
	;; [unrolled: 1-line block ×6, first 2 shown]
.LBB137_18:                             ; =>This Inner Loop Header: Depth=1
	v_ashrrev_i32_e32 v27, 31, v26
	v_lshl_add_u64 v[48:49], v[26:27], 2, s[8:9]
	global_load_dword v23, v[48:49], off
	global_load_dwordx4 v[32:35], v[28:29], off offset:48
	global_load_dwordx4 v[36:39], v[28:29], off offset:32
	;; [unrolled: 1-line block ×3, first 2 shown]
	global_load_dwordx4 v[44:47], v[28:29], off
	global_load_dwordx2 v[60:61], v[28:29], off offset:64
	v_add_u32_e32 v26, 16, v26
	v_cmp_ge_i32_e32 vcc, v26, v30
	v_lshl_add_u64 v[28:29], v[28:29], 0, s[14:15]
	s_or_b64 s[12:13], vcc, s[12:13]
	s_waitcnt vmcnt(5)
	v_subrev_u32_e32 v23, s16, v23
	v_lshl_add_u32 v48, v23, 1, v23
	v_ashrrev_i32_e32 v49, 31, v48
	s_waitcnt lgkmcnt(0)
	v_lshl_add_u64 v[62:63], v[48:49], 4, s[4:5]
	global_load_dwordx4 v[48:51], v[62:63], off
	global_load_dwordx4 v[52:55], v[62:63], off offset:16
	global_load_dwordx4 v[56:59], v[62:63], off offset:32
	s_waitcnt vmcnt(2)
	v_fmac_f64_e32 v[20:21], v[44:45], v[48:49]
	v_fmac_f64_e32 v[8:9], 0, v[48:49]
	v_fmac_f64_e32 v[10:11], v[42:43], v[48:49]
	v_fmac_f64_e32 v[6:7], 0, v[48:49]
	v_fmac_f64_e32 v[4:5], v[32:33], v[48:49]
	v_fmac_f64_e32 v[2:3], 0, v[48:49]
	v_fmac_f64_e32 v[20:21], 0x80000000, v[50:51]
	v_fmac_f64_e32 v[8:9], v[44:45], v[50:51]
	v_fmac_f64_e32 v[10:11], 0x80000000, v[50:51]
	v_fmac_f64_e32 v[6:7], v[42:43], v[50:51]
	v_fmac_f64_e32 v[4:5], 0x80000000, v[50:51]
	v_fmac_f64_e32 v[2:3], v[32:33], v[50:51]
	s_waitcnt vmcnt(1)
	v_fmac_f64_e32 v[20:21], v[46:47], v[52:53]
	v_fmac_f64_e32 v[8:9], 0, v[52:53]
	v_fmac_f64_e32 v[10:11], v[36:37], v[52:53]
	v_fmac_f64_e32 v[6:7], 0, v[52:53]
	v_fmac_f64_e32 v[4:5], v[34:35], v[52:53]
	v_fmac_f64_e32 v[2:3], 0, v[52:53]
	v_fmac_f64_e32 v[20:21], 0x80000000, v[54:55]
	v_fmac_f64_e32 v[8:9], v[46:47], v[54:55]
	v_fmac_f64_e32 v[10:11], 0x80000000, v[54:55]
	v_fmac_f64_e32 v[6:7], v[36:37], v[54:55]
	v_fmac_f64_e32 v[4:5], 0x80000000, v[54:55]
	v_fmac_f64_e32 v[2:3], v[34:35], v[54:55]
	;; [unrolled: 13-line block ×3, first 2 shown]
	s_andn2_b64 exec, exec, s[12:13]
	s_cbranch_execnz .LBB137_18
; %bb.19:
	s_or_b64 exec, exec, s[12:13]
.LBB137_20:
	s_or_b64 exec, exec, s[10:11]
	s_andn2_b64 vcc, exec, s[6:7]
	s_cbranch_vccz .LBB137_22
	s_branch .LBB137_27
.LBB137_21:
                                        ; implicit-def: $vgpr8_vgpr9
                                        ; implicit-def: $vgpr20_vgpr21
                                        ; implicit-def: $vgpr6_vgpr7
                                        ; implicit-def: $vgpr10_vgpr11
                                        ; implicit-def: $vgpr2_vgpr3
                                        ; implicit-def: $vgpr4_vgpr5
.LBB137_22:
	v_mov_b64_e32 v[8:9], 0
	v_mov_b64_e32 v[20:21], v[8:9]
	;; [unrolled: 1-line block ×6, first 2 shown]
	s_and_saveexec_b64 s[6:7], s[0:1]
	s_cbranch_execz .LBB137_26
; %bb.23:
	v_mov_b64_e32 v[8:9], 0
	s_mov_b64 s[0:1], 0
	s_mov_b64 s[10:11], 0x480
	v_mov_b64_e32 v[20:21], v[8:9]
	v_mov_b64_e32 v[6:7], v[8:9]
	;; [unrolled: 1-line block ×5, first 2 shown]
.LBB137_24:                             ; =>This Inner Loop Header: Depth=1
	v_ashrrev_i32_e32 v23, 31, v22
	v_lshl_add_u64 v[44:45], v[22:23], 2, s[8:9]
	global_load_dword v23, v[44:45], off
	global_load_dwordx4 v[26:29], v[24:25], off offset:48
	global_load_dwordx4 v[32:35], v[24:25], off offset:32
	;; [unrolled: 1-line block ×3, first 2 shown]
	global_load_dwordx4 v[40:43], v[24:25], off
	global_load_dwordx2 v[56:57], v[24:25], off offset:64
	v_add_u32_e32 v22, 16, v22
	v_cmp_ge_i32_e32 vcc, v22, v30
	v_lshl_add_u64 v[24:25], v[24:25], 0, s[10:11]
	s_or_b64 s[0:1], vcc, s[0:1]
	s_waitcnt vmcnt(5)
	v_subrev_u32_e32 v23, s16, v23
	v_lshl_add_u32 v44, v23, 1, v23
	v_ashrrev_i32_e32 v45, 31, v44
	s_waitcnt lgkmcnt(0)
	v_lshl_add_u64 v[58:59], v[44:45], 4, s[4:5]
	global_load_dwordx4 v[44:47], v[58:59], off
	global_load_dwordx4 v[48:51], v[58:59], off offset:16
	global_load_dwordx4 v[52:55], v[58:59], off offset:32
	s_waitcnt vmcnt(2)
	v_fmac_f64_e32 v[20:21], v[40:41], v[44:45]
	v_fmac_f64_e32 v[8:9], 0, v[44:45]
	v_fmac_f64_e32 v[10:11], v[42:43], v[44:45]
	v_fmac_f64_e32 v[6:7], 0, v[44:45]
	v_fmac_f64_e32 v[4:5], v[36:37], v[44:45]
	v_fmac_f64_e32 v[2:3], 0, v[44:45]
	v_fmac_f64_e32 v[20:21], 0x80000000, v[46:47]
	v_fmac_f64_e32 v[8:9], v[40:41], v[46:47]
	v_fmac_f64_e32 v[10:11], 0x80000000, v[46:47]
	v_fmac_f64_e32 v[6:7], v[42:43], v[46:47]
	v_fmac_f64_e32 v[4:5], 0x80000000, v[46:47]
	v_fmac_f64_e32 v[2:3], v[36:37], v[46:47]
	s_waitcnt vmcnt(1)
	v_fmac_f64_e32 v[20:21], v[38:39], v[48:49]
	v_fmac_f64_e32 v[8:9], 0, v[48:49]
	v_fmac_f64_e32 v[10:11], v[32:33], v[48:49]
	v_fmac_f64_e32 v[6:7], 0, v[48:49]
	v_fmac_f64_e32 v[4:5], v[34:35], v[48:49]
	v_fmac_f64_e32 v[2:3], 0, v[48:49]
	v_fmac_f64_e32 v[20:21], 0x80000000, v[50:51]
	v_fmac_f64_e32 v[8:9], v[38:39], v[50:51]
	v_fmac_f64_e32 v[10:11], 0x80000000, v[50:51]
	v_fmac_f64_e32 v[6:7], v[32:33], v[50:51]
	v_fmac_f64_e32 v[4:5], 0x80000000, v[50:51]
	v_fmac_f64_e32 v[2:3], v[34:35], v[50:51]
	;; [unrolled: 13-line block ×3, first 2 shown]
	s_andn2_b64 exec, exec, s[0:1]
	s_cbranch_execnz .LBB137_24
; %bb.25:
	s_or_b64 exec, exec, s[0:1]
.LBB137_26:
	s_or_b64 exec, exec, s[6:7]
.LBB137_27:
	v_mov_b32_dpp v22, v20 row_shr:1 row_mask:0xf bank_mask:0xf
	v_mov_b32_dpp v23, v21 row_shr:1 row_mask:0xf bank_mask:0xf
	v_mov_b32_dpp v24, v8 row_shr:1 row_mask:0xf bank_mask:0xf
	v_mov_b32_dpp v25, v9 row_shr:1 row_mask:0xf bank_mask:0xf
	v_mov_b32_dpp v26, v10 row_shr:1 row_mask:0xf bank_mask:0xf
	v_mov_b32_dpp v27, v11 row_shr:1 row_mask:0xf bank_mask:0xf
	v_mov_b32_dpp v28, v6 row_shr:1 row_mask:0xf bank_mask:0xf
	v_mov_b32_dpp v29, v7 row_shr:1 row_mask:0xf bank_mask:0xf
	v_mov_b32_dpp v30, v4 row_shr:1 row_mask:0xf bank_mask:0xf
	v_mov_b32_dpp v31, v5 row_shr:1 row_mask:0xf bank_mask:0xf
	v_mov_b32_dpp v32, v2 row_shr:1 row_mask:0xf bank_mask:0xf
	v_mov_b32_dpp v33, v3 row_shr:1 row_mask:0xf bank_mask:0xf
	v_add_f64 v[20:21], v[20:21], v[22:23]
	v_add_f64 v[8:9], v[8:9], v[24:25]
	v_add_f64 v[10:11], v[10:11], v[26:27]
	v_add_f64 v[6:7], v[6:7], v[28:29]
	v_add_f64 v[4:5], v[4:5], v[30:31]
	v_add_f64 v[2:3], v[2:3], v[32:33]
	v_mov_b32_dpp v22, v20 row_shr:2 row_mask:0xf bank_mask:0xf
	v_mov_b32_dpp v23, v21 row_shr:2 row_mask:0xf bank_mask:0xf
	v_mov_b32_dpp v24, v8 row_shr:2 row_mask:0xf bank_mask:0xf
	v_mov_b32_dpp v25, v9 row_shr:2 row_mask:0xf bank_mask:0xf
	v_mov_b32_dpp v26, v10 row_shr:2 row_mask:0xf bank_mask:0xf
	v_mov_b32_dpp v27, v11 row_shr:2 row_mask:0xf bank_mask:0xf
	v_mov_b32_dpp v28, v6 row_shr:2 row_mask:0xf bank_mask:0xf
	v_mov_b32_dpp v29, v7 row_shr:2 row_mask:0xf bank_mask:0xf
	v_mov_b32_dpp v30, v4 row_shr:2 row_mask:0xf bank_mask:0xf
	v_mov_b32_dpp v31, v5 row_shr:2 row_mask:0xf bank_mask:0xf
	v_mov_b32_dpp v32, v2 row_shr:2 row_mask:0xf bank_mask:0xf
	v_mov_b32_dpp v33, v3 row_shr:2 row_mask:0xf bank_mask:0xf
	v_add_f64 v[20:21], v[20:21], v[22:23]
	v_add_f64 v[8:9], v[8:9], v[24:25]
	v_add_f64 v[10:11], v[10:11], v[26:27]
	v_add_f64 v[6:7], v[6:7], v[28:29]
	v_add_f64 v[4:5], v[4:5], v[30:31]
	v_add_f64 v[2:3], v[2:3], v[32:33]
	;; [unrolled: 18-line block ×3, first 2 shown]
	v_mov_b32_dpp v22, v20 row_shr:8 row_mask:0xf bank_mask:0xc
	v_mov_b32_dpp v23, v21 row_shr:8 row_mask:0xf bank_mask:0xc
	;; [unrolled: 1-line block ×12, first 2 shown]
	v_cmp_eq_u32_e32 vcc, 15, v1
	s_and_b64 exec, exec, vcc
	s_cbranch_execz .LBB137_12
; %bb.28:
	s_load_dwordx2 s[2:3], s[2:3], 0x60
	v_add_f64 v[22:23], v[20:21], v[22:23]
	v_add_f64 v[20:21], v[8:9], v[24:25]
	;; [unrolled: 1-line block ×6, first 2 shown]
	v_cmp_eq_f64_e32 vcc, 0, v[12:13]
	v_cmp_eq_f64_e64 s[0:1], 0, v[14:15]
	v_mul_f64 v[8:9], v[20:21], -v[18:19]
	v_mul_f64 v[10:11], v[16:17], v[20:21]
	v_lshl_add_u32 v20, v0, 1, v0
	v_mul_f64 v[4:5], v[6:7], -v[18:19]
	v_mul_f64 v[6:7], v[16:17], v[6:7]
	v_mul_f64 v[0:1], v[2:3], -v[18:19]
	v_mul_f64 v[2:3], v[16:17], v[2:3]
	s_and_b64 s[0:1], vcc, s[0:1]
	v_fmac_f64_e32 v[8:9], v[16:17], v[22:23]
	v_fmac_f64_e32 v[10:11], v[18:19], v[22:23]
	v_ashrrev_i32_e32 v21, 31, v20
	v_fmac_f64_e32 v[4:5], v[16:17], v[24:25]
	v_fmac_f64_e32 v[6:7], v[18:19], v[24:25]
	;; [unrolled: 1-line block ×4, first 2 shown]
	s_waitcnt lgkmcnt(0)
	s_and_saveexec_b64 s[4:5], s[0:1]
	s_xor_b64 s[0:1], exec, s[4:5]
	s_cbranch_execz .LBB137_30
; %bb.29:
	v_lshl_add_u64 v[12:13], v[20:21], 4, s[2:3]
	global_store_dwordx4 v[12:13], v[8:11], off
	global_store_dwordx4 v[12:13], v[4:7], off offset:16
	global_store_dwordx4 v[12:13], v[0:3], off offset:32
                                        ; implicit-def: $vgpr12_vgpr13
                                        ; implicit-def: $vgpr14_vgpr15
                                        ; implicit-def: $vgpr20
                                        ; implicit-def: $vgpr8_vgpr9
                                        ; implicit-def: $vgpr4_vgpr5
                                        ; implicit-def: $vgpr0_vgpr1
.LBB137_30:
	s_andn2_saveexec_b64 s[0:1], s[0:1]
	s_cbranch_execz .LBB137_12
; %bb.31:
	v_lshl_add_u64 v[28:29], v[20:21], 4, s[2:3]
	global_load_dwordx4 v[16:19], v[28:29], off
	global_load_dwordx4 v[20:23], v[28:29], off offset:16
	global_load_dwordx4 v[24:27], v[28:29], off offset:32
	s_waitcnt vmcnt(2)
	v_fmac_f64_e32 v[8:9], v[12:13], v[16:17]
	v_fmac_f64_e32 v[10:11], v[14:15], v[16:17]
	s_waitcnt vmcnt(1)
	v_fmac_f64_e32 v[4:5], v[12:13], v[20:21]
	v_fmac_f64_e32 v[6:7], v[14:15], v[20:21]
	;; [unrolled: 3-line block ×3, first 2 shown]
	v_fma_f64 v[8:9], -v[14:15], v[18:19], v[8:9]
	v_fmac_f64_e32 v[10:11], v[12:13], v[18:19]
	v_fma_f64 v[4:5], -v[14:15], v[22:23], v[4:5]
	v_fmac_f64_e32 v[6:7], v[12:13], v[22:23]
	;; [unrolled: 2-line block ×3, first 2 shown]
	global_store_dwordx4 v[28:29], v[8:11], off
	global_store_dwordx4 v[28:29], v[4:7], off offset:16
	global_store_dwordx4 v[28:29], v[0:3], off offset:32
	s_endpgm
	.section	.rodata,"a",@progbits
	.p2align	6, 0x0
	.amdhsa_kernel _ZN9rocsparseL18bsrxmvn_3x3_kernelILj256ELj16E21rocsparse_complex_numIdEiidS2_S2_EEvT3_20rocsparse_direction_NS_24const_host_device_scalarIT1_EES3_PKS3_PKT2_SC_S9_PKT4_PKT5_S7_PT6_21rocsparse_index_base_b
		.amdhsa_group_segment_fixed_size 4096
		.amdhsa_private_segment_fixed_size 0
		.amdhsa_kernarg_size 112
		.amdhsa_user_sgpr_count 4
		.amdhsa_user_sgpr_dispatch_ptr 1
		.amdhsa_user_sgpr_queue_ptr 0
		.amdhsa_user_sgpr_kernarg_segment_ptr 1
		.amdhsa_user_sgpr_dispatch_id 0
		.amdhsa_user_sgpr_kernarg_preload_length 0
		.amdhsa_user_sgpr_kernarg_preload_offset 0
		.amdhsa_user_sgpr_private_segment_size 0
		.amdhsa_uses_dynamic_stack 0
		.amdhsa_enable_private_segment 0
		.amdhsa_system_sgpr_workgroup_id_x 1
		.amdhsa_system_sgpr_workgroup_id_y 0
		.amdhsa_system_sgpr_workgroup_id_z 0
		.amdhsa_system_sgpr_workgroup_info 0
		.amdhsa_system_vgpr_workitem_id 2
		.amdhsa_next_free_vgpr 64
		.amdhsa_next_free_sgpr 20
		.amdhsa_accum_offset 64
		.amdhsa_reserve_vcc 1
		.amdhsa_float_round_mode_32 0
		.amdhsa_float_round_mode_16_64 0
		.amdhsa_float_denorm_mode_32 3
		.amdhsa_float_denorm_mode_16_64 3
		.amdhsa_dx10_clamp 1
		.amdhsa_ieee_mode 1
		.amdhsa_fp16_overflow 0
		.amdhsa_tg_split 0
		.amdhsa_exception_fp_ieee_invalid_op 0
		.amdhsa_exception_fp_denorm_src 0
		.amdhsa_exception_fp_ieee_div_zero 0
		.amdhsa_exception_fp_ieee_overflow 0
		.amdhsa_exception_fp_ieee_underflow 0
		.amdhsa_exception_fp_ieee_inexact 0
		.amdhsa_exception_int_div_zero 0
	.end_amdhsa_kernel
	.section	.text._ZN9rocsparseL18bsrxmvn_3x3_kernelILj256ELj16E21rocsparse_complex_numIdEiidS2_S2_EEvT3_20rocsparse_direction_NS_24const_host_device_scalarIT1_EES3_PKS3_PKT2_SC_S9_PKT4_PKT5_S7_PT6_21rocsparse_index_base_b,"axG",@progbits,_ZN9rocsparseL18bsrxmvn_3x3_kernelILj256ELj16E21rocsparse_complex_numIdEiidS2_S2_EEvT3_20rocsparse_direction_NS_24const_host_device_scalarIT1_EES3_PKS3_PKT2_SC_S9_PKT4_PKT5_S7_PT6_21rocsparse_index_base_b,comdat
.Lfunc_end137:
	.size	_ZN9rocsparseL18bsrxmvn_3x3_kernelILj256ELj16E21rocsparse_complex_numIdEiidS2_S2_EEvT3_20rocsparse_direction_NS_24const_host_device_scalarIT1_EES3_PKS3_PKT2_SC_S9_PKT4_PKT5_S7_PT6_21rocsparse_index_base_b, .Lfunc_end137-_ZN9rocsparseL18bsrxmvn_3x3_kernelILj256ELj16E21rocsparse_complex_numIdEiidS2_S2_EEvT3_20rocsparse_direction_NS_24const_host_device_scalarIT1_EES3_PKS3_PKT2_SC_S9_PKT4_PKT5_S7_PT6_21rocsparse_index_base_b
                                        ; -- End function
	.section	.AMDGPU.csdata,"",@progbits
; Kernel info:
; codeLenInByte = 2332
; NumSgprs: 26
; NumVgprs: 64
; NumAgprs: 0
; TotalNumVgprs: 64
; ScratchSize: 0
; MemoryBound: 0
; FloatMode: 240
; IeeeMode: 1
; LDSByteSize: 4096 bytes/workgroup (compile time only)
; SGPRBlocks: 3
; VGPRBlocks: 7
; NumSGPRsForWavesPerEU: 26
; NumVGPRsForWavesPerEU: 64
; AccumOffset: 64
; Occupancy: 8
; WaveLimiterHint : 1
; COMPUTE_PGM_RSRC2:SCRATCH_EN: 0
; COMPUTE_PGM_RSRC2:USER_SGPR: 4
; COMPUTE_PGM_RSRC2:TRAP_HANDLER: 0
; COMPUTE_PGM_RSRC2:TGID_X_EN: 1
; COMPUTE_PGM_RSRC2:TGID_Y_EN: 0
; COMPUTE_PGM_RSRC2:TGID_Z_EN: 0
; COMPUTE_PGM_RSRC2:TIDIG_COMP_CNT: 2
; COMPUTE_PGM_RSRC3_GFX90A:ACCUM_OFFSET: 15
; COMPUTE_PGM_RSRC3_GFX90A:TG_SPLIT: 0
	.section	.text._ZN9rocsparseL18bsrxmvn_3x3_kernelILj256ELj32E21rocsparse_complex_numIdEiidS2_S2_EEvT3_20rocsparse_direction_NS_24const_host_device_scalarIT1_EES3_PKS3_PKT2_SC_S9_PKT4_PKT5_S7_PT6_21rocsparse_index_base_b,"axG",@progbits,_ZN9rocsparseL18bsrxmvn_3x3_kernelILj256ELj32E21rocsparse_complex_numIdEiidS2_S2_EEvT3_20rocsparse_direction_NS_24const_host_device_scalarIT1_EES3_PKS3_PKT2_SC_S9_PKT4_PKT5_S7_PT6_21rocsparse_index_base_b,comdat
	.globl	_ZN9rocsparseL18bsrxmvn_3x3_kernelILj256ELj32E21rocsparse_complex_numIdEiidS2_S2_EEvT3_20rocsparse_direction_NS_24const_host_device_scalarIT1_EES3_PKS3_PKT2_SC_S9_PKT4_PKT5_S7_PT6_21rocsparse_index_base_b ; -- Begin function _ZN9rocsparseL18bsrxmvn_3x3_kernelILj256ELj32E21rocsparse_complex_numIdEiidS2_S2_EEvT3_20rocsparse_direction_NS_24const_host_device_scalarIT1_EES3_PKS3_PKT2_SC_S9_PKT4_PKT5_S7_PT6_21rocsparse_index_base_b
	.p2align	8
	.type	_ZN9rocsparseL18bsrxmvn_3x3_kernelILj256ELj32E21rocsparse_complex_numIdEiidS2_S2_EEvT3_20rocsparse_direction_NS_24const_host_device_scalarIT1_EES3_PKS3_PKT2_SC_S9_PKT4_PKT5_S7_PT6_21rocsparse_index_base_b,@function
_ZN9rocsparseL18bsrxmvn_3x3_kernelILj256ELj32E21rocsparse_complex_numIdEiidS2_S2_EEvT3_20rocsparse_direction_NS_24const_host_device_scalarIT1_EES3_PKS3_PKT2_SC_S9_PKT4_PKT5_S7_PT6_21rocsparse_index_base_b: ; @_ZN9rocsparseL18bsrxmvn_3x3_kernelILj256ELj32E21rocsparse_complex_numIdEiidS2_S2_EEvT3_20rocsparse_direction_NS_24const_host_device_scalarIT1_EES3_PKS3_PKT2_SC_S9_PKT4_PKT5_S7_PT6_21rocsparse_index_base_b
; %bb.0:
	s_load_dwordx2 s[16:17], s[2:3], 0x68
	s_load_dwordx4 s[8:11], s[2:3], 0x8
	s_load_dwordx2 s[18:19], s[0:1], 0x4
	s_load_dwordx4 s[12:15], s[2:3], 0x50
	s_mov_b64 s[6:7], src_shared_base
	v_and_b32_e32 v2, 0x3ff, v0
	s_waitcnt lgkmcnt(0)
	s_bitcmp1_b32 s17, 0
	s_cselect_b64 s[0:1], -1, 0
	s_and_b64 vcc, s[0:1], exec
	s_cselect_b32 s5, s7, s9
	s_lshr_b32 s6, s18, 16
	s_mul_i32 s6, s6, s19
	v_mul_lo_u32 v3, s6, v2
	v_bfe_u32 v4, v0, 10, 10
	v_mad_u32_u24 v3, v4, s19, v3
	v_bfe_u32 v0, v0, 20, 10
	v_add_lshl_u32 v0, v3, v0, 3
	v_mov_b32_e32 v1, s8
	v_add_u32_e32 v3, 0x800, v0
	v_mov_b64_e32 v[4:5], s[8:9]
	v_mov_b64_e32 v[6:7], s[12:13]
	ds_write2st64_b64 v0, v[6:7], v[4:5] offset1:4
	v_cndmask_b32_e64 v4, v1, v3, s[0:1]
	v_mov_b32_e32 v5, s5
	flat_load_dwordx2 v[16:17], v[4:5]
	s_xor_b64 s[18:19], s[0:1], -1
	v_mov_b64_e32 v[18:19], s[10:11]
	s_cbranch_vccnz .LBB138_2
; %bb.1:
	v_mov_b64_e32 v[4:5], s[8:9]
	flat_load_dwordx2 v[18:19], v[4:5] offset:8
.LBB138_2:
	s_and_b64 s[8:9], s[0:1], exec
	s_cselect_b32 s5, s7, s13
	v_mov_b32_e32 v1, s12
	v_cndmask_b32_e64 v0, v1, v0, s[0:1]
	v_mov_b32_e32 v1, s5
	flat_load_dwordx2 v[12:13], v[0:1]
	s_andn2_b64 vcc, exec, s[18:19]
	v_mov_b64_e32 v[14:15], s[14:15]
	s_cbranch_vccnz .LBB138_4
; %bb.3:
	v_mov_b64_e32 v[0:1], s[12:13]
	flat_load_dwordx2 v[14:15], v[0:1] offset:8
.LBB138_4:
	s_waitcnt vmcnt(0) lgkmcnt(0)
	v_cmp_eq_f64_e32 vcc, 0, v[16:17]
	v_cmp_eq_f64_e64 s[0:1], 0, v[18:19]
	s_and_b64 s[8:9], vcc, s[0:1]
	s_mov_b64 s[0:1], -1
	s_and_saveexec_b64 s[6:7], s[8:9]
; %bb.5:
	v_cmp_neq_f64_e32 vcc, 1.0, v[12:13]
	v_cmp_neq_f64_e64 s[0:1], 0, v[14:15]
	s_or_b64 s[0:1], vcc, s[0:1]
	s_orn2_b64 s[0:1], s[0:1], exec
; %bb.6:
	s_or_b64 exec, exec, s[6:7]
	s_and_saveexec_b64 s[6:7], s[0:1]
	s_cbranch_execz .LBB138_12
; %bb.7:
	s_load_dwordx2 s[6:7], s[2:3], 0x20
	s_load_dwordx2 s[0:1], s[2:3], 0x0
	v_lshrrev_b32_e32 v0, 5, v2
	v_lshl_or_b32 v0, s4, 3, v0
	s_mov_b64 s[4:5], 0
	s_waitcnt lgkmcnt(0)
	s_cmp_lg_u64 s[6:7], 0
	s_cbranch_scc0 .LBB138_13
; %bb.8:
	s_load_dword s8, s[2:3], 0x18
                                        ; implicit-def: $vgpr1
	s_waitcnt lgkmcnt(0)
	v_cmp_gt_i32_e32 vcc, s8, v0
	s_and_saveexec_b64 s[8:9], vcc
	s_xor_b64 s[8:9], exec, s[8:9]
	s_cbranch_execz .LBB138_10
; %bb.9:
	v_ashrrev_i32_e32 v1, 31, v0
	v_lshl_add_u64 v[4:5], v[0:1], 2, s[6:7]
	global_load_dword v1, v[4:5], off
	s_mov_b64 s[4:5], exec
	s_waitcnt vmcnt(0)
	v_subrev_u32_e32 v1, s16, v1
.LBB138_10:
	s_or_b64 exec, exec, s[8:9]
	s_branch .LBB138_14
.LBB138_11:
	v_cmp_gt_i32_e32 vcc, s0, v0
	s_andn2_b64 s[4:5], s[4:5], exec
	s_and_b64 s[6:7], vcc, exec
	s_or_b64 s[4:5], s[4:5], s[6:7]
	s_and_b64 exec, exec, s[4:5]
	s_cbranch_execnz .LBB138_15
.LBB138_12:
	s_endpgm
.LBB138_13:
                                        ; implicit-def: $vgpr1
	s_cbranch_execnz .LBB138_11
.LBB138_14:
	v_mov_b32_e32 v0, v1
	s_and_b64 exec, exec, s[4:5]
	s_cbranch_execz .LBB138_12
.LBB138_15:
	s_load_dwordx8 s[4:11], s[2:3], 0x28
	v_ashrrev_i32_e32 v1, 31, v0
	v_lshlrev_b64 v[4:5], 2, v[0:1]
	v_and_b32_e32 v1, 31, v2
	s_movk_i32 s0, 0x48
	s_waitcnt lgkmcnt(0)
	v_lshl_add_u64 v[6:7], s[4:5], 0, v[4:5]
	s_cmp_eq_u64 s[6:7], 0
	global_load_dword v8, v[6:7], off
	v_lshl_add_u64 v[6:7], v[6:7], 0, 4
	v_lshl_add_u64 v[4:5], s[6:7], 0, v[4:5]
	s_cselect_b64 vcc, -1, 0
	v_cndmask_b32_e32 v5, v5, v7, vcc
	v_cndmask_b32_e32 v4, v4, v6, vcc
	global_load_dword v4, v[4:5], off
	s_load_dwordx2 s[4:5], s[2:3], 0x48
	v_mov_b64_e32 v[2:3], s[10:11]
	s_cmp_eq_u32 s1, 1
	s_waitcnt vmcnt(1)
	v_subrev_u32_e32 v5, s16, v8
	v_add_u32_e32 v22, v5, v1
	v_mad_i64_i32 v[24:25], s[6:7], v22, s0, v[2:3]
	s_waitcnt vmcnt(0)
	v_subrev_u32_e32 v30, s16, v4
	v_cmp_lt_i32_e64 s[0:1], v22, v30
	s_cbranch_scc1 .LBB138_21
; %bb.16:
	v_mov_b64_e32 v[8:9], 0
	s_mov_b64 s[6:7], 0
	v_mov_b64_e32 v[20:21], v[8:9]
	v_mov_b64_e32 v[6:7], v[8:9]
	;; [unrolled: 1-line block ×5, first 2 shown]
	s_and_saveexec_b64 s[10:11], s[0:1]
	s_cbranch_execz .LBB138_20
; %bb.17:
	v_mov_b64_e32 v[8:9], 0
	s_mov_b64 s[12:13], 0
	s_mov_b64 s[14:15], 0x900
	v_mov_b32_e32 v26, v22
	v_mov_b64_e32 v[28:29], v[24:25]
	v_mov_b64_e32 v[20:21], v[8:9]
	v_mov_b64_e32 v[6:7], v[8:9]
	v_mov_b64_e32 v[10:11], v[8:9]
	v_mov_b64_e32 v[2:3], v[8:9]
	v_mov_b64_e32 v[4:5], v[8:9]
.LBB138_18:                             ; =>This Inner Loop Header: Depth=1
	v_ashrrev_i32_e32 v27, 31, v26
	v_lshl_add_u64 v[48:49], v[26:27], 2, s[8:9]
	global_load_dword v23, v[48:49], off
	global_load_dwordx4 v[32:35], v[28:29], off offset:48
	global_load_dwordx4 v[36:39], v[28:29], off offset:32
	;; [unrolled: 1-line block ×3, first 2 shown]
	global_load_dwordx4 v[44:47], v[28:29], off
	global_load_dwordx2 v[60:61], v[28:29], off offset:64
	v_add_u32_e32 v26, 32, v26
	v_cmp_ge_i32_e32 vcc, v26, v30
	v_lshl_add_u64 v[28:29], v[28:29], 0, s[14:15]
	s_or_b64 s[12:13], vcc, s[12:13]
	s_waitcnt vmcnt(5)
	v_subrev_u32_e32 v23, s16, v23
	v_lshl_add_u32 v48, v23, 1, v23
	v_ashrrev_i32_e32 v49, 31, v48
	s_waitcnt lgkmcnt(0)
	v_lshl_add_u64 v[62:63], v[48:49], 4, s[4:5]
	global_load_dwordx4 v[48:51], v[62:63], off
	global_load_dwordx4 v[52:55], v[62:63], off offset:16
	global_load_dwordx4 v[56:59], v[62:63], off offset:32
	s_waitcnt vmcnt(2)
	v_fmac_f64_e32 v[20:21], v[44:45], v[48:49]
	v_fmac_f64_e32 v[8:9], 0, v[48:49]
	v_fmac_f64_e32 v[10:11], v[42:43], v[48:49]
	v_fmac_f64_e32 v[6:7], 0, v[48:49]
	v_fmac_f64_e32 v[4:5], v[32:33], v[48:49]
	v_fmac_f64_e32 v[2:3], 0, v[48:49]
	v_fmac_f64_e32 v[20:21], 0x80000000, v[50:51]
	v_fmac_f64_e32 v[8:9], v[44:45], v[50:51]
	v_fmac_f64_e32 v[10:11], 0x80000000, v[50:51]
	v_fmac_f64_e32 v[6:7], v[42:43], v[50:51]
	v_fmac_f64_e32 v[4:5], 0x80000000, v[50:51]
	v_fmac_f64_e32 v[2:3], v[32:33], v[50:51]
	s_waitcnt vmcnt(1)
	v_fmac_f64_e32 v[20:21], v[46:47], v[52:53]
	v_fmac_f64_e32 v[8:9], 0, v[52:53]
	v_fmac_f64_e32 v[10:11], v[36:37], v[52:53]
	v_fmac_f64_e32 v[6:7], 0, v[52:53]
	v_fmac_f64_e32 v[4:5], v[34:35], v[52:53]
	v_fmac_f64_e32 v[2:3], 0, v[52:53]
	v_fmac_f64_e32 v[20:21], 0x80000000, v[54:55]
	v_fmac_f64_e32 v[8:9], v[46:47], v[54:55]
	v_fmac_f64_e32 v[10:11], 0x80000000, v[54:55]
	v_fmac_f64_e32 v[6:7], v[36:37], v[54:55]
	v_fmac_f64_e32 v[4:5], 0x80000000, v[54:55]
	v_fmac_f64_e32 v[2:3], v[34:35], v[54:55]
	;; [unrolled: 13-line block ×3, first 2 shown]
	s_andn2_b64 exec, exec, s[12:13]
	s_cbranch_execnz .LBB138_18
; %bb.19:
	s_or_b64 exec, exec, s[12:13]
.LBB138_20:
	s_or_b64 exec, exec, s[10:11]
	s_andn2_b64 vcc, exec, s[6:7]
	s_cbranch_vccz .LBB138_22
	s_branch .LBB138_27
.LBB138_21:
                                        ; implicit-def: $vgpr8_vgpr9
                                        ; implicit-def: $vgpr20_vgpr21
                                        ; implicit-def: $vgpr6_vgpr7
                                        ; implicit-def: $vgpr10_vgpr11
                                        ; implicit-def: $vgpr2_vgpr3
                                        ; implicit-def: $vgpr4_vgpr5
.LBB138_22:
	v_mov_b64_e32 v[8:9], 0
	v_mov_b64_e32 v[20:21], v[8:9]
	;; [unrolled: 1-line block ×6, first 2 shown]
	s_and_saveexec_b64 s[6:7], s[0:1]
	s_cbranch_execz .LBB138_26
; %bb.23:
	v_mov_b64_e32 v[8:9], 0
	s_mov_b64 s[0:1], 0
	s_mov_b64 s[10:11], 0x900
	v_mov_b64_e32 v[20:21], v[8:9]
	v_mov_b64_e32 v[6:7], v[8:9]
	v_mov_b64_e32 v[10:11], v[8:9]
	v_mov_b64_e32 v[2:3], v[8:9]
	v_mov_b64_e32 v[4:5], v[8:9]
.LBB138_24:                             ; =>This Inner Loop Header: Depth=1
	v_ashrrev_i32_e32 v23, 31, v22
	v_lshl_add_u64 v[44:45], v[22:23], 2, s[8:9]
	global_load_dword v23, v[44:45], off
	global_load_dwordx4 v[26:29], v[24:25], off offset:48
	global_load_dwordx4 v[32:35], v[24:25], off offset:32
	;; [unrolled: 1-line block ×3, first 2 shown]
	global_load_dwordx4 v[40:43], v[24:25], off
	global_load_dwordx2 v[56:57], v[24:25], off offset:64
	v_add_u32_e32 v22, 32, v22
	v_cmp_ge_i32_e32 vcc, v22, v30
	v_lshl_add_u64 v[24:25], v[24:25], 0, s[10:11]
	s_or_b64 s[0:1], vcc, s[0:1]
	s_waitcnt vmcnt(5)
	v_subrev_u32_e32 v23, s16, v23
	v_lshl_add_u32 v44, v23, 1, v23
	v_ashrrev_i32_e32 v45, 31, v44
	s_waitcnt lgkmcnt(0)
	v_lshl_add_u64 v[58:59], v[44:45], 4, s[4:5]
	global_load_dwordx4 v[44:47], v[58:59], off
	global_load_dwordx4 v[48:51], v[58:59], off offset:16
	global_load_dwordx4 v[52:55], v[58:59], off offset:32
	s_waitcnt vmcnt(2)
	v_fmac_f64_e32 v[20:21], v[40:41], v[44:45]
	v_fmac_f64_e32 v[8:9], 0, v[44:45]
	v_fmac_f64_e32 v[10:11], v[42:43], v[44:45]
	v_fmac_f64_e32 v[6:7], 0, v[44:45]
	v_fmac_f64_e32 v[4:5], v[36:37], v[44:45]
	v_fmac_f64_e32 v[2:3], 0, v[44:45]
	v_fmac_f64_e32 v[20:21], 0x80000000, v[46:47]
	v_fmac_f64_e32 v[8:9], v[40:41], v[46:47]
	v_fmac_f64_e32 v[10:11], 0x80000000, v[46:47]
	v_fmac_f64_e32 v[6:7], v[42:43], v[46:47]
	v_fmac_f64_e32 v[4:5], 0x80000000, v[46:47]
	v_fmac_f64_e32 v[2:3], v[36:37], v[46:47]
	s_waitcnt vmcnt(1)
	v_fmac_f64_e32 v[20:21], v[38:39], v[48:49]
	v_fmac_f64_e32 v[8:9], 0, v[48:49]
	v_fmac_f64_e32 v[10:11], v[32:33], v[48:49]
	v_fmac_f64_e32 v[6:7], 0, v[48:49]
	v_fmac_f64_e32 v[4:5], v[34:35], v[48:49]
	v_fmac_f64_e32 v[2:3], 0, v[48:49]
	v_fmac_f64_e32 v[20:21], 0x80000000, v[50:51]
	v_fmac_f64_e32 v[8:9], v[38:39], v[50:51]
	v_fmac_f64_e32 v[10:11], 0x80000000, v[50:51]
	v_fmac_f64_e32 v[6:7], v[32:33], v[50:51]
	v_fmac_f64_e32 v[4:5], 0x80000000, v[50:51]
	v_fmac_f64_e32 v[2:3], v[34:35], v[50:51]
	;; [unrolled: 13-line block ×3, first 2 shown]
	s_andn2_b64 exec, exec, s[0:1]
	s_cbranch_execnz .LBB138_24
; %bb.25:
	s_or_b64 exec, exec, s[0:1]
.LBB138_26:
	s_or_b64 exec, exec, s[6:7]
.LBB138_27:
	v_mov_b32_dpp v22, v20 row_shr:1 row_mask:0xf bank_mask:0xf
	v_mov_b32_dpp v23, v21 row_shr:1 row_mask:0xf bank_mask:0xf
	v_mov_b32_dpp v24, v8 row_shr:1 row_mask:0xf bank_mask:0xf
	v_mov_b32_dpp v25, v9 row_shr:1 row_mask:0xf bank_mask:0xf
	v_mov_b32_dpp v26, v10 row_shr:1 row_mask:0xf bank_mask:0xf
	v_mov_b32_dpp v27, v11 row_shr:1 row_mask:0xf bank_mask:0xf
	v_mov_b32_dpp v28, v6 row_shr:1 row_mask:0xf bank_mask:0xf
	v_mov_b32_dpp v29, v7 row_shr:1 row_mask:0xf bank_mask:0xf
	v_mov_b32_dpp v30, v4 row_shr:1 row_mask:0xf bank_mask:0xf
	v_mov_b32_dpp v31, v5 row_shr:1 row_mask:0xf bank_mask:0xf
	v_mov_b32_dpp v32, v2 row_shr:1 row_mask:0xf bank_mask:0xf
	v_mov_b32_dpp v33, v3 row_shr:1 row_mask:0xf bank_mask:0xf
	v_add_f64 v[20:21], v[20:21], v[22:23]
	v_add_f64 v[8:9], v[8:9], v[24:25]
	v_add_f64 v[10:11], v[10:11], v[26:27]
	v_add_f64 v[6:7], v[6:7], v[28:29]
	v_add_f64 v[4:5], v[4:5], v[30:31]
	v_add_f64 v[2:3], v[2:3], v[32:33]
	v_mov_b32_dpp v22, v20 row_shr:2 row_mask:0xf bank_mask:0xf
	v_mov_b32_dpp v23, v21 row_shr:2 row_mask:0xf bank_mask:0xf
	v_mov_b32_dpp v24, v8 row_shr:2 row_mask:0xf bank_mask:0xf
	v_mov_b32_dpp v25, v9 row_shr:2 row_mask:0xf bank_mask:0xf
	v_mov_b32_dpp v26, v10 row_shr:2 row_mask:0xf bank_mask:0xf
	v_mov_b32_dpp v27, v11 row_shr:2 row_mask:0xf bank_mask:0xf
	v_mov_b32_dpp v28, v6 row_shr:2 row_mask:0xf bank_mask:0xf
	v_mov_b32_dpp v29, v7 row_shr:2 row_mask:0xf bank_mask:0xf
	v_mov_b32_dpp v30, v4 row_shr:2 row_mask:0xf bank_mask:0xf
	v_mov_b32_dpp v31, v5 row_shr:2 row_mask:0xf bank_mask:0xf
	v_mov_b32_dpp v32, v2 row_shr:2 row_mask:0xf bank_mask:0xf
	v_mov_b32_dpp v33, v3 row_shr:2 row_mask:0xf bank_mask:0xf
	v_add_f64 v[20:21], v[20:21], v[22:23]
	v_add_f64 v[8:9], v[8:9], v[24:25]
	v_add_f64 v[10:11], v[10:11], v[26:27]
	v_add_f64 v[6:7], v[6:7], v[28:29]
	v_add_f64 v[4:5], v[4:5], v[30:31]
	v_add_f64 v[2:3], v[2:3], v[32:33]
	v_mov_b32_dpp v22, v20 row_shr:4 row_mask:0xf bank_mask:0xe
	v_mov_b32_dpp v23, v21 row_shr:4 row_mask:0xf bank_mask:0xe
	v_mov_b32_dpp v24, v8 row_shr:4 row_mask:0xf bank_mask:0xe
	v_mov_b32_dpp v25, v9 row_shr:4 row_mask:0xf bank_mask:0xe
	v_mov_b32_dpp v26, v10 row_shr:4 row_mask:0xf bank_mask:0xe
	v_mov_b32_dpp v27, v11 row_shr:4 row_mask:0xf bank_mask:0xe
	v_mov_b32_dpp v28, v6 row_shr:4 row_mask:0xf bank_mask:0xe
	v_mov_b32_dpp v29, v7 row_shr:4 row_mask:0xf bank_mask:0xe
	v_mov_b32_dpp v30, v4 row_shr:4 row_mask:0xf bank_mask:0xe
	v_mov_b32_dpp v31, v5 row_shr:4 row_mask:0xf bank_mask:0xe
	v_mov_b32_dpp v32, v2 row_shr:4 row_mask:0xf bank_mask:0xe
	v_mov_b32_dpp v33, v3 row_shr:4 row_mask:0xf bank_mask:0xe
	v_add_f64 v[20:21], v[20:21], v[22:23]
	v_add_f64 v[8:9], v[8:9], v[24:25]
	v_add_f64 v[10:11], v[10:11], v[26:27]
	v_add_f64 v[6:7], v[6:7], v[28:29]
	v_add_f64 v[4:5], v[4:5], v[30:31]
	v_add_f64 v[2:3], v[2:3], v[32:33]
	v_mov_b32_dpp v22, v20 row_shr:8 row_mask:0xf bank_mask:0xc
	v_mov_b32_dpp v23, v21 row_shr:8 row_mask:0xf bank_mask:0xc
	v_mov_b32_dpp v24, v8 row_shr:8 row_mask:0xf bank_mask:0xc
	v_mov_b32_dpp v25, v9 row_shr:8 row_mask:0xf bank_mask:0xc
	v_mov_b32_dpp v26, v10 row_shr:8 row_mask:0xf bank_mask:0xc
	v_mov_b32_dpp v27, v11 row_shr:8 row_mask:0xf bank_mask:0xc
	v_mov_b32_dpp v28, v6 row_shr:8 row_mask:0xf bank_mask:0xc
	v_mov_b32_dpp v29, v7 row_shr:8 row_mask:0xf bank_mask:0xc
	v_mov_b32_dpp v30, v4 row_shr:8 row_mask:0xf bank_mask:0xc
	v_mov_b32_dpp v31, v5 row_shr:8 row_mask:0xf bank_mask:0xc
	v_mov_b32_dpp v32, v2 row_shr:8 row_mask:0xf bank_mask:0xc
	v_mov_b32_dpp v33, v3 row_shr:8 row_mask:0xf bank_mask:0xc
	v_add_f64 v[20:21], v[20:21], v[22:23]
	v_add_f64 v[8:9], v[8:9], v[24:25]
	v_add_f64 v[10:11], v[10:11], v[26:27]
	v_add_f64 v[6:7], v[6:7], v[28:29]
	v_add_f64 v[4:5], v[4:5], v[30:31]
	v_add_f64 v[2:3], v[2:3], v[32:33]
	v_mov_b32_dpp v22, v20 row_bcast:15 row_mask:0xa bank_mask:0xf
	v_mov_b32_dpp v23, v21 row_bcast:15 row_mask:0xa bank_mask:0xf
	;; [unrolled: 1-line block ×12, first 2 shown]
	v_cmp_eq_u32_e32 vcc, 31, v1
	s_and_b64 exec, exec, vcc
	s_cbranch_execz .LBB138_12
; %bb.28:
	s_load_dwordx2 s[2:3], s[2:3], 0x60
	v_add_f64 v[22:23], v[20:21], v[22:23]
	v_add_f64 v[20:21], v[8:9], v[24:25]
	;; [unrolled: 1-line block ×6, first 2 shown]
	v_cmp_eq_f64_e32 vcc, 0, v[12:13]
	v_cmp_eq_f64_e64 s[0:1], 0, v[14:15]
	v_mul_f64 v[8:9], v[20:21], -v[18:19]
	v_mul_f64 v[10:11], v[16:17], v[20:21]
	v_lshl_add_u32 v20, v0, 1, v0
	v_mul_f64 v[4:5], v[6:7], -v[18:19]
	v_mul_f64 v[6:7], v[16:17], v[6:7]
	v_mul_f64 v[0:1], v[2:3], -v[18:19]
	v_mul_f64 v[2:3], v[16:17], v[2:3]
	s_and_b64 s[0:1], vcc, s[0:1]
	v_fmac_f64_e32 v[8:9], v[16:17], v[22:23]
	v_fmac_f64_e32 v[10:11], v[18:19], v[22:23]
	v_ashrrev_i32_e32 v21, 31, v20
	v_fmac_f64_e32 v[4:5], v[16:17], v[24:25]
	v_fmac_f64_e32 v[6:7], v[18:19], v[24:25]
	;; [unrolled: 1-line block ×4, first 2 shown]
	s_waitcnt lgkmcnt(0)
	s_and_saveexec_b64 s[4:5], s[0:1]
	s_xor_b64 s[0:1], exec, s[4:5]
	s_cbranch_execz .LBB138_30
; %bb.29:
	v_lshl_add_u64 v[12:13], v[20:21], 4, s[2:3]
	global_store_dwordx4 v[12:13], v[8:11], off
	global_store_dwordx4 v[12:13], v[4:7], off offset:16
	global_store_dwordx4 v[12:13], v[0:3], off offset:32
                                        ; implicit-def: $vgpr12_vgpr13
                                        ; implicit-def: $vgpr14_vgpr15
                                        ; implicit-def: $vgpr20
                                        ; implicit-def: $vgpr8_vgpr9
                                        ; implicit-def: $vgpr4_vgpr5
                                        ; implicit-def: $vgpr0_vgpr1
.LBB138_30:
	s_andn2_saveexec_b64 s[0:1], s[0:1]
	s_cbranch_execz .LBB138_12
; %bb.31:
	v_lshl_add_u64 v[28:29], v[20:21], 4, s[2:3]
	global_load_dwordx4 v[16:19], v[28:29], off
	global_load_dwordx4 v[20:23], v[28:29], off offset:16
	global_load_dwordx4 v[24:27], v[28:29], off offset:32
	s_waitcnt vmcnt(2)
	v_fmac_f64_e32 v[8:9], v[12:13], v[16:17]
	v_fmac_f64_e32 v[10:11], v[14:15], v[16:17]
	s_waitcnt vmcnt(1)
	v_fmac_f64_e32 v[4:5], v[12:13], v[20:21]
	v_fmac_f64_e32 v[6:7], v[14:15], v[20:21]
	;; [unrolled: 3-line block ×3, first 2 shown]
	v_fma_f64 v[8:9], -v[14:15], v[18:19], v[8:9]
	v_fmac_f64_e32 v[10:11], v[12:13], v[18:19]
	v_fma_f64 v[4:5], -v[14:15], v[22:23], v[4:5]
	v_fmac_f64_e32 v[6:7], v[12:13], v[22:23]
	v_fma_f64 v[0:1], -v[14:15], v[26:27], v[0:1]
	v_fmac_f64_e32 v[2:3], v[12:13], v[26:27]
	global_store_dwordx4 v[28:29], v[8:11], off
	global_store_dwordx4 v[28:29], v[4:7], off offset:16
	global_store_dwordx4 v[28:29], v[0:3], off offset:32
	s_endpgm
	.section	.rodata,"a",@progbits
	.p2align	6, 0x0
	.amdhsa_kernel _ZN9rocsparseL18bsrxmvn_3x3_kernelILj256ELj32E21rocsparse_complex_numIdEiidS2_S2_EEvT3_20rocsparse_direction_NS_24const_host_device_scalarIT1_EES3_PKS3_PKT2_SC_S9_PKT4_PKT5_S7_PT6_21rocsparse_index_base_b
		.amdhsa_group_segment_fixed_size 4096
		.amdhsa_private_segment_fixed_size 0
		.amdhsa_kernarg_size 112
		.amdhsa_user_sgpr_count 4
		.amdhsa_user_sgpr_dispatch_ptr 1
		.amdhsa_user_sgpr_queue_ptr 0
		.amdhsa_user_sgpr_kernarg_segment_ptr 1
		.amdhsa_user_sgpr_dispatch_id 0
		.amdhsa_user_sgpr_kernarg_preload_length 0
		.amdhsa_user_sgpr_kernarg_preload_offset 0
		.amdhsa_user_sgpr_private_segment_size 0
		.amdhsa_uses_dynamic_stack 0
		.amdhsa_enable_private_segment 0
		.amdhsa_system_sgpr_workgroup_id_x 1
		.amdhsa_system_sgpr_workgroup_id_y 0
		.amdhsa_system_sgpr_workgroup_id_z 0
		.amdhsa_system_sgpr_workgroup_info 0
		.amdhsa_system_vgpr_workitem_id 2
		.amdhsa_next_free_vgpr 64
		.amdhsa_next_free_sgpr 20
		.amdhsa_accum_offset 64
		.amdhsa_reserve_vcc 1
		.amdhsa_float_round_mode_32 0
		.amdhsa_float_round_mode_16_64 0
		.amdhsa_float_denorm_mode_32 3
		.amdhsa_float_denorm_mode_16_64 3
		.amdhsa_dx10_clamp 1
		.amdhsa_ieee_mode 1
		.amdhsa_fp16_overflow 0
		.amdhsa_tg_split 0
		.amdhsa_exception_fp_ieee_invalid_op 0
		.amdhsa_exception_fp_denorm_src 0
		.amdhsa_exception_fp_ieee_div_zero 0
		.amdhsa_exception_fp_ieee_overflow 0
		.amdhsa_exception_fp_ieee_underflow 0
		.amdhsa_exception_fp_ieee_inexact 0
		.amdhsa_exception_int_div_zero 0
	.end_amdhsa_kernel
	.section	.text._ZN9rocsparseL18bsrxmvn_3x3_kernelILj256ELj32E21rocsparse_complex_numIdEiidS2_S2_EEvT3_20rocsparse_direction_NS_24const_host_device_scalarIT1_EES3_PKS3_PKT2_SC_S9_PKT4_PKT5_S7_PT6_21rocsparse_index_base_b,"axG",@progbits,_ZN9rocsparseL18bsrxmvn_3x3_kernelILj256ELj32E21rocsparse_complex_numIdEiidS2_S2_EEvT3_20rocsparse_direction_NS_24const_host_device_scalarIT1_EES3_PKS3_PKT2_SC_S9_PKT4_PKT5_S7_PT6_21rocsparse_index_base_b,comdat
.Lfunc_end138:
	.size	_ZN9rocsparseL18bsrxmvn_3x3_kernelILj256ELj32E21rocsparse_complex_numIdEiidS2_S2_EEvT3_20rocsparse_direction_NS_24const_host_device_scalarIT1_EES3_PKS3_PKT2_SC_S9_PKT4_PKT5_S7_PT6_21rocsparse_index_base_b, .Lfunc_end138-_ZN9rocsparseL18bsrxmvn_3x3_kernelILj256ELj32E21rocsparse_complex_numIdEiidS2_S2_EEvT3_20rocsparse_direction_NS_24const_host_device_scalarIT1_EES3_PKS3_PKT2_SC_S9_PKT4_PKT5_S7_PT6_21rocsparse_index_base_b
                                        ; -- End function
	.section	.AMDGPU.csdata,"",@progbits
; Kernel info:
; codeLenInByte = 2476
; NumSgprs: 26
; NumVgprs: 64
; NumAgprs: 0
; TotalNumVgprs: 64
; ScratchSize: 0
; MemoryBound: 0
; FloatMode: 240
; IeeeMode: 1
; LDSByteSize: 4096 bytes/workgroup (compile time only)
; SGPRBlocks: 3
; VGPRBlocks: 7
; NumSGPRsForWavesPerEU: 26
; NumVGPRsForWavesPerEU: 64
; AccumOffset: 64
; Occupancy: 8
; WaveLimiterHint : 1
; COMPUTE_PGM_RSRC2:SCRATCH_EN: 0
; COMPUTE_PGM_RSRC2:USER_SGPR: 4
; COMPUTE_PGM_RSRC2:TRAP_HANDLER: 0
; COMPUTE_PGM_RSRC2:TGID_X_EN: 1
; COMPUTE_PGM_RSRC2:TGID_Y_EN: 0
; COMPUTE_PGM_RSRC2:TGID_Z_EN: 0
; COMPUTE_PGM_RSRC2:TIDIG_COMP_CNT: 2
; COMPUTE_PGM_RSRC3_GFX90A:ACCUM_OFFSET: 15
; COMPUTE_PGM_RSRC3_GFX90A:TG_SPLIT: 0
	.section	.text._ZN9rocsparseL18bsrxmvn_3x3_kernelILj256ELj64E21rocsparse_complex_numIdEiidS2_S2_EEvT3_20rocsparse_direction_NS_24const_host_device_scalarIT1_EES3_PKS3_PKT2_SC_S9_PKT4_PKT5_S7_PT6_21rocsparse_index_base_b,"axG",@progbits,_ZN9rocsparseL18bsrxmvn_3x3_kernelILj256ELj64E21rocsparse_complex_numIdEiidS2_S2_EEvT3_20rocsparse_direction_NS_24const_host_device_scalarIT1_EES3_PKS3_PKT2_SC_S9_PKT4_PKT5_S7_PT6_21rocsparse_index_base_b,comdat
	.globl	_ZN9rocsparseL18bsrxmvn_3x3_kernelILj256ELj64E21rocsparse_complex_numIdEiidS2_S2_EEvT3_20rocsparse_direction_NS_24const_host_device_scalarIT1_EES3_PKS3_PKT2_SC_S9_PKT4_PKT5_S7_PT6_21rocsparse_index_base_b ; -- Begin function _ZN9rocsparseL18bsrxmvn_3x3_kernelILj256ELj64E21rocsparse_complex_numIdEiidS2_S2_EEvT3_20rocsparse_direction_NS_24const_host_device_scalarIT1_EES3_PKS3_PKT2_SC_S9_PKT4_PKT5_S7_PT6_21rocsparse_index_base_b
	.p2align	8
	.type	_ZN9rocsparseL18bsrxmvn_3x3_kernelILj256ELj64E21rocsparse_complex_numIdEiidS2_S2_EEvT3_20rocsparse_direction_NS_24const_host_device_scalarIT1_EES3_PKS3_PKT2_SC_S9_PKT4_PKT5_S7_PT6_21rocsparse_index_base_b,@function
_ZN9rocsparseL18bsrxmvn_3x3_kernelILj256ELj64E21rocsparse_complex_numIdEiidS2_S2_EEvT3_20rocsparse_direction_NS_24const_host_device_scalarIT1_EES3_PKS3_PKT2_SC_S9_PKT4_PKT5_S7_PT6_21rocsparse_index_base_b: ; @_ZN9rocsparseL18bsrxmvn_3x3_kernelILj256ELj64E21rocsparse_complex_numIdEiidS2_S2_EEvT3_20rocsparse_direction_NS_24const_host_device_scalarIT1_EES3_PKS3_PKT2_SC_S9_PKT4_PKT5_S7_PT6_21rocsparse_index_base_b
; %bb.0:
	s_load_dwordx2 s[16:17], s[2:3], 0x68
	s_load_dwordx4 s[8:11], s[2:3], 0x8
	s_load_dwordx2 s[18:19], s[0:1], 0x4
	s_load_dwordx4 s[12:15], s[2:3], 0x50
	s_mov_b64 s[6:7], src_shared_base
	v_and_b32_e32 v2, 0x3ff, v0
	s_waitcnt lgkmcnt(0)
	s_bitcmp1_b32 s17, 0
	s_cselect_b64 s[0:1], -1, 0
	s_and_b64 vcc, s[0:1], exec
	s_cselect_b32 s5, s7, s9
	s_lshr_b32 s6, s18, 16
	s_mul_i32 s6, s6, s19
	v_mul_lo_u32 v3, s6, v2
	v_bfe_u32 v4, v0, 10, 10
	v_mad_u32_u24 v3, v4, s19, v3
	v_bfe_u32 v0, v0, 20, 10
	v_add_lshl_u32 v0, v3, v0, 3
	v_mov_b32_e32 v1, s8
	v_add_u32_e32 v3, 0x800, v0
	v_mov_b64_e32 v[4:5], s[8:9]
	v_mov_b64_e32 v[6:7], s[12:13]
	ds_write2st64_b64 v0, v[6:7], v[4:5] offset1:4
	v_cndmask_b32_e64 v4, v1, v3, s[0:1]
	v_mov_b32_e32 v5, s5
	flat_load_dwordx2 v[16:17], v[4:5]
	s_xor_b64 s[18:19], s[0:1], -1
	v_mov_b64_e32 v[18:19], s[10:11]
	s_cbranch_vccnz .LBB139_2
; %bb.1:
	v_mov_b64_e32 v[4:5], s[8:9]
	flat_load_dwordx2 v[18:19], v[4:5] offset:8
.LBB139_2:
	s_and_b64 s[8:9], s[0:1], exec
	s_cselect_b32 s5, s7, s13
	v_mov_b32_e32 v1, s12
	v_cndmask_b32_e64 v0, v1, v0, s[0:1]
	v_mov_b32_e32 v1, s5
	flat_load_dwordx2 v[12:13], v[0:1]
	s_andn2_b64 vcc, exec, s[18:19]
	v_mov_b64_e32 v[14:15], s[14:15]
	s_cbranch_vccnz .LBB139_4
; %bb.3:
	v_mov_b64_e32 v[0:1], s[12:13]
	flat_load_dwordx2 v[14:15], v[0:1] offset:8
.LBB139_4:
	s_waitcnt vmcnt(0) lgkmcnt(0)
	v_cmp_eq_f64_e32 vcc, 0, v[16:17]
	v_cmp_eq_f64_e64 s[0:1], 0, v[18:19]
	s_and_b64 s[8:9], vcc, s[0:1]
	s_mov_b64 s[0:1], -1
	s_and_saveexec_b64 s[6:7], s[8:9]
; %bb.5:
	v_cmp_neq_f64_e32 vcc, 1.0, v[12:13]
	v_cmp_neq_f64_e64 s[0:1], 0, v[14:15]
	s_or_b64 s[0:1], vcc, s[0:1]
	s_orn2_b64 s[0:1], s[0:1], exec
; %bb.6:
	s_or_b64 exec, exec, s[6:7]
	s_and_saveexec_b64 s[6:7], s[0:1]
	s_cbranch_execz .LBB139_12
; %bb.7:
	s_load_dwordx2 s[6:7], s[2:3], 0x20
	s_load_dwordx2 s[0:1], s[2:3], 0x0
	v_lshrrev_b32_e32 v0, 6, v2
	v_lshl_or_b32 v0, s4, 2, v0
	s_mov_b64 s[4:5], 0
	s_waitcnt lgkmcnt(0)
	s_cmp_lg_u64 s[6:7], 0
	s_cbranch_scc0 .LBB139_13
; %bb.8:
	s_load_dword s8, s[2:3], 0x18
                                        ; implicit-def: $vgpr1
	s_waitcnt lgkmcnt(0)
	v_cmp_gt_i32_e32 vcc, s8, v0
	s_and_saveexec_b64 s[8:9], vcc
	s_xor_b64 s[8:9], exec, s[8:9]
	s_cbranch_execz .LBB139_10
; %bb.9:
	v_ashrrev_i32_e32 v1, 31, v0
	v_lshl_add_u64 v[4:5], v[0:1], 2, s[6:7]
	global_load_dword v1, v[4:5], off
	s_mov_b64 s[4:5], exec
	s_waitcnt vmcnt(0)
	v_subrev_u32_e32 v1, s16, v1
.LBB139_10:
	s_or_b64 exec, exec, s[8:9]
	s_branch .LBB139_14
.LBB139_11:
	v_cmp_gt_i32_e32 vcc, s0, v0
	s_andn2_b64 s[4:5], s[4:5], exec
	s_and_b64 s[6:7], vcc, exec
	s_or_b64 s[4:5], s[4:5], s[6:7]
	s_and_b64 exec, exec, s[4:5]
	s_cbranch_execnz .LBB139_15
.LBB139_12:
	s_endpgm
.LBB139_13:
                                        ; implicit-def: $vgpr1
	s_cbranch_execnz .LBB139_11
.LBB139_14:
	v_mov_b32_e32 v0, v1
	s_and_b64 exec, exec, s[4:5]
	s_cbranch_execz .LBB139_12
.LBB139_15:
	s_load_dwordx8 s[4:11], s[2:3], 0x28
	v_ashrrev_i32_e32 v1, 31, v0
	v_lshlrev_b64 v[4:5], 2, v[0:1]
	v_and_b32_e32 v1, 63, v2
	s_movk_i32 s0, 0x48
	s_waitcnt lgkmcnt(0)
	v_lshl_add_u64 v[6:7], s[4:5], 0, v[4:5]
	s_cmp_eq_u64 s[6:7], 0
	global_load_dword v8, v[6:7], off
	v_lshl_add_u64 v[6:7], v[6:7], 0, 4
	v_lshl_add_u64 v[4:5], s[6:7], 0, v[4:5]
	s_cselect_b64 vcc, -1, 0
	v_cndmask_b32_e32 v5, v5, v7, vcc
	v_cndmask_b32_e32 v4, v4, v6, vcc
	global_load_dword v4, v[4:5], off
	s_load_dwordx2 s[4:5], s[2:3], 0x48
	v_mov_b64_e32 v[2:3], s[10:11]
	s_cmp_eq_u32 s1, 1
	s_waitcnt vmcnt(1)
	v_subrev_u32_e32 v5, s16, v8
	v_add_u32_e32 v22, v5, v1
	v_mad_i64_i32 v[24:25], s[6:7], v22, s0, v[2:3]
	s_waitcnt vmcnt(0)
	v_subrev_u32_e32 v30, s16, v4
	v_cmp_lt_i32_e64 s[0:1], v22, v30
	s_cbranch_scc1 .LBB139_21
; %bb.16:
	v_mov_b64_e32 v[8:9], 0
	s_mov_b64 s[6:7], 0
	v_mov_b64_e32 v[20:21], v[8:9]
	v_mov_b64_e32 v[6:7], v[8:9]
	;; [unrolled: 1-line block ×5, first 2 shown]
	s_and_saveexec_b64 s[10:11], s[0:1]
	s_cbranch_execz .LBB139_20
; %bb.17:
	v_mov_b64_e32 v[8:9], 0
	s_mov_b64 s[12:13], 0
	s_mov_b64 s[14:15], 0x1200
	v_mov_b32_e32 v26, v22
	v_mov_b64_e32 v[28:29], v[24:25]
	v_mov_b64_e32 v[20:21], v[8:9]
	v_mov_b64_e32 v[6:7], v[8:9]
	v_mov_b64_e32 v[10:11], v[8:9]
	v_mov_b64_e32 v[2:3], v[8:9]
	v_mov_b64_e32 v[4:5], v[8:9]
.LBB139_18:                             ; =>This Inner Loop Header: Depth=1
	v_ashrrev_i32_e32 v27, 31, v26
	v_lshl_add_u64 v[48:49], v[26:27], 2, s[8:9]
	global_load_dword v23, v[48:49], off
	global_load_dwordx4 v[32:35], v[28:29], off offset:48
	global_load_dwordx4 v[36:39], v[28:29], off offset:32
	global_load_dwordx4 v[40:43], v[28:29], off offset:16
	global_load_dwordx4 v[44:47], v[28:29], off
	global_load_dwordx2 v[60:61], v[28:29], off offset:64
	v_add_u32_e32 v26, 64, v26
	v_cmp_ge_i32_e32 vcc, v26, v30
	v_lshl_add_u64 v[28:29], v[28:29], 0, s[14:15]
	s_or_b64 s[12:13], vcc, s[12:13]
	s_waitcnt vmcnt(5)
	v_subrev_u32_e32 v23, s16, v23
	v_lshl_add_u32 v48, v23, 1, v23
	v_ashrrev_i32_e32 v49, 31, v48
	s_waitcnt lgkmcnt(0)
	v_lshl_add_u64 v[62:63], v[48:49], 4, s[4:5]
	global_load_dwordx4 v[48:51], v[62:63], off
	global_load_dwordx4 v[52:55], v[62:63], off offset:16
	global_load_dwordx4 v[56:59], v[62:63], off offset:32
	s_waitcnt vmcnt(2)
	v_fmac_f64_e32 v[20:21], v[44:45], v[48:49]
	v_fmac_f64_e32 v[8:9], 0, v[48:49]
	v_fmac_f64_e32 v[10:11], v[42:43], v[48:49]
	v_fmac_f64_e32 v[6:7], 0, v[48:49]
	v_fmac_f64_e32 v[4:5], v[32:33], v[48:49]
	v_fmac_f64_e32 v[2:3], 0, v[48:49]
	v_fmac_f64_e32 v[20:21], 0x80000000, v[50:51]
	v_fmac_f64_e32 v[8:9], v[44:45], v[50:51]
	v_fmac_f64_e32 v[10:11], 0x80000000, v[50:51]
	v_fmac_f64_e32 v[6:7], v[42:43], v[50:51]
	v_fmac_f64_e32 v[4:5], 0x80000000, v[50:51]
	v_fmac_f64_e32 v[2:3], v[32:33], v[50:51]
	s_waitcnt vmcnt(1)
	v_fmac_f64_e32 v[20:21], v[46:47], v[52:53]
	v_fmac_f64_e32 v[8:9], 0, v[52:53]
	v_fmac_f64_e32 v[10:11], v[36:37], v[52:53]
	v_fmac_f64_e32 v[6:7], 0, v[52:53]
	v_fmac_f64_e32 v[4:5], v[34:35], v[52:53]
	v_fmac_f64_e32 v[2:3], 0, v[52:53]
	v_fmac_f64_e32 v[20:21], 0x80000000, v[54:55]
	v_fmac_f64_e32 v[8:9], v[46:47], v[54:55]
	v_fmac_f64_e32 v[10:11], 0x80000000, v[54:55]
	v_fmac_f64_e32 v[6:7], v[36:37], v[54:55]
	v_fmac_f64_e32 v[4:5], 0x80000000, v[54:55]
	v_fmac_f64_e32 v[2:3], v[34:35], v[54:55]
	;; [unrolled: 13-line block ×3, first 2 shown]
	s_andn2_b64 exec, exec, s[12:13]
	s_cbranch_execnz .LBB139_18
; %bb.19:
	s_or_b64 exec, exec, s[12:13]
.LBB139_20:
	s_or_b64 exec, exec, s[10:11]
	s_andn2_b64 vcc, exec, s[6:7]
	s_cbranch_vccz .LBB139_22
	s_branch .LBB139_27
.LBB139_21:
                                        ; implicit-def: $vgpr8_vgpr9
                                        ; implicit-def: $vgpr20_vgpr21
                                        ; implicit-def: $vgpr6_vgpr7
                                        ; implicit-def: $vgpr10_vgpr11
                                        ; implicit-def: $vgpr2_vgpr3
                                        ; implicit-def: $vgpr4_vgpr5
.LBB139_22:
	v_mov_b64_e32 v[8:9], 0
	v_mov_b64_e32 v[20:21], v[8:9]
	;; [unrolled: 1-line block ×6, first 2 shown]
	s_and_saveexec_b64 s[6:7], s[0:1]
	s_cbranch_execz .LBB139_26
; %bb.23:
	v_mov_b64_e32 v[8:9], 0
	s_mov_b64 s[0:1], 0
	s_mov_b64 s[10:11], 0x1200
	v_mov_b64_e32 v[20:21], v[8:9]
	v_mov_b64_e32 v[6:7], v[8:9]
	v_mov_b64_e32 v[10:11], v[8:9]
	v_mov_b64_e32 v[2:3], v[8:9]
	v_mov_b64_e32 v[4:5], v[8:9]
.LBB139_24:                             ; =>This Inner Loop Header: Depth=1
	v_ashrrev_i32_e32 v23, 31, v22
	v_lshl_add_u64 v[44:45], v[22:23], 2, s[8:9]
	global_load_dword v23, v[44:45], off
	global_load_dwordx4 v[26:29], v[24:25], off offset:48
	global_load_dwordx4 v[32:35], v[24:25], off offset:32
	;; [unrolled: 1-line block ×3, first 2 shown]
	global_load_dwordx4 v[40:43], v[24:25], off
	global_load_dwordx2 v[56:57], v[24:25], off offset:64
	v_add_u32_e32 v22, 64, v22
	v_cmp_ge_i32_e32 vcc, v22, v30
	v_lshl_add_u64 v[24:25], v[24:25], 0, s[10:11]
	s_or_b64 s[0:1], vcc, s[0:1]
	s_waitcnt vmcnt(5)
	v_subrev_u32_e32 v23, s16, v23
	v_lshl_add_u32 v44, v23, 1, v23
	v_ashrrev_i32_e32 v45, 31, v44
	s_waitcnt lgkmcnt(0)
	v_lshl_add_u64 v[58:59], v[44:45], 4, s[4:5]
	global_load_dwordx4 v[44:47], v[58:59], off
	global_load_dwordx4 v[48:51], v[58:59], off offset:16
	global_load_dwordx4 v[52:55], v[58:59], off offset:32
	s_waitcnt vmcnt(2)
	v_fmac_f64_e32 v[20:21], v[40:41], v[44:45]
	v_fmac_f64_e32 v[8:9], 0, v[44:45]
	v_fmac_f64_e32 v[10:11], v[42:43], v[44:45]
	v_fmac_f64_e32 v[6:7], 0, v[44:45]
	v_fmac_f64_e32 v[4:5], v[36:37], v[44:45]
	v_fmac_f64_e32 v[2:3], 0, v[44:45]
	v_fmac_f64_e32 v[20:21], 0x80000000, v[46:47]
	v_fmac_f64_e32 v[8:9], v[40:41], v[46:47]
	v_fmac_f64_e32 v[10:11], 0x80000000, v[46:47]
	v_fmac_f64_e32 v[6:7], v[42:43], v[46:47]
	v_fmac_f64_e32 v[4:5], 0x80000000, v[46:47]
	v_fmac_f64_e32 v[2:3], v[36:37], v[46:47]
	s_waitcnt vmcnt(1)
	v_fmac_f64_e32 v[20:21], v[38:39], v[48:49]
	v_fmac_f64_e32 v[8:9], 0, v[48:49]
	v_fmac_f64_e32 v[10:11], v[32:33], v[48:49]
	v_fmac_f64_e32 v[6:7], 0, v[48:49]
	v_fmac_f64_e32 v[4:5], v[34:35], v[48:49]
	v_fmac_f64_e32 v[2:3], 0, v[48:49]
	v_fmac_f64_e32 v[20:21], 0x80000000, v[50:51]
	v_fmac_f64_e32 v[8:9], v[38:39], v[50:51]
	v_fmac_f64_e32 v[10:11], 0x80000000, v[50:51]
	v_fmac_f64_e32 v[6:7], v[32:33], v[50:51]
	v_fmac_f64_e32 v[4:5], 0x80000000, v[50:51]
	v_fmac_f64_e32 v[2:3], v[34:35], v[50:51]
	;; [unrolled: 13-line block ×3, first 2 shown]
	s_andn2_b64 exec, exec, s[0:1]
	s_cbranch_execnz .LBB139_24
; %bb.25:
	s_or_b64 exec, exec, s[0:1]
.LBB139_26:
	s_or_b64 exec, exec, s[6:7]
.LBB139_27:
	v_mov_b32_dpp v22, v20 row_shr:1 row_mask:0xf bank_mask:0xf
	v_mov_b32_dpp v23, v21 row_shr:1 row_mask:0xf bank_mask:0xf
	v_mov_b32_dpp v24, v8 row_shr:1 row_mask:0xf bank_mask:0xf
	v_mov_b32_dpp v25, v9 row_shr:1 row_mask:0xf bank_mask:0xf
	v_mov_b32_dpp v26, v10 row_shr:1 row_mask:0xf bank_mask:0xf
	v_mov_b32_dpp v27, v11 row_shr:1 row_mask:0xf bank_mask:0xf
	v_mov_b32_dpp v28, v6 row_shr:1 row_mask:0xf bank_mask:0xf
	v_mov_b32_dpp v29, v7 row_shr:1 row_mask:0xf bank_mask:0xf
	v_mov_b32_dpp v30, v4 row_shr:1 row_mask:0xf bank_mask:0xf
	v_mov_b32_dpp v31, v5 row_shr:1 row_mask:0xf bank_mask:0xf
	v_mov_b32_dpp v32, v2 row_shr:1 row_mask:0xf bank_mask:0xf
	v_mov_b32_dpp v33, v3 row_shr:1 row_mask:0xf bank_mask:0xf
	v_add_f64 v[20:21], v[20:21], v[22:23]
	v_add_f64 v[8:9], v[8:9], v[24:25]
	v_add_f64 v[10:11], v[10:11], v[26:27]
	v_add_f64 v[6:7], v[6:7], v[28:29]
	v_add_f64 v[4:5], v[4:5], v[30:31]
	v_add_f64 v[2:3], v[2:3], v[32:33]
	v_mov_b32_dpp v22, v20 row_shr:2 row_mask:0xf bank_mask:0xf
	v_mov_b32_dpp v23, v21 row_shr:2 row_mask:0xf bank_mask:0xf
	v_mov_b32_dpp v24, v8 row_shr:2 row_mask:0xf bank_mask:0xf
	v_mov_b32_dpp v25, v9 row_shr:2 row_mask:0xf bank_mask:0xf
	v_mov_b32_dpp v26, v10 row_shr:2 row_mask:0xf bank_mask:0xf
	v_mov_b32_dpp v27, v11 row_shr:2 row_mask:0xf bank_mask:0xf
	v_mov_b32_dpp v28, v6 row_shr:2 row_mask:0xf bank_mask:0xf
	v_mov_b32_dpp v29, v7 row_shr:2 row_mask:0xf bank_mask:0xf
	v_mov_b32_dpp v30, v4 row_shr:2 row_mask:0xf bank_mask:0xf
	v_mov_b32_dpp v31, v5 row_shr:2 row_mask:0xf bank_mask:0xf
	v_mov_b32_dpp v32, v2 row_shr:2 row_mask:0xf bank_mask:0xf
	v_mov_b32_dpp v33, v3 row_shr:2 row_mask:0xf bank_mask:0xf
	v_add_f64 v[20:21], v[20:21], v[22:23]
	v_add_f64 v[8:9], v[8:9], v[24:25]
	v_add_f64 v[10:11], v[10:11], v[26:27]
	v_add_f64 v[6:7], v[6:7], v[28:29]
	v_add_f64 v[4:5], v[4:5], v[30:31]
	v_add_f64 v[2:3], v[2:3], v[32:33]
	;; [unrolled: 18-line block ×4, first 2 shown]
	v_mov_b32_dpp v22, v20 row_bcast:15 row_mask:0xa bank_mask:0xf
	v_mov_b32_dpp v23, v21 row_bcast:15 row_mask:0xa bank_mask:0xf
	;; [unrolled: 1-line block ×12, first 2 shown]
	v_add_f64 v[20:21], v[20:21], v[22:23]
	v_add_f64 v[8:9], v[8:9], v[24:25]
	;; [unrolled: 1-line block ×6, first 2 shown]
	v_mov_b32_dpp v22, v20 row_bcast:31 row_mask:0xc bank_mask:0xf
	v_mov_b32_dpp v23, v21 row_bcast:31 row_mask:0xc bank_mask:0xf
	;; [unrolled: 1-line block ×12, first 2 shown]
	v_cmp_eq_u32_e32 vcc, 63, v1
	s_and_b64 exec, exec, vcc
	s_cbranch_execz .LBB139_12
; %bb.28:
	s_load_dwordx2 s[2:3], s[2:3], 0x60
	v_add_f64 v[22:23], v[20:21], v[22:23]
	v_add_f64 v[20:21], v[8:9], v[24:25]
	;; [unrolled: 1-line block ×6, first 2 shown]
	v_cmp_eq_f64_e32 vcc, 0, v[12:13]
	v_cmp_eq_f64_e64 s[0:1], 0, v[14:15]
	v_mul_f64 v[8:9], v[20:21], -v[18:19]
	v_mul_f64 v[10:11], v[16:17], v[20:21]
	v_lshl_add_u32 v20, v0, 1, v0
	v_mul_f64 v[4:5], v[6:7], -v[18:19]
	v_mul_f64 v[6:7], v[16:17], v[6:7]
	v_mul_f64 v[0:1], v[2:3], -v[18:19]
	v_mul_f64 v[2:3], v[16:17], v[2:3]
	s_and_b64 s[0:1], vcc, s[0:1]
	v_fmac_f64_e32 v[8:9], v[16:17], v[22:23]
	v_fmac_f64_e32 v[10:11], v[18:19], v[22:23]
	v_ashrrev_i32_e32 v21, 31, v20
	v_fmac_f64_e32 v[4:5], v[16:17], v[24:25]
	v_fmac_f64_e32 v[6:7], v[18:19], v[24:25]
	v_fmac_f64_e32 v[0:1], v[16:17], v[26:27]
	v_fmac_f64_e32 v[2:3], v[18:19], v[26:27]
	s_waitcnt lgkmcnt(0)
	s_and_saveexec_b64 s[4:5], s[0:1]
	s_xor_b64 s[0:1], exec, s[4:5]
	s_cbranch_execz .LBB139_30
; %bb.29:
	v_lshl_add_u64 v[12:13], v[20:21], 4, s[2:3]
	global_store_dwordx4 v[12:13], v[8:11], off
	global_store_dwordx4 v[12:13], v[4:7], off offset:16
	global_store_dwordx4 v[12:13], v[0:3], off offset:32
                                        ; implicit-def: $vgpr12_vgpr13
                                        ; implicit-def: $vgpr14_vgpr15
                                        ; implicit-def: $vgpr20
                                        ; implicit-def: $vgpr8_vgpr9
                                        ; implicit-def: $vgpr4_vgpr5
                                        ; implicit-def: $vgpr0_vgpr1
.LBB139_30:
	s_andn2_saveexec_b64 s[0:1], s[0:1]
	s_cbranch_execz .LBB139_12
; %bb.31:
	v_lshl_add_u64 v[28:29], v[20:21], 4, s[2:3]
	global_load_dwordx4 v[16:19], v[28:29], off
	global_load_dwordx4 v[20:23], v[28:29], off offset:16
	global_load_dwordx4 v[24:27], v[28:29], off offset:32
	s_waitcnt vmcnt(2)
	v_fmac_f64_e32 v[8:9], v[12:13], v[16:17]
	v_fmac_f64_e32 v[10:11], v[14:15], v[16:17]
	s_waitcnt vmcnt(1)
	v_fmac_f64_e32 v[4:5], v[12:13], v[20:21]
	v_fmac_f64_e32 v[6:7], v[14:15], v[20:21]
	;; [unrolled: 3-line block ×3, first 2 shown]
	v_fma_f64 v[8:9], -v[14:15], v[18:19], v[8:9]
	v_fmac_f64_e32 v[10:11], v[12:13], v[18:19]
	v_fma_f64 v[4:5], -v[14:15], v[22:23], v[4:5]
	v_fmac_f64_e32 v[6:7], v[12:13], v[22:23]
	;; [unrolled: 2-line block ×3, first 2 shown]
	global_store_dwordx4 v[28:29], v[8:11], off
	global_store_dwordx4 v[28:29], v[4:7], off offset:16
	global_store_dwordx4 v[28:29], v[0:3], off offset:32
	s_endpgm
	.section	.rodata,"a",@progbits
	.p2align	6, 0x0
	.amdhsa_kernel _ZN9rocsparseL18bsrxmvn_3x3_kernelILj256ELj64E21rocsparse_complex_numIdEiidS2_S2_EEvT3_20rocsparse_direction_NS_24const_host_device_scalarIT1_EES3_PKS3_PKT2_SC_S9_PKT4_PKT5_S7_PT6_21rocsparse_index_base_b
		.amdhsa_group_segment_fixed_size 4096
		.amdhsa_private_segment_fixed_size 0
		.amdhsa_kernarg_size 112
		.amdhsa_user_sgpr_count 4
		.amdhsa_user_sgpr_dispatch_ptr 1
		.amdhsa_user_sgpr_queue_ptr 0
		.amdhsa_user_sgpr_kernarg_segment_ptr 1
		.amdhsa_user_sgpr_dispatch_id 0
		.amdhsa_user_sgpr_kernarg_preload_length 0
		.amdhsa_user_sgpr_kernarg_preload_offset 0
		.amdhsa_user_sgpr_private_segment_size 0
		.amdhsa_uses_dynamic_stack 0
		.amdhsa_enable_private_segment 0
		.amdhsa_system_sgpr_workgroup_id_x 1
		.amdhsa_system_sgpr_workgroup_id_y 0
		.amdhsa_system_sgpr_workgroup_id_z 0
		.amdhsa_system_sgpr_workgroup_info 0
		.amdhsa_system_vgpr_workitem_id 2
		.amdhsa_next_free_vgpr 64
		.amdhsa_next_free_sgpr 20
		.amdhsa_accum_offset 64
		.amdhsa_reserve_vcc 1
		.amdhsa_float_round_mode_32 0
		.amdhsa_float_round_mode_16_64 0
		.amdhsa_float_denorm_mode_32 3
		.amdhsa_float_denorm_mode_16_64 3
		.amdhsa_dx10_clamp 1
		.amdhsa_ieee_mode 1
		.amdhsa_fp16_overflow 0
		.amdhsa_tg_split 0
		.amdhsa_exception_fp_ieee_invalid_op 0
		.amdhsa_exception_fp_denorm_src 0
		.amdhsa_exception_fp_ieee_div_zero 0
		.amdhsa_exception_fp_ieee_overflow 0
		.amdhsa_exception_fp_ieee_underflow 0
		.amdhsa_exception_fp_ieee_inexact 0
		.amdhsa_exception_int_div_zero 0
	.end_amdhsa_kernel
	.section	.text._ZN9rocsparseL18bsrxmvn_3x3_kernelILj256ELj64E21rocsparse_complex_numIdEiidS2_S2_EEvT3_20rocsparse_direction_NS_24const_host_device_scalarIT1_EES3_PKS3_PKT2_SC_S9_PKT4_PKT5_S7_PT6_21rocsparse_index_base_b,"axG",@progbits,_ZN9rocsparseL18bsrxmvn_3x3_kernelILj256ELj64E21rocsparse_complex_numIdEiidS2_S2_EEvT3_20rocsparse_direction_NS_24const_host_device_scalarIT1_EES3_PKS3_PKT2_SC_S9_PKT4_PKT5_S7_PT6_21rocsparse_index_base_b,comdat
.Lfunc_end139:
	.size	_ZN9rocsparseL18bsrxmvn_3x3_kernelILj256ELj64E21rocsparse_complex_numIdEiidS2_S2_EEvT3_20rocsparse_direction_NS_24const_host_device_scalarIT1_EES3_PKS3_PKT2_SC_S9_PKT4_PKT5_S7_PT6_21rocsparse_index_base_b, .Lfunc_end139-_ZN9rocsparseL18bsrxmvn_3x3_kernelILj256ELj64E21rocsparse_complex_numIdEiidS2_S2_EEvT3_20rocsparse_direction_NS_24const_host_device_scalarIT1_EES3_PKS3_PKT2_SC_S9_PKT4_PKT5_S7_PT6_21rocsparse_index_base_b
                                        ; -- End function
	.section	.AMDGPU.csdata,"",@progbits
; Kernel info:
; codeLenInByte = 2620
; NumSgprs: 26
; NumVgprs: 64
; NumAgprs: 0
; TotalNumVgprs: 64
; ScratchSize: 0
; MemoryBound: 0
; FloatMode: 240
; IeeeMode: 1
; LDSByteSize: 4096 bytes/workgroup (compile time only)
; SGPRBlocks: 3
; VGPRBlocks: 7
; NumSGPRsForWavesPerEU: 26
; NumVGPRsForWavesPerEU: 64
; AccumOffset: 64
; Occupancy: 8
; WaveLimiterHint : 1
; COMPUTE_PGM_RSRC2:SCRATCH_EN: 0
; COMPUTE_PGM_RSRC2:USER_SGPR: 4
; COMPUTE_PGM_RSRC2:TRAP_HANDLER: 0
; COMPUTE_PGM_RSRC2:TGID_X_EN: 1
; COMPUTE_PGM_RSRC2:TGID_Y_EN: 0
; COMPUTE_PGM_RSRC2:TGID_Z_EN: 0
; COMPUTE_PGM_RSRC2:TIDIG_COMP_CNT: 2
; COMPUTE_PGM_RSRC3_GFX90A:ACCUM_OFFSET: 15
; COMPUTE_PGM_RSRC3_GFX90A:TG_SPLIT: 0
	.section	.text._ZN9rocsparseL18bsrxmvn_3x3_kernelILj256ELj4E21rocsparse_complex_numIdElidS2_S2_EEvT3_20rocsparse_direction_NS_24const_host_device_scalarIT1_EES3_PKS3_PKT2_SC_S9_PKT4_PKT5_S7_PT6_21rocsparse_index_base_b,"axG",@progbits,_ZN9rocsparseL18bsrxmvn_3x3_kernelILj256ELj4E21rocsparse_complex_numIdElidS2_S2_EEvT3_20rocsparse_direction_NS_24const_host_device_scalarIT1_EES3_PKS3_PKT2_SC_S9_PKT4_PKT5_S7_PT6_21rocsparse_index_base_b,comdat
	.globl	_ZN9rocsparseL18bsrxmvn_3x3_kernelILj256ELj4E21rocsparse_complex_numIdElidS2_S2_EEvT3_20rocsparse_direction_NS_24const_host_device_scalarIT1_EES3_PKS3_PKT2_SC_S9_PKT4_PKT5_S7_PT6_21rocsparse_index_base_b ; -- Begin function _ZN9rocsparseL18bsrxmvn_3x3_kernelILj256ELj4E21rocsparse_complex_numIdElidS2_S2_EEvT3_20rocsparse_direction_NS_24const_host_device_scalarIT1_EES3_PKS3_PKT2_SC_S9_PKT4_PKT5_S7_PT6_21rocsparse_index_base_b
	.p2align	8
	.type	_ZN9rocsparseL18bsrxmvn_3x3_kernelILj256ELj4E21rocsparse_complex_numIdElidS2_S2_EEvT3_20rocsparse_direction_NS_24const_host_device_scalarIT1_EES3_PKS3_PKT2_SC_S9_PKT4_PKT5_S7_PT6_21rocsparse_index_base_b,@function
_ZN9rocsparseL18bsrxmvn_3x3_kernelILj256ELj4E21rocsparse_complex_numIdElidS2_S2_EEvT3_20rocsparse_direction_NS_24const_host_device_scalarIT1_EES3_PKS3_PKT2_SC_S9_PKT4_PKT5_S7_PT6_21rocsparse_index_base_b: ; @_ZN9rocsparseL18bsrxmvn_3x3_kernelILj256ELj4E21rocsparse_complex_numIdElidS2_S2_EEvT3_20rocsparse_direction_NS_24const_host_device_scalarIT1_EES3_PKS3_PKT2_SC_S9_PKT4_PKT5_S7_PT6_21rocsparse_index_base_b
; %bb.0:
	s_load_dwordx2 s[16:17], s[2:3], 0x68
	s_load_dwordx4 s[8:11], s[2:3], 0x8
	s_load_dwordx2 s[18:19], s[0:1], 0x4
	s_load_dwordx4 s[12:15], s[2:3], 0x50
	s_mov_b64 s[6:7], src_shared_base
	v_and_b32_e32 v2, 0x3ff, v0
	s_waitcnt lgkmcnt(0)
	s_bitcmp1_b32 s17, 0
	s_cselect_b64 s[0:1], -1, 0
	s_and_b64 vcc, s[0:1], exec
	s_cselect_b32 s5, s7, s9
	s_lshr_b32 s6, s18, 16
	s_mul_i32 s6, s6, s19
	v_mul_lo_u32 v3, s6, v2
	v_bfe_u32 v4, v0, 10, 10
	v_mad_u32_u24 v3, v4, s19, v3
	v_bfe_u32 v0, v0, 20, 10
	v_add_lshl_u32 v0, v3, v0, 3
	v_mov_b32_e32 v1, s8
	v_add_u32_e32 v3, 0x800, v0
	v_mov_b64_e32 v[4:5], s[8:9]
	v_mov_b64_e32 v[6:7], s[12:13]
	ds_write2st64_b64 v0, v[6:7], v[4:5] offset1:4
	v_cndmask_b32_e64 v4, v1, v3, s[0:1]
	v_mov_b32_e32 v5, s5
	flat_load_dwordx2 v[16:17], v[4:5]
	s_xor_b64 s[18:19], s[0:1], -1
	v_mov_b64_e32 v[18:19], s[10:11]
	s_cbranch_vccnz .LBB140_2
; %bb.1:
	v_mov_b64_e32 v[4:5], s[8:9]
	flat_load_dwordx2 v[18:19], v[4:5] offset:8
.LBB140_2:
	s_and_b64 s[8:9], s[0:1], exec
	s_cselect_b32 s5, s7, s13
	v_mov_b32_e32 v1, s12
	v_cndmask_b32_e64 v0, v1, v0, s[0:1]
	v_mov_b32_e32 v1, s5
	flat_load_dwordx2 v[12:13], v[0:1]
	s_andn2_b64 vcc, exec, s[18:19]
	v_mov_b64_e32 v[14:15], s[14:15]
	s_cbranch_vccnz .LBB140_4
; %bb.3:
	v_mov_b64_e32 v[0:1], s[12:13]
	flat_load_dwordx2 v[14:15], v[0:1] offset:8
.LBB140_4:
	s_waitcnt vmcnt(0) lgkmcnt(0)
	v_cmp_eq_f64_e32 vcc, 0, v[16:17]
	v_cmp_eq_f64_e64 s[0:1], 0, v[18:19]
	s_and_b64 s[8:9], vcc, s[0:1]
	s_mov_b64 s[0:1], -1
	s_and_saveexec_b64 s[6:7], s[8:9]
; %bb.5:
	v_cmp_neq_f64_e32 vcc, 1.0, v[12:13]
	v_cmp_neq_f64_e64 s[0:1], 0, v[14:15]
	s_or_b64 s[0:1], vcc, s[0:1]
	s_orn2_b64 s[0:1], s[0:1], exec
; %bb.6:
	s_or_b64 exec, exec, s[6:7]
	s_and_saveexec_b64 s[6:7], s[0:1]
	s_cbranch_execz .LBB140_12
; %bb.7:
	s_load_dwordx2 s[6:7], s[2:3], 0x20
	s_load_dwordx2 s[0:1], s[2:3], 0x0
	v_lshrrev_b32_e32 v0, 2, v2
	v_lshl_or_b32 v0, s4, 6, v0
	s_mov_b64 s[4:5], 0
	s_waitcnt lgkmcnt(0)
	s_cmp_lg_u64 s[6:7], 0
	s_cbranch_scc0 .LBB140_13
; %bb.8:
	s_load_dword s8, s[2:3], 0x18
                                        ; implicit-def: $vgpr1
	s_waitcnt lgkmcnt(0)
	v_cmp_gt_i32_e32 vcc, s8, v0
	s_and_saveexec_b64 s[8:9], vcc
	s_xor_b64 s[8:9], exec, s[8:9]
	s_cbranch_execz .LBB140_10
; %bb.9:
	v_ashrrev_i32_e32 v1, 31, v0
	v_lshl_add_u64 v[4:5], v[0:1], 2, s[6:7]
	global_load_dword v1, v[4:5], off
	s_mov_b64 s[4:5], exec
	s_waitcnt vmcnt(0)
	v_subrev_u32_e32 v1, s16, v1
.LBB140_10:
	s_or_b64 exec, exec, s[8:9]
	s_branch .LBB140_14
.LBB140_11:
	v_cmp_gt_i32_e32 vcc, s0, v0
	s_andn2_b64 s[4:5], s[4:5], exec
	s_and_b64 s[6:7], vcc, exec
	s_or_b64 s[4:5], s[4:5], s[6:7]
	s_and_b64 exec, exec, s[4:5]
	s_cbranch_execnz .LBB140_15
.LBB140_12:
	s_endpgm
.LBB140_13:
                                        ; implicit-def: $vgpr1
	s_cbranch_execnz .LBB140_11
.LBB140_14:
	v_mov_b32_e32 v0, v1
	s_and_b64 exec, exec, s[4:5]
	s_cbranch_execz .LBB140_12
.LBB140_15:
	s_load_dwordx8 s[4:11], s[2:3], 0x28
	v_ashrrev_i32_e32 v1, 31, v0
	v_lshlrev_b64 v[4:5], 3, v[0:1]
	v_and_b32_e32 v2, 3, v2
	v_mov_b32_e32 v3, 0
	s_waitcnt lgkmcnt(0)
	v_lshl_add_u64 v[6:7], s[4:5], 0, v[4:5]
	global_load_dwordx2 v[8:9], v[6:7], off
	s_cmp_eq_u64 s[6:7], 0
	v_lshl_add_u64 v[4:5], s[6:7], 0, v[4:5]
	v_lshl_add_u64 v[6:7], v[6:7], 0, 8
	s_cselect_b64 vcc, -1, 0
	v_cndmask_b32_e32 v5, v5, v7, vcc
	v_cndmask_b32_e32 v4, v4, v6, vcc
	global_load_dwordx2 v[4:5], v[4:5], off
	s_load_dwordx2 s[4:5], s[2:3], 0x48
	s_movk_i32 s6, 0x48
	v_mov_b64_e32 v[6:7], s[10:11]
	s_cmp_eq_u32 s1, 1
	s_waitcnt vmcnt(1)
	v_subrev_co_u32_e32 v8, vcc, s16, v8
	s_nop 1
	v_subbrev_co_u32_e32 v9, vcc, 0, v9, vcc
	v_lshl_add_u64 v[20:21], v[8:9], 0, v[2:3]
	v_mad_u64_u32 v[26:27], s[0:1], v20, s6, v[6:7]
	s_waitcnt vmcnt(0)
	v_subrev_co_u32_e32 v24, vcc, s16, v4
	v_mov_b32_e32 v4, v27
	s_nop 0
	v_subbrev_co_u32_e32 v25, vcc, 0, v5, vcc
	v_mad_u64_u32 v[4:5], s[0:1], v21, s6, v[4:5]
	v_mov_b32_e32 v27, v4
	v_cmp_lt_i64_e64 s[0:1], v[20:21], v[24:25]
	s_cbranch_scc1 .LBB140_21
; %bb.16:
	v_mov_b64_e32 v[4:5], 0
	s_mov_b64 s[6:7], 0
	v_mov_b64_e32 v[28:29], v[4:5]
	v_mov_b64_e32 v[8:9], v[4:5]
	;; [unrolled: 1-line block ×5, first 2 shown]
	s_and_saveexec_b64 s[10:11], s[0:1]
	s_cbranch_execz .LBB140_20
; %bb.17:
	v_mov_b64_e32 v[4:5], 0
	v_lshl_add_u64 v[30:31], v[20:21], 2, s[8:9]
	s_mov_b64 s[12:13], 0
	s_mov_b64 s[14:15], 0x120
	v_mov_b64_e32 v[32:33], v[20:21]
	v_mov_b64_e32 v[34:35], v[26:27]
	;; [unrolled: 1-line block ×7, first 2 shown]
.LBB140_18:                             ; =>This Inner Loop Header: Depth=1
	global_load_dword v1, v[30:31], off
	global_load_dwordx4 v[36:39], v[34:35], off offset:48
	global_load_dwordx4 v[40:43], v[34:35], off offset:32
	;; [unrolled: 1-line block ×3, first 2 shown]
	global_load_dwordx4 v[48:51], v[34:35], off
	global_load_dwordx2 v[64:65], v[34:35], off offset:64
	v_lshl_add_u64 v[32:33], v[32:33], 0, 4
	v_cmp_ge_i64_e32 vcc, v[32:33], v[24:25]
	v_lshl_add_u64 v[34:35], v[34:35], 0, s[14:15]
	v_lshl_add_u64 v[30:31], v[30:31], 0, 16
	s_or_b64 s[12:13], vcc, s[12:13]
	s_waitcnt vmcnt(5)
	v_subrev_u32_e32 v1, s16, v1
	v_lshl_add_u32 v52, v1, 1, v1
	v_ashrrev_i32_e32 v53, 31, v52
	s_waitcnt lgkmcnt(0)
	v_lshl_add_u64 v[66:67], v[52:53], 4, s[4:5]
	global_load_dwordx4 v[52:55], v[66:67], off
	global_load_dwordx4 v[56:59], v[66:67], off offset:16
	global_load_dwordx4 v[60:63], v[66:67], off offset:32
	s_waitcnt vmcnt(2)
	v_fmac_f64_e32 v[28:29], v[48:49], v[52:53]
	v_fmac_f64_e32 v[4:5], 0, v[52:53]
	v_fmac_f64_e32 v[22:23], v[46:47], v[52:53]
	v_fmac_f64_e32 v[8:9], 0, v[52:53]
	v_fmac_f64_e32 v[10:11], v[36:37], v[52:53]
	v_fmac_f64_e32 v[6:7], 0, v[52:53]
	v_fmac_f64_e32 v[28:29], 0x80000000, v[54:55]
	v_fmac_f64_e32 v[4:5], v[48:49], v[54:55]
	v_fmac_f64_e32 v[22:23], 0x80000000, v[54:55]
	v_fmac_f64_e32 v[8:9], v[46:47], v[54:55]
	v_fmac_f64_e32 v[10:11], 0x80000000, v[54:55]
	v_fmac_f64_e32 v[6:7], v[36:37], v[54:55]
	s_waitcnt vmcnt(1)
	v_fmac_f64_e32 v[28:29], v[50:51], v[56:57]
	v_fmac_f64_e32 v[4:5], 0, v[56:57]
	v_fmac_f64_e32 v[22:23], v[40:41], v[56:57]
	v_fmac_f64_e32 v[8:9], 0, v[56:57]
	v_fmac_f64_e32 v[10:11], v[38:39], v[56:57]
	v_fmac_f64_e32 v[6:7], 0, v[56:57]
	v_fmac_f64_e32 v[28:29], 0x80000000, v[58:59]
	v_fmac_f64_e32 v[4:5], v[50:51], v[58:59]
	v_fmac_f64_e32 v[22:23], 0x80000000, v[58:59]
	v_fmac_f64_e32 v[8:9], v[40:41], v[58:59]
	v_fmac_f64_e32 v[10:11], 0x80000000, v[58:59]
	v_fmac_f64_e32 v[6:7], v[38:39], v[58:59]
	;; [unrolled: 13-line block ×3, first 2 shown]
	s_andn2_b64 exec, exec, s[12:13]
	s_cbranch_execnz .LBB140_18
; %bb.19:
	s_or_b64 exec, exec, s[12:13]
.LBB140_20:
	s_or_b64 exec, exec, s[10:11]
	s_andn2_b64 vcc, exec, s[6:7]
	s_cbranch_vccz .LBB140_22
	s_branch .LBB140_27
.LBB140_21:
                                        ; implicit-def: $vgpr4_vgpr5
                                        ; implicit-def: $vgpr28_vgpr29
                                        ; implicit-def: $vgpr8_vgpr9
                                        ; implicit-def: $vgpr22_vgpr23
                                        ; implicit-def: $vgpr6_vgpr7
                                        ; implicit-def: $vgpr10_vgpr11
.LBB140_22:
	v_mov_b64_e32 v[4:5], 0
	v_mov_b64_e32 v[28:29], v[4:5]
	;; [unrolled: 1-line block ×6, first 2 shown]
	s_and_saveexec_b64 s[6:7], s[0:1]
	s_cbranch_execz .LBB140_26
; %bb.23:
	v_mov_b64_e32 v[4:5], 0
	v_lshl_add_u64 v[30:31], v[20:21], 2, s[8:9]
	s_mov_b64 s[0:1], 0
	s_mov_b64 s[8:9], 0x120
	v_mov_b64_e32 v[28:29], v[4:5]
	v_mov_b64_e32 v[8:9], v[4:5]
	;; [unrolled: 1-line block ×5, first 2 shown]
.LBB140_24:                             ; =>This Inner Loop Header: Depth=1
	global_load_dword v1, v[30:31], off
	global_load_dwordx4 v[32:35], v[26:27], off offset:48
	global_load_dwordx4 v[36:39], v[26:27], off offset:32
	;; [unrolled: 1-line block ×3, first 2 shown]
	global_load_dwordx4 v[44:47], v[26:27], off
	global_load_dwordx2 v[60:61], v[26:27], off offset:64
	v_lshl_add_u64 v[20:21], v[20:21], 0, 4
	v_cmp_ge_i64_e32 vcc, v[20:21], v[24:25]
	v_lshl_add_u64 v[26:27], v[26:27], 0, s[8:9]
	v_lshl_add_u64 v[30:31], v[30:31], 0, 16
	s_or_b64 s[0:1], vcc, s[0:1]
	s_waitcnt vmcnt(5)
	v_subrev_u32_e32 v1, s16, v1
	v_lshl_add_u32 v48, v1, 1, v1
	v_ashrrev_i32_e32 v49, 31, v48
	s_waitcnt lgkmcnt(0)
	v_lshl_add_u64 v[62:63], v[48:49], 4, s[4:5]
	global_load_dwordx4 v[48:51], v[62:63], off
	global_load_dwordx4 v[52:55], v[62:63], off offset:16
	global_load_dwordx4 v[56:59], v[62:63], off offset:32
	s_waitcnt vmcnt(2)
	v_fmac_f64_e32 v[28:29], v[44:45], v[48:49]
	v_fmac_f64_e32 v[4:5], 0, v[48:49]
	v_fmac_f64_e32 v[22:23], v[46:47], v[48:49]
	v_fmac_f64_e32 v[8:9], 0, v[48:49]
	v_fmac_f64_e32 v[10:11], v[40:41], v[48:49]
	v_fmac_f64_e32 v[6:7], 0, v[48:49]
	v_fmac_f64_e32 v[28:29], 0x80000000, v[50:51]
	v_fmac_f64_e32 v[4:5], v[44:45], v[50:51]
	v_fmac_f64_e32 v[22:23], 0x80000000, v[50:51]
	v_fmac_f64_e32 v[8:9], v[46:47], v[50:51]
	v_fmac_f64_e32 v[10:11], 0x80000000, v[50:51]
	v_fmac_f64_e32 v[6:7], v[40:41], v[50:51]
	s_waitcnt vmcnt(1)
	v_fmac_f64_e32 v[28:29], v[42:43], v[52:53]
	v_fmac_f64_e32 v[4:5], 0, v[52:53]
	v_fmac_f64_e32 v[22:23], v[36:37], v[52:53]
	v_fmac_f64_e32 v[8:9], 0, v[52:53]
	v_fmac_f64_e32 v[10:11], v[38:39], v[52:53]
	v_fmac_f64_e32 v[6:7], 0, v[52:53]
	v_fmac_f64_e32 v[28:29], 0x80000000, v[54:55]
	v_fmac_f64_e32 v[4:5], v[42:43], v[54:55]
	v_fmac_f64_e32 v[22:23], 0x80000000, v[54:55]
	v_fmac_f64_e32 v[8:9], v[36:37], v[54:55]
	v_fmac_f64_e32 v[10:11], 0x80000000, v[54:55]
	v_fmac_f64_e32 v[6:7], v[38:39], v[54:55]
	s_waitcnt vmcnt(0)
	v_fmac_f64_e32 v[28:29], v[32:33], v[56:57]
	v_fmac_f64_e32 v[4:5], 0, v[56:57]
	v_fmac_f64_e32 v[22:23], v[34:35], v[56:57]
	v_fmac_f64_e32 v[8:9], 0, v[56:57]
	v_fmac_f64_e32 v[10:11], v[60:61], v[56:57]
	v_fmac_f64_e32 v[6:7], 0, v[56:57]
	v_fmac_f64_e32 v[28:29], 0x80000000, v[58:59]
	v_fmac_f64_e32 v[4:5], v[32:33], v[58:59]
	v_fmac_f64_e32 v[22:23], 0x80000000, v[58:59]
	v_fmac_f64_e32 v[8:9], v[34:35], v[58:59]
	v_fmac_f64_e32 v[10:11], 0x80000000, v[58:59]
	v_fmac_f64_e32 v[6:7], v[60:61], v[58:59]
	s_andn2_b64 exec, exec, s[0:1]
	s_cbranch_execnz .LBB140_24
; %bb.25:
	s_or_b64 exec, exec, s[0:1]
.LBB140_26:
	s_or_b64 exec, exec, s[6:7]
.LBB140_27:
	v_mov_b32_dpp v20, v28 row_shr:1 row_mask:0xf bank_mask:0xf
	v_mov_b32_dpp v21, v29 row_shr:1 row_mask:0xf bank_mask:0xf
	v_add_f64 v[20:21], v[28:29], v[20:21]
	v_mov_b32_dpp v26, v4 row_shr:1 row_mask:0xf bank_mask:0xf
	v_mov_b32_dpp v27, v5 row_shr:1 row_mask:0xf bank_mask:0xf
	;; [unrolled: 1-line block ×10, first 2 shown]
	v_add_f64 v[4:5], v[4:5], v[26:27]
	v_add_f64 v[22:23], v[22:23], v[28:29]
	v_add_f64 v[8:9], v[8:9], v[30:31]
	v_add_f64 v[10:11], v[10:11], v[32:33]
	v_add_f64 v[6:7], v[6:7], v[34:35]
	v_mov_b32_dpp v24, v20 row_shr:2 row_mask:0xf bank_mask:0xf
	v_mov_b32_dpp v25, v21 row_shr:2 row_mask:0xf bank_mask:0xf
	;; [unrolled: 1-line block ×12, first 2 shown]
	v_cmp_eq_u32_e32 vcc, 3, v2
	s_and_b64 exec, exec, vcc
	s_cbranch_execz .LBB140_12
; %bb.28:
	s_load_dwordx2 s[2:3], s[2:3], 0x60
	v_add_f64 v[2:3], v[4:5], v[26:27]
	v_add_f64 v[26:27], v[8:9], v[30:31]
	;; [unrolled: 1-line block ×6, first 2 shown]
	v_cmp_eq_f64_e32 vcc, 0, v[12:13]
	v_cmp_eq_f64_e64 s[0:1], 0, v[14:15]
	v_mul_f64 v[8:9], v[2:3], -v[18:19]
	v_mul_f64 v[10:11], v[16:17], v[2:3]
	v_lshl_add_u32 v20, v0, 1, v0
	v_mul_f64 v[4:5], v[26:27], -v[18:19]
	v_mul_f64 v[6:7], v[16:17], v[26:27]
	v_mul_f64 v[0:1], v[30:31], -v[18:19]
	v_mul_f64 v[2:3], v[16:17], v[30:31]
	s_and_b64 s[0:1], vcc, s[0:1]
	v_fmac_f64_e32 v[8:9], v[16:17], v[24:25]
	v_fmac_f64_e32 v[10:11], v[18:19], v[24:25]
	v_ashrrev_i32_e32 v21, 31, v20
	v_fmac_f64_e32 v[4:5], v[16:17], v[22:23]
	v_fmac_f64_e32 v[6:7], v[18:19], v[22:23]
	;; [unrolled: 1-line block ×4, first 2 shown]
	s_waitcnt lgkmcnt(0)
	s_and_saveexec_b64 s[4:5], s[0:1]
	s_xor_b64 s[0:1], exec, s[4:5]
	s_cbranch_execz .LBB140_30
; %bb.29:
	v_lshl_add_u64 v[12:13], v[20:21], 4, s[2:3]
	global_store_dwordx4 v[12:13], v[8:11], off
	global_store_dwordx4 v[12:13], v[4:7], off offset:16
	global_store_dwordx4 v[12:13], v[0:3], off offset:32
                                        ; implicit-def: $vgpr12_vgpr13
                                        ; implicit-def: $vgpr14_vgpr15
                                        ; implicit-def: $vgpr20
                                        ; implicit-def: $vgpr8_vgpr9
                                        ; implicit-def: $vgpr4_vgpr5
                                        ; implicit-def: $vgpr0_vgpr1
.LBB140_30:
	s_andn2_saveexec_b64 s[0:1], s[0:1]
	s_cbranch_execz .LBB140_12
; %bb.31:
	v_lshl_add_u64 v[28:29], v[20:21], 4, s[2:3]
	global_load_dwordx4 v[16:19], v[28:29], off
	global_load_dwordx4 v[20:23], v[28:29], off offset:16
	global_load_dwordx4 v[24:27], v[28:29], off offset:32
	s_waitcnt vmcnt(2)
	v_fmac_f64_e32 v[8:9], v[12:13], v[16:17]
	v_fmac_f64_e32 v[10:11], v[14:15], v[16:17]
	s_waitcnt vmcnt(1)
	v_fmac_f64_e32 v[4:5], v[12:13], v[20:21]
	v_fmac_f64_e32 v[6:7], v[14:15], v[20:21]
	;; [unrolled: 3-line block ×3, first 2 shown]
	v_fma_f64 v[8:9], -v[14:15], v[18:19], v[8:9]
	v_fmac_f64_e32 v[10:11], v[12:13], v[18:19]
	v_fma_f64 v[4:5], -v[14:15], v[22:23], v[4:5]
	v_fmac_f64_e32 v[6:7], v[12:13], v[22:23]
	v_fma_f64 v[0:1], -v[14:15], v[26:27], v[0:1]
	v_fmac_f64_e32 v[2:3], v[12:13], v[26:27]
	global_store_dwordx4 v[28:29], v[8:11], off
	global_store_dwordx4 v[28:29], v[4:7], off offset:16
	global_store_dwordx4 v[28:29], v[0:3], off offset:32
	s_endpgm
	.section	.rodata,"a",@progbits
	.p2align	6, 0x0
	.amdhsa_kernel _ZN9rocsparseL18bsrxmvn_3x3_kernelILj256ELj4E21rocsparse_complex_numIdElidS2_S2_EEvT3_20rocsparse_direction_NS_24const_host_device_scalarIT1_EES3_PKS3_PKT2_SC_S9_PKT4_PKT5_S7_PT6_21rocsparse_index_base_b
		.amdhsa_group_segment_fixed_size 4096
		.amdhsa_private_segment_fixed_size 0
		.amdhsa_kernarg_size 112
		.amdhsa_user_sgpr_count 4
		.amdhsa_user_sgpr_dispatch_ptr 1
		.amdhsa_user_sgpr_queue_ptr 0
		.amdhsa_user_sgpr_kernarg_segment_ptr 1
		.amdhsa_user_sgpr_dispatch_id 0
		.amdhsa_user_sgpr_kernarg_preload_length 0
		.amdhsa_user_sgpr_kernarg_preload_offset 0
		.amdhsa_user_sgpr_private_segment_size 0
		.amdhsa_uses_dynamic_stack 0
		.amdhsa_enable_private_segment 0
		.amdhsa_system_sgpr_workgroup_id_x 1
		.amdhsa_system_sgpr_workgroup_id_y 0
		.amdhsa_system_sgpr_workgroup_id_z 0
		.amdhsa_system_sgpr_workgroup_info 0
		.amdhsa_system_vgpr_workitem_id 2
		.amdhsa_next_free_vgpr 68
		.amdhsa_next_free_sgpr 20
		.amdhsa_accum_offset 68
		.amdhsa_reserve_vcc 1
		.amdhsa_float_round_mode_32 0
		.amdhsa_float_round_mode_16_64 0
		.amdhsa_float_denorm_mode_32 3
		.amdhsa_float_denorm_mode_16_64 3
		.amdhsa_dx10_clamp 1
		.amdhsa_ieee_mode 1
		.amdhsa_fp16_overflow 0
		.amdhsa_tg_split 0
		.amdhsa_exception_fp_ieee_invalid_op 0
		.amdhsa_exception_fp_denorm_src 0
		.amdhsa_exception_fp_ieee_div_zero 0
		.amdhsa_exception_fp_ieee_overflow 0
		.amdhsa_exception_fp_ieee_underflow 0
		.amdhsa_exception_fp_ieee_inexact 0
		.amdhsa_exception_int_div_zero 0
	.end_amdhsa_kernel
	.section	.text._ZN9rocsparseL18bsrxmvn_3x3_kernelILj256ELj4E21rocsparse_complex_numIdElidS2_S2_EEvT3_20rocsparse_direction_NS_24const_host_device_scalarIT1_EES3_PKS3_PKT2_SC_S9_PKT4_PKT5_S7_PT6_21rocsparse_index_base_b,"axG",@progbits,_ZN9rocsparseL18bsrxmvn_3x3_kernelILj256ELj4E21rocsparse_complex_numIdElidS2_S2_EEvT3_20rocsparse_direction_NS_24const_host_device_scalarIT1_EES3_PKS3_PKT2_SC_S9_PKT4_PKT5_S7_PT6_21rocsparse_index_base_b,comdat
.Lfunc_end140:
	.size	_ZN9rocsparseL18bsrxmvn_3x3_kernelILj256ELj4E21rocsparse_complex_numIdElidS2_S2_EEvT3_20rocsparse_direction_NS_24const_host_device_scalarIT1_EES3_PKS3_PKT2_SC_S9_PKT4_PKT5_S7_PT6_21rocsparse_index_base_b, .Lfunc_end140-_ZN9rocsparseL18bsrxmvn_3x3_kernelILj256ELj4E21rocsparse_complex_numIdElidS2_S2_EEvT3_20rocsparse_direction_NS_24const_host_device_scalarIT1_EES3_PKS3_PKT2_SC_S9_PKT4_PKT5_S7_PT6_21rocsparse_index_base_b
                                        ; -- End function
	.section	.AMDGPU.csdata,"",@progbits
; Kernel info:
; codeLenInByte = 2100
; NumSgprs: 26
; NumVgprs: 68
; NumAgprs: 0
; TotalNumVgprs: 68
; ScratchSize: 0
; MemoryBound: 0
; FloatMode: 240
; IeeeMode: 1
; LDSByteSize: 4096 bytes/workgroup (compile time only)
; SGPRBlocks: 3
; VGPRBlocks: 8
; NumSGPRsForWavesPerEU: 26
; NumVGPRsForWavesPerEU: 68
; AccumOffset: 68
; Occupancy: 7
; WaveLimiterHint : 1
; COMPUTE_PGM_RSRC2:SCRATCH_EN: 0
; COMPUTE_PGM_RSRC2:USER_SGPR: 4
; COMPUTE_PGM_RSRC2:TRAP_HANDLER: 0
; COMPUTE_PGM_RSRC2:TGID_X_EN: 1
; COMPUTE_PGM_RSRC2:TGID_Y_EN: 0
; COMPUTE_PGM_RSRC2:TGID_Z_EN: 0
; COMPUTE_PGM_RSRC2:TIDIG_COMP_CNT: 2
; COMPUTE_PGM_RSRC3_GFX90A:ACCUM_OFFSET: 16
; COMPUTE_PGM_RSRC3_GFX90A:TG_SPLIT: 0
	.section	.text._ZN9rocsparseL18bsrxmvn_3x3_kernelILj256ELj8E21rocsparse_complex_numIdElidS2_S2_EEvT3_20rocsparse_direction_NS_24const_host_device_scalarIT1_EES3_PKS3_PKT2_SC_S9_PKT4_PKT5_S7_PT6_21rocsparse_index_base_b,"axG",@progbits,_ZN9rocsparseL18bsrxmvn_3x3_kernelILj256ELj8E21rocsparse_complex_numIdElidS2_S2_EEvT3_20rocsparse_direction_NS_24const_host_device_scalarIT1_EES3_PKS3_PKT2_SC_S9_PKT4_PKT5_S7_PT6_21rocsparse_index_base_b,comdat
	.globl	_ZN9rocsparseL18bsrxmvn_3x3_kernelILj256ELj8E21rocsparse_complex_numIdElidS2_S2_EEvT3_20rocsparse_direction_NS_24const_host_device_scalarIT1_EES3_PKS3_PKT2_SC_S9_PKT4_PKT5_S7_PT6_21rocsparse_index_base_b ; -- Begin function _ZN9rocsparseL18bsrxmvn_3x3_kernelILj256ELj8E21rocsparse_complex_numIdElidS2_S2_EEvT3_20rocsparse_direction_NS_24const_host_device_scalarIT1_EES3_PKS3_PKT2_SC_S9_PKT4_PKT5_S7_PT6_21rocsparse_index_base_b
	.p2align	8
	.type	_ZN9rocsparseL18bsrxmvn_3x3_kernelILj256ELj8E21rocsparse_complex_numIdElidS2_S2_EEvT3_20rocsparse_direction_NS_24const_host_device_scalarIT1_EES3_PKS3_PKT2_SC_S9_PKT4_PKT5_S7_PT6_21rocsparse_index_base_b,@function
_ZN9rocsparseL18bsrxmvn_3x3_kernelILj256ELj8E21rocsparse_complex_numIdElidS2_S2_EEvT3_20rocsparse_direction_NS_24const_host_device_scalarIT1_EES3_PKS3_PKT2_SC_S9_PKT4_PKT5_S7_PT6_21rocsparse_index_base_b: ; @_ZN9rocsparseL18bsrxmvn_3x3_kernelILj256ELj8E21rocsparse_complex_numIdElidS2_S2_EEvT3_20rocsparse_direction_NS_24const_host_device_scalarIT1_EES3_PKS3_PKT2_SC_S9_PKT4_PKT5_S7_PT6_21rocsparse_index_base_b
; %bb.0:
	s_load_dwordx2 s[16:17], s[2:3], 0x68
	s_load_dwordx4 s[8:11], s[2:3], 0x8
	s_load_dwordx2 s[18:19], s[0:1], 0x4
	s_load_dwordx4 s[12:15], s[2:3], 0x50
	s_mov_b64 s[6:7], src_shared_base
	v_and_b32_e32 v2, 0x3ff, v0
	s_waitcnt lgkmcnt(0)
	s_bitcmp1_b32 s17, 0
	s_cselect_b64 s[0:1], -1, 0
	s_and_b64 vcc, s[0:1], exec
	s_cselect_b32 s5, s7, s9
	s_lshr_b32 s6, s18, 16
	s_mul_i32 s6, s6, s19
	v_mul_lo_u32 v3, s6, v2
	v_bfe_u32 v4, v0, 10, 10
	v_mad_u32_u24 v3, v4, s19, v3
	v_bfe_u32 v0, v0, 20, 10
	v_add_lshl_u32 v0, v3, v0, 3
	v_mov_b32_e32 v1, s8
	v_add_u32_e32 v3, 0x800, v0
	v_mov_b64_e32 v[4:5], s[8:9]
	v_mov_b64_e32 v[6:7], s[12:13]
	ds_write2st64_b64 v0, v[6:7], v[4:5] offset1:4
	v_cndmask_b32_e64 v4, v1, v3, s[0:1]
	v_mov_b32_e32 v5, s5
	flat_load_dwordx2 v[16:17], v[4:5]
	s_xor_b64 s[18:19], s[0:1], -1
	v_mov_b64_e32 v[18:19], s[10:11]
	s_cbranch_vccnz .LBB141_2
; %bb.1:
	v_mov_b64_e32 v[4:5], s[8:9]
	flat_load_dwordx2 v[18:19], v[4:5] offset:8
.LBB141_2:
	s_and_b64 s[8:9], s[0:1], exec
	s_cselect_b32 s5, s7, s13
	v_mov_b32_e32 v1, s12
	v_cndmask_b32_e64 v0, v1, v0, s[0:1]
	v_mov_b32_e32 v1, s5
	flat_load_dwordx2 v[12:13], v[0:1]
	s_andn2_b64 vcc, exec, s[18:19]
	v_mov_b64_e32 v[14:15], s[14:15]
	s_cbranch_vccnz .LBB141_4
; %bb.3:
	v_mov_b64_e32 v[0:1], s[12:13]
	flat_load_dwordx2 v[14:15], v[0:1] offset:8
.LBB141_4:
	s_waitcnt vmcnt(0) lgkmcnt(0)
	v_cmp_eq_f64_e32 vcc, 0, v[16:17]
	v_cmp_eq_f64_e64 s[0:1], 0, v[18:19]
	s_and_b64 s[8:9], vcc, s[0:1]
	s_mov_b64 s[0:1], -1
	s_and_saveexec_b64 s[6:7], s[8:9]
; %bb.5:
	v_cmp_neq_f64_e32 vcc, 1.0, v[12:13]
	v_cmp_neq_f64_e64 s[0:1], 0, v[14:15]
	s_or_b64 s[0:1], vcc, s[0:1]
	s_orn2_b64 s[0:1], s[0:1], exec
; %bb.6:
	s_or_b64 exec, exec, s[6:7]
	s_and_saveexec_b64 s[6:7], s[0:1]
	s_cbranch_execz .LBB141_12
; %bb.7:
	s_load_dwordx2 s[6:7], s[2:3], 0x20
	s_load_dwordx2 s[0:1], s[2:3], 0x0
	v_lshrrev_b32_e32 v0, 3, v2
	v_lshl_or_b32 v0, s4, 5, v0
	s_mov_b64 s[4:5], 0
	s_waitcnt lgkmcnt(0)
	s_cmp_lg_u64 s[6:7], 0
	s_cbranch_scc0 .LBB141_13
; %bb.8:
	s_load_dword s8, s[2:3], 0x18
                                        ; implicit-def: $vgpr1
	s_waitcnt lgkmcnt(0)
	v_cmp_gt_i32_e32 vcc, s8, v0
	s_and_saveexec_b64 s[8:9], vcc
	s_xor_b64 s[8:9], exec, s[8:9]
	s_cbranch_execz .LBB141_10
; %bb.9:
	v_ashrrev_i32_e32 v1, 31, v0
	v_lshl_add_u64 v[4:5], v[0:1], 2, s[6:7]
	global_load_dword v1, v[4:5], off
	s_mov_b64 s[4:5], exec
	s_waitcnt vmcnt(0)
	v_subrev_u32_e32 v1, s16, v1
.LBB141_10:
	s_or_b64 exec, exec, s[8:9]
	s_branch .LBB141_14
.LBB141_11:
	v_cmp_gt_i32_e32 vcc, s0, v0
	s_andn2_b64 s[4:5], s[4:5], exec
	s_and_b64 s[6:7], vcc, exec
	s_or_b64 s[4:5], s[4:5], s[6:7]
	s_and_b64 exec, exec, s[4:5]
	s_cbranch_execnz .LBB141_15
.LBB141_12:
	s_endpgm
.LBB141_13:
                                        ; implicit-def: $vgpr1
	s_cbranch_execnz .LBB141_11
.LBB141_14:
	v_mov_b32_e32 v0, v1
	s_and_b64 exec, exec, s[4:5]
	s_cbranch_execz .LBB141_12
.LBB141_15:
	s_load_dwordx8 s[4:11], s[2:3], 0x28
	v_ashrrev_i32_e32 v1, 31, v0
	v_lshlrev_b64 v[4:5], 3, v[0:1]
	v_and_b32_e32 v2, 7, v2
	v_mov_b32_e32 v3, 0
	s_waitcnt lgkmcnt(0)
	v_lshl_add_u64 v[6:7], s[4:5], 0, v[4:5]
	global_load_dwordx2 v[8:9], v[6:7], off
	s_cmp_eq_u64 s[6:7], 0
	v_lshl_add_u64 v[4:5], s[6:7], 0, v[4:5]
	v_lshl_add_u64 v[6:7], v[6:7], 0, 8
	s_cselect_b64 vcc, -1, 0
	v_cndmask_b32_e32 v5, v5, v7, vcc
	v_cndmask_b32_e32 v4, v4, v6, vcc
	global_load_dwordx2 v[4:5], v[4:5], off
	s_load_dwordx2 s[4:5], s[2:3], 0x48
	s_movk_i32 s6, 0x48
	v_mov_b64_e32 v[6:7], s[10:11]
	s_cmp_eq_u32 s1, 1
	s_waitcnt vmcnt(1)
	v_subrev_co_u32_e32 v8, vcc, s16, v8
	s_nop 1
	v_subbrev_co_u32_e32 v9, vcc, 0, v9, vcc
	v_lshl_add_u64 v[22:23], v[8:9], 0, v[2:3]
	v_mad_u64_u32 v[26:27], s[0:1], v22, s6, v[6:7]
	s_waitcnt vmcnt(0)
	v_subrev_co_u32_e32 v24, vcc, s16, v4
	v_mov_b32_e32 v4, v27
	s_nop 0
	v_subbrev_co_u32_e32 v25, vcc, 0, v5, vcc
	v_mad_u64_u32 v[4:5], s[0:1], v23, s6, v[4:5]
	v_mov_b32_e32 v27, v4
	v_cmp_lt_i64_e64 s[0:1], v[22:23], v[24:25]
	s_cbranch_scc1 .LBB141_21
; %bb.16:
	v_mov_b64_e32 v[6:7], 0
	s_mov_b64 s[6:7], 0
	v_mov_b64_e32 v[28:29], v[6:7]
	v_mov_b64_e32 v[8:9], v[6:7]
	;; [unrolled: 1-line block ×5, first 2 shown]
	s_and_saveexec_b64 s[10:11], s[0:1]
	s_cbranch_execz .LBB141_20
; %bb.17:
	v_mov_b64_e32 v[6:7], 0
	v_lshl_add_u64 v[30:31], v[22:23], 2, s[8:9]
	s_mov_b64 s[12:13], 0
	s_mov_b64 s[14:15], 0x240
	v_mov_b64_e32 v[32:33], v[22:23]
	v_mov_b64_e32 v[34:35], v[26:27]
	;; [unrolled: 1-line block ×7, first 2 shown]
.LBB141_18:                             ; =>This Inner Loop Header: Depth=1
	global_load_dword v1, v[30:31], off
	global_load_dwordx4 v[36:39], v[34:35], off offset:48
	global_load_dwordx4 v[40:43], v[34:35], off offset:32
	global_load_dwordx4 v[44:47], v[34:35], off offset:16
	global_load_dwordx4 v[48:51], v[34:35], off
	global_load_dwordx2 v[64:65], v[34:35], off offset:64
	v_lshl_add_u64 v[32:33], v[32:33], 0, 8
	v_cmp_ge_i64_e32 vcc, v[32:33], v[24:25]
	v_lshl_add_u64 v[34:35], v[34:35], 0, s[14:15]
	v_lshl_add_u64 v[30:31], v[30:31], 0, 32
	s_or_b64 s[12:13], vcc, s[12:13]
	s_waitcnt vmcnt(5)
	v_subrev_u32_e32 v1, s16, v1
	v_lshl_add_u32 v52, v1, 1, v1
	v_ashrrev_i32_e32 v53, 31, v52
	s_waitcnt lgkmcnt(0)
	v_lshl_add_u64 v[66:67], v[52:53], 4, s[4:5]
	global_load_dwordx4 v[52:55], v[66:67], off
	global_load_dwordx4 v[56:59], v[66:67], off offset:16
	global_load_dwordx4 v[60:63], v[66:67], off offset:32
	s_waitcnt vmcnt(2)
	v_fmac_f64_e32 v[28:29], v[48:49], v[52:53]
	v_fmac_f64_e32 v[6:7], 0, v[52:53]
	v_fmac_f64_e32 v[20:21], v[46:47], v[52:53]
	v_fmac_f64_e32 v[8:9], 0, v[52:53]
	v_fmac_f64_e32 v[10:11], v[36:37], v[52:53]
	v_fmac_f64_e32 v[4:5], 0, v[52:53]
	v_fmac_f64_e32 v[28:29], 0x80000000, v[54:55]
	v_fmac_f64_e32 v[6:7], v[48:49], v[54:55]
	v_fmac_f64_e32 v[20:21], 0x80000000, v[54:55]
	v_fmac_f64_e32 v[8:9], v[46:47], v[54:55]
	v_fmac_f64_e32 v[10:11], 0x80000000, v[54:55]
	v_fmac_f64_e32 v[4:5], v[36:37], v[54:55]
	s_waitcnt vmcnt(1)
	v_fmac_f64_e32 v[28:29], v[50:51], v[56:57]
	v_fmac_f64_e32 v[6:7], 0, v[56:57]
	v_fmac_f64_e32 v[20:21], v[40:41], v[56:57]
	v_fmac_f64_e32 v[8:9], 0, v[56:57]
	v_fmac_f64_e32 v[10:11], v[38:39], v[56:57]
	v_fmac_f64_e32 v[4:5], 0, v[56:57]
	v_fmac_f64_e32 v[28:29], 0x80000000, v[58:59]
	v_fmac_f64_e32 v[6:7], v[50:51], v[58:59]
	v_fmac_f64_e32 v[20:21], 0x80000000, v[58:59]
	v_fmac_f64_e32 v[8:9], v[40:41], v[58:59]
	v_fmac_f64_e32 v[10:11], 0x80000000, v[58:59]
	v_fmac_f64_e32 v[4:5], v[38:39], v[58:59]
	;; [unrolled: 13-line block ×3, first 2 shown]
	s_andn2_b64 exec, exec, s[12:13]
	s_cbranch_execnz .LBB141_18
; %bb.19:
	s_or_b64 exec, exec, s[12:13]
.LBB141_20:
	s_or_b64 exec, exec, s[10:11]
	s_andn2_b64 vcc, exec, s[6:7]
	s_cbranch_vccz .LBB141_22
	s_branch .LBB141_27
.LBB141_21:
                                        ; implicit-def: $vgpr6_vgpr7
                                        ; implicit-def: $vgpr28_vgpr29
                                        ; implicit-def: $vgpr8_vgpr9
                                        ; implicit-def: $vgpr20_vgpr21
                                        ; implicit-def: $vgpr4_vgpr5
                                        ; implicit-def: $vgpr10_vgpr11
.LBB141_22:
	v_mov_b64_e32 v[6:7], 0
	v_mov_b64_e32 v[28:29], v[6:7]
	;; [unrolled: 1-line block ×6, first 2 shown]
	s_and_saveexec_b64 s[6:7], s[0:1]
	s_cbranch_execz .LBB141_26
; %bb.23:
	v_mov_b64_e32 v[6:7], 0
	v_lshl_add_u64 v[30:31], v[22:23], 2, s[8:9]
	s_mov_b64 s[0:1], 0
	s_mov_b64 s[8:9], 0x240
	v_mov_b64_e32 v[28:29], v[6:7]
	v_mov_b64_e32 v[8:9], v[6:7]
	;; [unrolled: 1-line block ×5, first 2 shown]
.LBB141_24:                             ; =>This Inner Loop Header: Depth=1
	global_load_dword v1, v[30:31], off
	global_load_dwordx4 v[32:35], v[26:27], off offset:48
	global_load_dwordx4 v[36:39], v[26:27], off offset:32
	;; [unrolled: 1-line block ×3, first 2 shown]
	global_load_dwordx4 v[44:47], v[26:27], off
	global_load_dwordx2 v[60:61], v[26:27], off offset:64
	v_lshl_add_u64 v[22:23], v[22:23], 0, 8
	v_cmp_ge_i64_e32 vcc, v[22:23], v[24:25]
	v_lshl_add_u64 v[26:27], v[26:27], 0, s[8:9]
	v_lshl_add_u64 v[30:31], v[30:31], 0, 32
	s_or_b64 s[0:1], vcc, s[0:1]
	s_waitcnt vmcnt(5)
	v_subrev_u32_e32 v1, s16, v1
	v_lshl_add_u32 v48, v1, 1, v1
	v_ashrrev_i32_e32 v49, 31, v48
	s_waitcnt lgkmcnt(0)
	v_lshl_add_u64 v[62:63], v[48:49], 4, s[4:5]
	global_load_dwordx4 v[48:51], v[62:63], off
	global_load_dwordx4 v[52:55], v[62:63], off offset:16
	global_load_dwordx4 v[56:59], v[62:63], off offset:32
	s_waitcnt vmcnt(2)
	v_fmac_f64_e32 v[28:29], v[44:45], v[48:49]
	v_fmac_f64_e32 v[6:7], 0, v[48:49]
	v_fmac_f64_e32 v[20:21], v[46:47], v[48:49]
	v_fmac_f64_e32 v[8:9], 0, v[48:49]
	v_fmac_f64_e32 v[10:11], v[40:41], v[48:49]
	v_fmac_f64_e32 v[4:5], 0, v[48:49]
	v_fmac_f64_e32 v[28:29], 0x80000000, v[50:51]
	v_fmac_f64_e32 v[6:7], v[44:45], v[50:51]
	v_fmac_f64_e32 v[20:21], 0x80000000, v[50:51]
	v_fmac_f64_e32 v[8:9], v[46:47], v[50:51]
	v_fmac_f64_e32 v[10:11], 0x80000000, v[50:51]
	v_fmac_f64_e32 v[4:5], v[40:41], v[50:51]
	s_waitcnt vmcnt(1)
	v_fmac_f64_e32 v[28:29], v[42:43], v[52:53]
	v_fmac_f64_e32 v[6:7], 0, v[52:53]
	v_fmac_f64_e32 v[20:21], v[36:37], v[52:53]
	v_fmac_f64_e32 v[8:9], 0, v[52:53]
	v_fmac_f64_e32 v[10:11], v[38:39], v[52:53]
	v_fmac_f64_e32 v[4:5], 0, v[52:53]
	v_fmac_f64_e32 v[28:29], 0x80000000, v[54:55]
	v_fmac_f64_e32 v[6:7], v[42:43], v[54:55]
	v_fmac_f64_e32 v[20:21], 0x80000000, v[54:55]
	v_fmac_f64_e32 v[8:9], v[36:37], v[54:55]
	v_fmac_f64_e32 v[10:11], 0x80000000, v[54:55]
	v_fmac_f64_e32 v[4:5], v[38:39], v[54:55]
	;; [unrolled: 13-line block ×3, first 2 shown]
	s_andn2_b64 exec, exec, s[0:1]
	s_cbranch_execnz .LBB141_24
; %bb.25:
	s_or_b64 exec, exec, s[0:1]
.LBB141_26:
	s_or_b64 exec, exec, s[6:7]
.LBB141_27:
	v_mov_b32_dpp v22, v28 row_shr:1 row_mask:0xf bank_mask:0xf
	v_mov_b32_dpp v23, v29 row_shr:1 row_mask:0xf bank_mask:0xf
	v_add_f64 v[22:23], v[28:29], v[22:23]
	v_mov_b32_dpp v26, v6 row_shr:1 row_mask:0xf bank_mask:0xf
	v_mov_b32_dpp v27, v7 row_shr:1 row_mask:0xf bank_mask:0xf
	;; [unrolled: 1-line block ×10, first 2 shown]
	v_add_f64 v[6:7], v[6:7], v[26:27]
	v_add_f64 v[20:21], v[20:21], v[28:29]
	v_add_f64 v[8:9], v[8:9], v[30:31]
	v_add_f64 v[10:11], v[10:11], v[32:33]
	v_add_f64 v[4:5], v[4:5], v[34:35]
	v_mov_b32_dpp v24, v22 row_shr:2 row_mask:0xf bank_mask:0xf
	v_mov_b32_dpp v25, v23 row_shr:2 row_mask:0xf bank_mask:0xf
	;; [unrolled: 1-line block ×12, first 2 shown]
	v_add_f64 v[22:23], v[22:23], v[24:25]
	v_add_f64 v[6:7], v[6:7], v[26:27]
	;; [unrolled: 1-line block ×6, first 2 shown]
	v_mov_b32_dpp v24, v22 row_shr:4 row_mask:0xf bank_mask:0xe
	v_mov_b32_dpp v25, v23 row_shr:4 row_mask:0xf bank_mask:0xe
	;; [unrolled: 1-line block ×12, first 2 shown]
	v_cmp_eq_u32_e32 vcc, 7, v2
	s_and_b64 exec, exec, vcc
	s_cbranch_execz .LBB141_12
; %bb.28:
	s_load_dwordx2 s[2:3], s[2:3], 0x60
	v_add_f64 v[22:23], v[22:23], v[24:25]
	v_add_f64 v[2:3], v[6:7], v[26:27]
	v_add_f64 v[24:25], v[20:21], v[28:29]
	v_add_f64 v[6:7], v[8:9], v[30:31]
	v_add_f64 v[28:29], v[4:5], v[34:35]
	v_add_f64 v[26:27], v[10:11], v[32:33]
	v_cmp_eq_f64_e32 vcc, 0, v[12:13]
	v_cmp_eq_f64_e64 s[0:1], 0, v[14:15]
	v_mul_f64 v[8:9], v[2:3], -v[18:19]
	v_mul_f64 v[10:11], v[16:17], v[2:3]
	v_lshl_add_u32 v20, v0, 1, v0
	v_mul_f64 v[4:5], v[6:7], -v[18:19]
	v_mul_f64 v[6:7], v[16:17], v[6:7]
	v_mul_f64 v[0:1], v[28:29], -v[18:19]
	v_mul_f64 v[2:3], v[16:17], v[28:29]
	s_and_b64 s[0:1], vcc, s[0:1]
	v_fmac_f64_e32 v[8:9], v[16:17], v[22:23]
	v_fmac_f64_e32 v[10:11], v[18:19], v[22:23]
	v_ashrrev_i32_e32 v21, 31, v20
	v_fmac_f64_e32 v[4:5], v[16:17], v[24:25]
	v_fmac_f64_e32 v[6:7], v[18:19], v[24:25]
	;; [unrolled: 1-line block ×4, first 2 shown]
	s_waitcnt lgkmcnt(0)
	s_and_saveexec_b64 s[4:5], s[0:1]
	s_xor_b64 s[0:1], exec, s[4:5]
	s_cbranch_execz .LBB141_30
; %bb.29:
	v_lshl_add_u64 v[12:13], v[20:21], 4, s[2:3]
	global_store_dwordx4 v[12:13], v[8:11], off
	global_store_dwordx4 v[12:13], v[4:7], off offset:16
	global_store_dwordx4 v[12:13], v[0:3], off offset:32
                                        ; implicit-def: $vgpr12_vgpr13
                                        ; implicit-def: $vgpr14_vgpr15
                                        ; implicit-def: $vgpr20
                                        ; implicit-def: $vgpr8_vgpr9
                                        ; implicit-def: $vgpr4_vgpr5
                                        ; implicit-def: $vgpr0_vgpr1
.LBB141_30:
	s_andn2_saveexec_b64 s[0:1], s[0:1]
	s_cbranch_execz .LBB141_12
; %bb.31:
	v_lshl_add_u64 v[28:29], v[20:21], 4, s[2:3]
	global_load_dwordx4 v[16:19], v[28:29], off
	global_load_dwordx4 v[20:23], v[28:29], off offset:16
	global_load_dwordx4 v[24:27], v[28:29], off offset:32
	s_waitcnt vmcnt(2)
	v_fmac_f64_e32 v[8:9], v[12:13], v[16:17]
	v_fmac_f64_e32 v[10:11], v[14:15], v[16:17]
	s_waitcnt vmcnt(1)
	v_fmac_f64_e32 v[4:5], v[12:13], v[20:21]
	v_fmac_f64_e32 v[6:7], v[14:15], v[20:21]
	;; [unrolled: 3-line block ×3, first 2 shown]
	v_fma_f64 v[8:9], -v[14:15], v[18:19], v[8:9]
	v_fmac_f64_e32 v[10:11], v[12:13], v[18:19]
	v_fma_f64 v[4:5], -v[14:15], v[22:23], v[4:5]
	v_fmac_f64_e32 v[6:7], v[12:13], v[22:23]
	;; [unrolled: 2-line block ×3, first 2 shown]
	global_store_dwordx4 v[28:29], v[8:11], off
	global_store_dwordx4 v[28:29], v[4:7], off offset:16
	global_store_dwordx4 v[28:29], v[0:3], off offset:32
	s_endpgm
	.section	.rodata,"a",@progbits
	.p2align	6, 0x0
	.amdhsa_kernel _ZN9rocsparseL18bsrxmvn_3x3_kernelILj256ELj8E21rocsparse_complex_numIdElidS2_S2_EEvT3_20rocsparse_direction_NS_24const_host_device_scalarIT1_EES3_PKS3_PKT2_SC_S9_PKT4_PKT5_S7_PT6_21rocsparse_index_base_b
		.amdhsa_group_segment_fixed_size 4096
		.amdhsa_private_segment_fixed_size 0
		.amdhsa_kernarg_size 112
		.amdhsa_user_sgpr_count 4
		.amdhsa_user_sgpr_dispatch_ptr 1
		.amdhsa_user_sgpr_queue_ptr 0
		.amdhsa_user_sgpr_kernarg_segment_ptr 1
		.amdhsa_user_sgpr_dispatch_id 0
		.amdhsa_user_sgpr_kernarg_preload_length 0
		.amdhsa_user_sgpr_kernarg_preload_offset 0
		.amdhsa_user_sgpr_private_segment_size 0
		.amdhsa_uses_dynamic_stack 0
		.amdhsa_enable_private_segment 0
		.amdhsa_system_sgpr_workgroup_id_x 1
		.amdhsa_system_sgpr_workgroup_id_y 0
		.amdhsa_system_sgpr_workgroup_id_z 0
		.amdhsa_system_sgpr_workgroup_info 0
		.amdhsa_system_vgpr_workitem_id 2
		.amdhsa_next_free_vgpr 68
		.amdhsa_next_free_sgpr 20
		.amdhsa_accum_offset 68
		.amdhsa_reserve_vcc 1
		.amdhsa_float_round_mode_32 0
		.amdhsa_float_round_mode_16_64 0
		.amdhsa_float_denorm_mode_32 3
		.amdhsa_float_denorm_mode_16_64 3
		.amdhsa_dx10_clamp 1
		.amdhsa_ieee_mode 1
		.amdhsa_fp16_overflow 0
		.amdhsa_tg_split 0
		.amdhsa_exception_fp_ieee_invalid_op 0
		.amdhsa_exception_fp_denorm_src 0
		.amdhsa_exception_fp_ieee_div_zero 0
		.amdhsa_exception_fp_ieee_overflow 0
		.amdhsa_exception_fp_ieee_underflow 0
		.amdhsa_exception_fp_ieee_inexact 0
		.amdhsa_exception_int_div_zero 0
	.end_amdhsa_kernel
	.section	.text._ZN9rocsparseL18bsrxmvn_3x3_kernelILj256ELj8E21rocsparse_complex_numIdElidS2_S2_EEvT3_20rocsparse_direction_NS_24const_host_device_scalarIT1_EES3_PKS3_PKT2_SC_S9_PKT4_PKT5_S7_PT6_21rocsparse_index_base_b,"axG",@progbits,_ZN9rocsparseL18bsrxmvn_3x3_kernelILj256ELj8E21rocsparse_complex_numIdElidS2_S2_EEvT3_20rocsparse_direction_NS_24const_host_device_scalarIT1_EES3_PKS3_PKT2_SC_S9_PKT4_PKT5_S7_PT6_21rocsparse_index_base_b,comdat
.Lfunc_end141:
	.size	_ZN9rocsparseL18bsrxmvn_3x3_kernelILj256ELj8E21rocsparse_complex_numIdElidS2_S2_EEvT3_20rocsparse_direction_NS_24const_host_device_scalarIT1_EES3_PKS3_PKT2_SC_S9_PKT4_PKT5_S7_PT6_21rocsparse_index_base_b, .Lfunc_end141-_ZN9rocsparseL18bsrxmvn_3x3_kernelILj256ELj8E21rocsparse_complex_numIdElidS2_S2_EEvT3_20rocsparse_direction_NS_24const_host_device_scalarIT1_EES3_PKS3_PKT2_SC_S9_PKT4_PKT5_S7_PT6_21rocsparse_index_base_b
                                        ; -- End function
	.section	.AMDGPU.csdata,"",@progbits
; Kernel info:
; codeLenInByte = 2244
; NumSgprs: 26
; NumVgprs: 68
; NumAgprs: 0
; TotalNumVgprs: 68
; ScratchSize: 0
; MemoryBound: 0
; FloatMode: 240
; IeeeMode: 1
; LDSByteSize: 4096 bytes/workgroup (compile time only)
; SGPRBlocks: 3
; VGPRBlocks: 8
; NumSGPRsForWavesPerEU: 26
; NumVGPRsForWavesPerEU: 68
; AccumOffset: 68
; Occupancy: 7
; WaveLimiterHint : 1
; COMPUTE_PGM_RSRC2:SCRATCH_EN: 0
; COMPUTE_PGM_RSRC2:USER_SGPR: 4
; COMPUTE_PGM_RSRC2:TRAP_HANDLER: 0
; COMPUTE_PGM_RSRC2:TGID_X_EN: 1
; COMPUTE_PGM_RSRC2:TGID_Y_EN: 0
; COMPUTE_PGM_RSRC2:TGID_Z_EN: 0
; COMPUTE_PGM_RSRC2:TIDIG_COMP_CNT: 2
; COMPUTE_PGM_RSRC3_GFX90A:ACCUM_OFFSET: 16
; COMPUTE_PGM_RSRC3_GFX90A:TG_SPLIT: 0
	.section	.text._ZN9rocsparseL18bsrxmvn_3x3_kernelILj256ELj16E21rocsparse_complex_numIdElidS2_S2_EEvT3_20rocsparse_direction_NS_24const_host_device_scalarIT1_EES3_PKS3_PKT2_SC_S9_PKT4_PKT5_S7_PT6_21rocsparse_index_base_b,"axG",@progbits,_ZN9rocsparseL18bsrxmvn_3x3_kernelILj256ELj16E21rocsparse_complex_numIdElidS2_S2_EEvT3_20rocsparse_direction_NS_24const_host_device_scalarIT1_EES3_PKS3_PKT2_SC_S9_PKT4_PKT5_S7_PT6_21rocsparse_index_base_b,comdat
	.globl	_ZN9rocsparseL18bsrxmvn_3x3_kernelILj256ELj16E21rocsparse_complex_numIdElidS2_S2_EEvT3_20rocsparse_direction_NS_24const_host_device_scalarIT1_EES3_PKS3_PKT2_SC_S9_PKT4_PKT5_S7_PT6_21rocsparse_index_base_b ; -- Begin function _ZN9rocsparseL18bsrxmvn_3x3_kernelILj256ELj16E21rocsparse_complex_numIdElidS2_S2_EEvT3_20rocsparse_direction_NS_24const_host_device_scalarIT1_EES3_PKS3_PKT2_SC_S9_PKT4_PKT5_S7_PT6_21rocsparse_index_base_b
	.p2align	8
	.type	_ZN9rocsparseL18bsrxmvn_3x3_kernelILj256ELj16E21rocsparse_complex_numIdElidS2_S2_EEvT3_20rocsparse_direction_NS_24const_host_device_scalarIT1_EES3_PKS3_PKT2_SC_S9_PKT4_PKT5_S7_PT6_21rocsparse_index_base_b,@function
_ZN9rocsparseL18bsrxmvn_3x3_kernelILj256ELj16E21rocsparse_complex_numIdElidS2_S2_EEvT3_20rocsparse_direction_NS_24const_host_device_scalarIT1_EES3_PKS3_PKT2_SC_S9_PKT4_PKT5_S7_PT6_21rocsparse_index_base_b: ; @_ZN9rocsparseL18bsrxmvn_3x3_kernelILj256ELj16E21rocsparse_complex_numIdElidS2_S2_EEvT3_20rocsparse_direction_NS_24const_host_device_scalarIT1_EES3_PKS3_PKT2_SC_S9_PKT4_PKT5_S7_PT6_21rocsparse_index_base_b
; %bb.0:
	s_load_dwordx2 s[16:17], s[2:3], 0x68
	s_load_dwordx4 s[8:11], s[2:3], 0x8
	s_load_dwordx2 s[18:19], s[0:1], 0x4
	s_load_dwordx4 s[12:15], s[2:3], 0x50
	s_mov_b64 s[6:7], src_shared_base
	v_and_b32_e32 v2, 0x3ff, v0
	s_waitcnt lgkmcnt(0)
	s_bitcmp1_b32 s17, 0
	s_cselect_b64 s[0:1], -1, 0
	s_and_b64 vcc, s[0:1], exec
	s_cselect_b32 s5, s7, s9
	s_lshr_b32 s6, s18, 16
	s_mul_i32 s6, s6, s19
	v_mul_lo_u32 v3, s6, v2
	v_bfe_u32 v4, v0, 10, 10
	v_mad_u32_u24 v3, v4, s19, v3
	v_bfe_u32 v0, v0, 20, 10
	v_add_lshl_u32 v0, v3, v0, 3
	v_mov_b32_e32 v1, s8
	v_add_u32_e32 v3, 0x800, v0
	v_mov_b64_e32 v[4:5], s[8:9]
	v_mov_b64_e32 v[6:7], s[12:13]
	ds_write2st64_b64 v0, v[6:7], v[4:5] offset1:4
	v_cndmask_b32_e64 v4, v1, v3, s[0:1]
	v_mov_b32_e32 v5, s5
	flat_load_dwordx2 v[16:17], v[4:5]
	s_xor_b64 s[18:19], s[0:1], -1
	v_mov_b64_e32 v[18:19], s[10:11]
	s_cbranch_vccnz .LBB142_2
; %bb.1:
	v_mov_b64_e32 v[4:5], s[8:9]
	flat_load_dwordx2 v[18:19], v[4:5] offset:8
.LBB142_2:
	s_and_b64 s[8:9], s[0:1], exec
	s_cselect_b32 s5, s7, s13
	v_mov_b32_e32 v1, s12
	v_cndmask_b32_e64 v0, v1, v0, s[0:1]
	v_mov_b32_e32 v1, s5
	flat_load_dwordx2 v[12:13], v[0:1]
	s_andn2_b64 vcc, exec, s[18:19]
	v_mov_b64_e32 v[14:15], s[14:15]
	s_cbranch_vccnz .LBB142_4
; %bb.3:
	v_mov_b64_e32 v[0:1], s[12:13]
	flat_load_dwordx2 v[14:15], v[0:1] offset:8
.LBB142_4:
	s_waitcnt vmcnt(0) lgkmcnt(0)
	v_cmp_eq_f64_e32 vcc, 0, v[16:17]
	v_cmp_eq_f64_e64 s[0:1], 0, v[18:19]
	s_and_b64 s[8:9], vcc, s[0:1]
	s_mov_b64 s[0:1], -1
	s_and_saveexec_b64 s[6:7], s[8:9]
; %bb.5:
	v_cmp_neq_f64_e32 vcc, 1.0, v[12:13]
	v_cmp_neq_f64_e64 s[0:1], 0, v[14:15]
	s_or_b64 s[0:1], vcc, s[0:1]
	s_orn2_b64 s[0:1], s[0:1], exec
; %bb.6:
	s_or_b64 exec, exec, s[6:7]
	s_and_saveexec_b64 s[6:7], s[0:1]
	s_cbranch_execz .LBB142_12
; %bb.7:
	s_load_dwordx2 s[6:7], s[2:3], 0x20
	s_load_dwordx2 s[0:1], s[2:3], 0x0
	v_lshrrev_b32_e32 v0, 4, v2
	v_lshl_or_b32 v0, s4, 4, v0
	s_mov_b64 s[4:5], 0
	s_waitcnt lgkmcnt(0)
	s_cmp_lg_u64 s[6:7], 0
	s_cbranch_scc0 .LBB142_13
; %bb.8:
	s_load_dword s8, s[2:3], 0x18
                                        ; implicit-def: $vgpr1
	s_waitcnt lgkmcnt(0)
	v_cmp_gt_i32_e32 vcc, s8, v0
	s_and_saveexec_b64 s[8:9], vcc
	s_xor_b64 s[8:9], exec, s[8:9]
	s_cbranch_execz .LBB142_10
; %bb.9:
	v_ashrrev_i32_e32 v1, 31, v0
	v_lshl_add_u64 v[4:5], v[0:1], 2, s[6:7]
	global_load_dword v1, v[4:5], off
	s_mov_b64 s[4:5], exec
	s_waitcnt vmcnt(0)
	v_subrev_u32_e32 v1, s16, v1
.LBB142_10:
	s_or_b64 exec, exec, s[8:9]
	s_branch .LBB142_14
.LBB142_11:
	v_cmp_gt_i32_e32 vcc, s0, v0
	s_andn2_b64 s[4:5], s[4:5], exec
	s_and_b64 s[6:7], vcc, exec
	s_or_b64 s[4:5], s[4:5], s[6:7]
	s_and_b64 exec, exec, s[4:5]
	s_cbranch_execnz .LBB142_15
.LBB142_12:
	s_endpgm
.LBB142_13:
                                        ; implicit-def: $vgpr1
	s_cbranch_execnz .LBB142_11
.LBB142_14:
	v_mov_b32_e32 v0, v1
	s_and_b64 exec, exec, s[4:5]
	s_cbranch_execz .LBB142_12
.LBB142_15:
	s_load_dwordx8 s[4:11], s[2:3], 0x28
	v_ashrrev_i32_e32 v1, 31, v0
	v_lshlrev_b64 v[4:5], 3, v[0:1]
	v_and_b32_e32 v2, 15, v2
	v_mov_b32_e32 v3, 0
	s_waitcnt lgkmcnt(0)
	v_lshl_add_u64 v[6:7], s[4:5], 0, v[4:5]
	global_load_dwordx2 v[8:9], v[6:7], off
	s_cmp_eq_u64 s[6:7], 0
	v_lshl_add_u64 v[4:5], s[6:7], 0, v[4:5]
	v_lshl_add_u64 v[6:7], v[6:7], 0, 8
	s_cselect_b64 vcc, -1, 0
	v_cndmask_b32_e32 v5, v5, v7, vcc
	v_cndmask_b32_e32 v4, v4, v6, vcc
	global_load_dwordx2 v[4:5], v[4:5], off
	s_load_dwordx2 s[4:5], s[2:3], 0x48
	s_movk_i32 s6, 0x48
	v_mov_b64_e32 v[6:7], s[10:11]
	s_cmp_eq_u32 s1, 1
	s_waitcnt vmcnt(1)
	v_subrev_co_u32_e32 v8, vcc, s16, v8
	s_nop 1
	v_subbrev_co_u32_e32 v9, vcc, 0, v9, vcc
	v_lshl_add_u64 v[22:23], v[8:9], 0, v[2:3]
	v_mad_u64_u32 v[26:27], s[0:1], v22, s6, v[6:7]
	s_waitcnt vmcnt(0)
	v_subrev_co_u32_e32 v24, vcc, s16, v4
	v_mov_b32_e32 v4, v27
	s_nop 0
	v_subbrev_co_u32_e32 v25, vcc, 0, v5, vcc
	v_mad_u64_u32 v[4:5], s[0:1], v23, s6, v[4:5]
	v_mov_b32_e32 v27, v4
	v_cmp_lt_i64_e64 s[0:1], v[22:23], v[24:25]
	s_cbranch_scc1 .LBB142_21
; %bb.16:
	v_mov_b64_e32 v[10:11], 0
	s_mov_b64 s[6:7], 0
	v_mov_b64_e32 v[28:29], v[10:11]
	v_mov_b64_e32 v[8:9], v[10:11]
	;; [unrolled: 1-line block ×5, first 2 shown]
	s_and_saveexec_b64 s[10:11], s[0:1]
	s_cbranch_execz .LBB142_20
; %bb.17:
	v_mov_b64_e32 v[10:11], 0
	v_lshl_add_u64 v[30:31], v[22:23], 2, s[8:9]
	s_mov_b64 s[12:13], 0
	s_mov_b64 s[14:15], 0x480
	v_mov_b64_e32 v[32:33], v[22:23]
	v_mov_b64_e32 v[34:35], v[26:27]
	;; [unrolled: 1-line block ×7, first 2 shown]
.LBB142_18:                             ; =>This Inner Loop Header: Depth=1
	global_load_dword v1, v[30:31], off
	global_load_dwordx4 v[36:39], v[34:35], off offset:48
	global_load_dwordx4 v[40:43], v[34:35], off offset:32
	global_load_dwordx4 v[44:47], v[34:35], off offset:16
	global_load_dwordx4 v[48:51], v[34:35], off
	global_load_dwordx2 v[64:65], v[34:35], off offset:64
	v_lshl_add_u64 v[32:33], v[32:33], 0, 16
	v_cmp_ge_i64_e32 vcc, v[32:33], v[24:25]
	v_lshl_add_u64 v[34:35], v[34:35], 0, s[14:15]
	v_lshl_add_u64 v[30:31], v[30:31], 0, 64
	s_or_b64 s[12:13], vcc, s[12:13]
	s_waitcnt vmcnt(5)
	v_subrev_u32_e32 v1, s16, v1
	v_lshl_add_u32 v52, v1, 1, v1
	v_ashrrev_i32_e32 v53, 31, v52
	s_waitcnt lgkmcnt(0)
	v_lshl_add_u64 v[66:67], v[52:53], 4, s[4:5]
	global_load_dwordx4 v[52:55], v[66:67], off
	global_load_dwordx4 v[56:59], v[66:67], off offset:16
	global_load_dwordx4 v[60:63], v[66:67], off offset:32
	s_waitcnt vmcnt(2)
	v_fmac_f64_e32 v[28:29], v[48:49], v[52:53]
	v_fmac_f64_e32 v[10:11], 0, v[52:53]
	v_fmac_f64_e32 v[20:21], v[46:47], v[52:53]
	v_fmac_f64_e32 v[8:9], 0, v[52:53]
	v_fmac_f64_e32 v[6:7], v[36:37], v[52:53]
	v_fmac_f64_e32 v[4:5], 0, v[52:53]
	v_fmac_f64_e32 v[28:29], 0x80000000, v[54:55]
	v_fmac_f64_e32 v[10:11], v[48:49], v[54:55]
	v_fmac_f64_e32 v[20:21], 0x80000000, v[54:55]
	v_fmac_f64_e32 v[8:9], v[46:47], v[54:55]
	v_fmac_f64_e32 v[6:7], 0x80000000, v[54:55]
	v_fmac_f64_e32 v[4:5], v[36:37], v[54:55]
	s_waitcnt vmcnt(1)
	v_fmac_f64_e32 v[28:29], v[50:51], v[56:57]
	v_fmac_f64_e32 v[10:11], 0, v[56:57]
	v_fmac_f64_e32 v[20:21], v[40:41], v[56:57]
	v_fmac_f64_e32 v[8:9], 0, v[56:57]
	v_fmac_f64_e32 v[6:7], v[38:39], v[56:57]
	v_fmac_f64_e32 v[4:5], 0, v[56:57]
	v_fmac_f64_e32 v[28:29], 0x80000000, v[58:59]
	v_fmac_f64_e32 v[10:11], v[50:51], v[58:59]
	v_fmac_f64_e32 v[20:21], 0x80000000, v[58:59]
	v_fmac_f64_e32 v[8:9], v[40:41], v[58:59]
	v_fmac_f64_e32 v[6:7], 0x80000000, v[58:59]
	v_fmac_f64_e32 v[4:5], v[38:39], v[58:59]
	;; [unrolled: 13-line block ×3, first 2 shown]
	s_andn2_b64 exec, exec, s[12:13]
	s_cbranch_execnz .LBB142_18
; %bb.19:
	s_or_b64 exec, exec, s[12:13]
.LBB142_20:
	s_or_b64 exec, exec, s[10:11]
	s_andn2_b64 vcc, exec, s[6:7]
	s_cbranch_vccz .LBB142_22
	s_branch .LBB142_27
.LBB142_21:
                                        ; implicit-def: $vgpr10_vgpr11
                                        ; implicit-def: $vgpr28_vgpr29
                                        ; implicit-def: $vgpr8_vgpr9
                                        ; implicit-def: $vgpr20_vgpr21
                                        ; implicit-def: $vgpr4_vgpr5
                                        ; implicit-def: $vgpr6_vgpr7
.LBB142_22:
	v_mov_b64_e32 v[10:11], 0
	v_mov_b64_e32 v[28:29], v[10:11]
	;; [unrolled: 1-line block ×6, first 2 shown]
	s_and_saveexec_b64 s[6:7], s[0:1]
	s_cbranch_execz .LBB142_26
; %bb.23:
	v_mov_b64_e32 v[10:11], 0
	v_lshl_add_u64 v[30:31], v[22:23], 2, s[8:9]
	s_mov_b64 s[0:1], 0
	s_mov_b64 s[8:9], 0x480
	v_mov_b64_e32 v[28:29], v[10:11]
	v_mov_b64_e32 v[8:9], v[10:11]
	;; [unrolled: 1-line block ×5, first 2 shown]
.LBB142_24:                             ; =>This Inner Loop Header: Depth=1
	global_load_dword v1, v[30:31], off
	global_load_dwordx4 v[32:35], v[26:27], off offset:48
	global_load_dwordx4 v[36:39], v[26:27], off offset:32
	;; [unrolled: 1-line block ×3, first 2 shown]
	global_load_dwordx4 v[44:47], v[26:27], off
	global_load_dwordx2 v[60:61], v[26:27], off offset:64
	v_lshl_add_u64 v[22:23], v[22:23], 0, 16
	v_cmp_ge_i64_e32 vcc, v[22:23], v[24:25]
	v_lshl_add_u64 v[26:27], v[26:27], 0, s[8:9]
	v_lshl_add_u64 v[30:31], v[30:31], 0, 64
	s_or_b64 s[0:1], vcc, s[0:1]
	s_waitcnt vmcnt(5)
	v_subrev_u32_e32 v1, s16, v1
	v_lshl_add_u32 v48, v1, 1, v1
	v_ashrrev_i32_e32 v49, 31, v48
	s_waitcnt lgkmcnt(0)
	v_lshl_add_u64 v[62:63], v[48:49], 4, s[4:5]
	global_load_dwordx4 v[48:51], v[62:63], off
	global_load_dwordx4 v[52:55], v[62:63], off offset:16
	global_load_dwordx4 v[56:59], v[62:63], off offset:32
	s_waitcnt vmcnt(2)
	v_fmac_f64_e32 v[28:29], v[44:45], v[48:49]
	v_fmac_f64_e32 v[10:11], 0, v[48:49]
	v_fmac_f64_e32 v[20:21], v[46:47], v[48:49]
	v_fmac_f64_e32 v[8:9], 0, v[48:49]
	v_fmac_f64_e32 v[6:7], v[40:41], v[48:49]
	v_fmac_f64_e32 v[4:5], 0, v[48:49]
	v_fmac_f64_e32 v[28:29], 0x80000000, v[50:51]
	v_fmac_f64_e32 v[10:11], v[44:45], v[50:51]
	v_fmac_f64_e32 v[20:21], 0x80000000, v[50:51]
	v_fmac_f64_e32 v[8:9], v[46:47], v[50:51]
	v_fmac_f64_e32 v[6:7], 0x80000000, v[50:51]
	v_fmac_f64_e32 v[4:5], v[40:41], v[50:51]
	s_waitcnt vmcnt(1)
	v_fmac_f64_e32 v[28:29], v[42:43], v[52:53]
	v_fmac_f64_e32 v[10:11], 0, v[52:53]
	v_fmac_f64_e32 v[20:21], v[36:37], v[52:53]
	v_fmac_f64_e32 v[8:9], 0, v[52:53]
	v_fmac_f64_e32 v[6:7], v[38:39], v[52:53]
	v_fmac_f64_e32 v[4:5], 0, v[52:53]
	v_fmac_f64_e32 v[28:29], 0x80000000, v[54:55]
	v_fmac_f64_e32 v[10:11], v[42:43], v[54:55]
	v_fmac_f64_e32 v[20:21], 0x80000000, v[54:55]
	v_fmac_f64_e32 v[8:9], v[36:37], v[54:55]
	v_fmac_f64_e32 v[6:7], 0x80000000, v[54:55]
	v_fmac_f64_e32 v[4:5], v[38:39], v[54:55]
	;; [unrolled: 13-line block ×3, first 2 shown]
	s_andn2_b64 exec, exec, s[0:1]
	s_cbranch_execnz .LBB142_24
; %bb.25:
	s_or_b64 exec, exec, s[0:1]
.LBB142_26:
	s_or_b64 exec, exec, s[6:7]
.LBB142_27:
	v_mov_b32_dpp v22, v28 row_shr:1 row_mask:0xf bank_mask:0xf
	v_mov_b32_dpp v23, v29 row_shr:1 row_mask:0xf bank_mask:0xf
	v_add_f64 v[22:23], v[28:29], v[22:23]
	v_mov_b32_dpp v26, v10 row_shr:1 row_mask:0xf bank_mask:0xf
	v_mov_b32_dpp v27, v11 row_shr:1 row_mask:0xf bank_mask:0xf
	;; [unrolled: 1-line block ×10, first 2 shown]
	v_add_f64 v[10:11], v[10:11], v[26:27]
	v_add_f64 v[20:21], v[20:21], v[28:29]
	v_add_f64 v[8:9], v[8:9], v[30:31]
	v_add_f64 v[6:7], v[6:7], v[32:33]
	v_add_f64 v[4:5], v[4:5], v[34:35]
	v_mov_b32_dpp v24, v22 row_shr:2 row_mask:0xf bank_mask:0xf
	v_mov_b32_dpp v25, v23 row_shr:2 row_mask:0xf bank_mask:0xf
	;; [unrolled: 1-line block ×12, first 2 shown]
	v_add_f64 v[22:23], v[22:23], v[24:25]
	v_add_f64 v[10:11], v[10:11], v[26:27]
	;; [unrolled: 1-line block ×6, first 2 shown]
	v_mov_b32_dpp v24, v22 row_shr:4 row_mask:0xf bank_mask:0xe
	v_mov_b32_dpp v25, v23 row_shr:4 row_mask:0xf bank_mask:0xe
	;; [unrolled: 1-line block ×12, first 2 shown]
	v_add_f64 v[22:23], v[22:23], v[24:25]
	v_add_f64 v[10:11], v[10:11], v[26:27]
	;; [unrolled: 1-line block ×6, first 2 shown]
	v_mov_b32_dpp v24, v22 row_shr:8 row_mask:0xf bank_mask:0xc
	v_mov_b32_dpp v25, v23 row_shr:8 row_mask:0xf bank_mask:0xc
	;; [unrolled: 1-line block ×12, first 2 shown]
	v_cmp_eq_u32_e32 vcc, 15, v2
	s_and_b64 exec, exec, vcc
	s_cbranch_execz .LBB142_12
; %bb.28:
	s_load_dwordx2 s[2:3], s[2:3], 0x60
	v_add_f64 v[2:3], v[10:11], v[26:27]
	v_add_f64 v[26:27], v[8:9], v[30:31]
	;; [unrolled: 1-line block ×6, first 2 shown]
	v_cmp_eq_f64_e32 vcc, 0, v[12:13]
	v_cmp_eq_f64_e64 s[0:1], 0, v[14:15]
	v_mul_f64 v[8:9], v[2:3], -v[18:19]
	v_mul_f64 v[10:11], v[16:17], v[2:3]
	v_lshl_add_u32 v20, v0, 1, v0
	v_mul_f64 v[4:5], v[26:27], -v[18:19]
	v_mul_f64 v[6:7], v[16:17], v[26:27]
	v_mul_f64 v[0:1], v[30:31], -v[18:19]
	v_mul_f64 v[2:3], v[16:17], v[30:31]
	s_and_b64 s[0:1], vcc, s[0:1]
	v_fmac_f64_e32 v[8:9], v[16:17], v[22:23]
	v_fmac_f64_e32 v[10:11], v[18:19], v[22:23]
	v_ashrrev_i32_e32 v21, 31, v20
	v_fmac_f64_e32 v[4:5], v[16:17], v[24:25]
	v_fmac_f64_e32 v[6:7], v[18:19], v[24:25]
	v_fmac_f64_e32 v[0:1], v[16:17], v[28:29]
	v_fmac_f64_e32 v[2:3], v[18:19], v[28:29]
	s_waitcnt lgkmcnt(0)
	s_and_saveexec_b64 s[4:5], s[0:1]
	s_xor_b64 s[0:1], exec, s[4:5]
	s_cbranch_execz .LBB142_30
; %bb.29:
	v_lshl_add_u64 v[12:13], v[20:21], 4, s[2:3]
	global_store_dwordx4 v[12:13], v[8:11], off
	global_store_dwordx4 v[12:13], v[4:7], off offset:16
	global_store_dwordx4 v[12:13], v[0:3], off offset:32
                                        ; implicit-def: $vgpr12_vgpr13
                                        ; implicit-def: $vgpr14_vgpr15
                                        ; implicit-def: $vgpr20
                                        ; implicit-def: $vgpr8_vgpr9
                                        ; implicit-def: $vgpr4_vgpr5
                                        ; implicit-def: $vgpr0_vgpr1
.LBB142_30:
	s_andn2_saveexec_b64 s[0:1], s[0:1]
	s_cbranch_execz .LBB142_12
; %bb.31:
	v_lshl_add_u64 v[28:29], v[20:21], 4, s[2:3]
	global_load_dwordx4 v[16:19], v[28:29], off
	global_load_dwordx4 v[20:23], v[28:29], off offset:16
	global_load_dwordx4 v[24:27], v[28:29], off offset:32
	s_waitcnt vmcnt(2)
	v_fmac_f64_e32 v[8:9], v[12:13], v[16:17]
	v_fmac_f64_e32 v[10:11], v[14:15], v[16:17]
	s_waitcnt vmcnt(1)
	v_fmac_f64_e32 v[4:5], v[12:13], v[20:21]
	v_fmac_f64_e32 v[6:7], v[14:15], v[20:21]
	;; [unrolled: 3-line block ×3, first 2 shown]
	v_fma_f64 v[8:9], -v[14:15], v[18:19], v[8:9]
	v_fmac_f64_e32 v[10:11], v[12:13], v[18:19]
	v_fma_f64 v[4:5], -v[14:15], v[22:23], v[4:5]
	v_fmac_f64_e32 v[6:7], v[12:13], v[22:23]
	;; [unrolled: 2-line block ×3, first 2 shown]
	global_store_dwordx4 v[28:29], v[8:11], off
	global_store_dwordx4 v[28:29], v[4:7], off offset:16
	global_store_dwordx4 v[28:29], v[0:3], off offset:32
	s_endpgm
	.section	.rodata,"a",@progbits
	.p2align	6, 0x0
	.amdhsa_kernel _ZN9rocsparseL18bsrxmvn_3x3_kernelILj256ELj16E21rocsparse_complex_numIdElidS2_S2_EEvT3_20rocsparse_direction_NS_24const_host_device_scalarIT1_EES3_PKS3_PKT2_SC_S9_PKT4_PKT5_S7_PT6_21rocsparse_index_base_b
		.amdhsa_group_segment_fixed_size 4096
		.amdhsa_private_segment_fixed_size 0
		.amdhsa_kernarg_size 112
		.amdhsa_user_sgpr_count 4
		.amdhsa_user_sgpr_dispatch_ptr 1
		.amdhsa_user_sgpr_queue_ptr 0
		.amdhsa_user_sgpr_kernarg_segment_ptr 1
		.amdhsa_user_sgpr_dispatch_id 0
		.amdhsa_user_sgpr_kernarg_preload_length 0
		.amdhsa_user_sgpr_kernarg_preload_offset 0
		.amdhsa_user_sgpr_private_segment_size 0
		.amdhsa_uses_dynamic_stack 0
		.amdhsa_enable_private_segment 0
		.amdhsa_system_sgpr_workgroup_id_x 1
		.amdhsa_system_sgpr_workgroup_id_y 0
		.amdhsa_system_sgpr_workgroup_id_z 0
		.amdhsa_system_sgpr_workgroup_info 0
		.amdhsa_system_vgpr_workitem_id 2
		.amdhsa_next_free_vgpr 68
		.amdhsa_next_free_sgpr 20
		.amdhsa_accum_offset 68
		.amdhsa_reserve_vcc 1
		.amdhsa_float_round_mode_32 0
		.amdhsa_float_round_mode_16_64 0
		.amdhsa_float_denorm_mode_32 3
		.amdhsa_float_denorm_mode_16_64 3
		.amdhsa_dx10_clamp 1
		.amdhsa_ieee_mode 1
		.amdhsa_fp16_overflow 0
		.amdhsa_tg_split 0
		.amdhsa_exception_fp_ieee_invalid_op 0
		.amdhsa_exception_fp_denorm_src 0
		.amdhsa_exception_fp_ieee_div_zero 0
		.amdhsa_exception_fp_ieee_overflow 0
		.amdhsa_exception_fp_ieee_underflow 0
		.amdhsa_exception_fp_ieee_inexact 0
		.amdhsa_exception_int_div_zero 0
	.end_amdhsa_kernel
	.section	.text._ZN9rocsparseL18bsrxmvn_3x3_kernelILj256ELj16E21rocsparse_complex_numIdElidS2_S2_EEvT3_20rocsparse_direction_NS_24const_host_device_scalarIT1_EES3_PKS3_PKT2_SC_S9_PKT4_PKT5_S7_PT6_21rocsparse_index_base_b,"axG",@progbits,_ZN9rocsparseL18bsrxmvn_3x3_kernelILj256ELj16E21rocsparse_complex_numIdElidS2_S2_EEvT3_20rocsparse_direction_NS_24const_host_device_scalarIT1_EES3_PKS3_PKT2_SC_S9_PKT4_PKT5_S7_PT6_21rocsparse_index_base_b,comdat
.Lfunc_end142:
	.size	_ZN9rocsparseL18bsrxmvn_3x3_kernelILj256ELj16E21rocsparse_complex_numIdElidS2_S2_EEvT3_20rocsparse_direction_NS_24const_host_device_scalarIT1_EES3_PKS3_PKT2_SC_S9_PKT4_PKT5_S7_PT6_21rocsparse_index_base_b, .Lfunc_end142-_ZN9rocsparseL18bsrxmvn_3x3_kernelILj256ELj16E21rocsparse_complex_numIdElidS2_S2_EEvT3_20rocsparse_direction_NS_24const_host_device_scalarIT1_EES3_PKS3_PKT2_SC_S9_PKT4_PKT5_S7_PT6_21rocsparse_index_base_b
                                        ; -- End function
	.section	.AMDGPU.csdata,"",@progbits
; Kernel info:
; codeLenInByte = 2388
; NumSgprs: 26
; NumVgprs: 68
; NumAgprs: 0
; TotalNumVgprs: 68
; ScratchSize: 0
; MemoryBound: 0
; FloatMode: 240
; IeeeMode: 1
; LDSByteSize: 4096 bytes/workgroup (compile time only)
; SGPRBlocks: 3
; VGPRBlocks: 8
; NumSGPRsForWavesPerEU: 26
; NumVGPRsForWavesPerEU: 68
; AccumOffset: 68
; Occupancy: 7
; WaveLimiterHint : 1
; COMPUTE_PGM_RSRC2:SCRATCH_EN: 0
; COMPUTE_PGM_RSRC2:USER_SGPR: 4
; COMPUTE_PGM_RSRC2:TRAP_HANDLER: 0
; COMPUTE_PGM_RSRC2:TGID_X_EN: 1
; COMPUTE_PGM_RSRC2:TGID_Y_EN: 0
; COMPUTE_PGM_RSRC2:TGID_Z_EN: 0
; COMPUTE_PGM_RSRC2:TIDIG_COMP_CNT: 2
; COMPUTE_PGM_RSRC3_GFX90A:ACCUM_OFFSET: 16
; COMPUTE_PGM_RSRC3_GFX90A:TG_SPLIT: 0
	.section	.text._ZN9rocsparseL18bsrxmvn_3x3_kernelILj256ELj32E21rocsparse_complex_numIdElidS2_S2_EEvT3_20rocsparse_direction_NS_24const_host_device_scalarIT1_EES3_PKS3_PKT2_SC_S9_PKT4_PKT5_S7_PT6_21rocsparse_index_base_b,"axG",@progbits,_ZN9rocsparseL18bsrxmvn_3x3_kernelILj256ELj32E21rocsparse_complex_numIdElidS2_S2_EEvT3_20rocsparse_direction_NS_24const_host_device_scalarIT1_EES3_PKS3_PKT2_SC_S9_PKT4_PKT5_S7_PT6_21rocsparse_index_base_b,comdat
	.globl	_ZN9rocsparseL18bsrxmvn_3x3_kernelILj256ELj32E21rocsparse_complex_numIdElidS2_S2_EEvT3_20rocsparse_direction_NS_24const_host_device_scalarIT1_EES3_PKS3_PKT2_SC_S9_PKT4_PKT5_S7_PT6_21rocsparse_index_base_b ; -- Begin function _ZN9rocsparseL18bsrxmvn_3x3_kernelILj256ELj32E21rocsparse_complex_numIdElidS2_S2_EEvT3_20rocsparse_direction_NS_24const_host_device_scalarIT1_EES3_PKS3_PKT2_SC_S9_PKT4_PKT5_S7_PT6_21rocsparse_index_base_b
	.p2align	8
	.type	_ZN9rocsparseL18bsrxmvn_3x3_kernelILj256ELj32E21rocsparse_complex_numIdElidS2_S2_EEvT3_20rocsparse_direction_NS_24const_host_device_scalarIT1_EES3_PKS3_PKT2_SC_S9_PKT4_PKT5_S7_PT6_21rocsparse_index_base_b,@function
_ZN9rocsparseL18bsrxmvn_3x3_kernelILj256ELj32E21rocsparse_complex_numIdElidS2_S2_EEvT3_20rocsparse_direction_NS_24const_host_device_scalarIT1_EES3_PKS3_PKT2_SC_S9_PKT4_PKT5_S7_PT6_21rocsparse_index_base_b: ; @_ZN9rocsparseL18bsrxmvn_3x3_kernelILj256ELj32E21rocsparse_complex_numIdElidS2_S2_EEvT3_20rocsparse_direction_NS_24const_host_device_scalarIT1_EES3_PKS3_PKT2_SC_S9_PKT4_PKT5_S7_PT6_21rocsparse_index_base_b
; %bb.0:
	s_load_dwordx2 s[16:17], s[2:3], 0x68
	s_load_dwordx4 s[8:11], s[2:3], 0x8
	s_load_dwordx2 s[18:19], s[0:1], 0x4
	s_load_dwordx4 s[12:15], s[2:3], 0x50
	s_mov_b64 s[6:7], src_shared_base
	v_and_b32_e32 v2, 0x3ff, v0
	s_waitcnt lgkmcnt(0)
	s_bitcmp1_b32 s17, 0
	s_cselect_b64 s[0:1], -1, 0
	s_and_b64 vcc, s[0:1], exec
	s_cselect_b32 s5, s7, s9
	s_lshr_b32 s6, s18, 16
	s_mul_i32 s6, s6, s19
	v_mul_lo_u32 v3, s6, v2
	v_bfe_u32 v4, v0, 10, 10
	v_mad_u32_u24 v3, v4, s19, v3
	v_bfe_u32 v0, v0, 20, 10
	v_add_lshl_u32 v0, v3, v0, 3
	v_mov_b32_e32 v1, s8
	v_add_u32_e32 v3, 0x800, v0
	v_mov_b64_e32 v[4:5], s[8:9]
	v_mov_b64_e32 v[6:7], s[12:13]
	ds_write2st64_b64 v0, v[6:7], v[4:5] offset1:4
	v_cndmask_b32_e64 v4, v1, v3, s[0:1]
	v_mov_b32_e32 v5, s5
	flat_load_dwordx2 v[16:17], v[4:5]
	s_xor_b64 s[18:19], s[0:1], -1
	v_mov_b64_e32 v[18:19], s[10:11]
	s_cbranch_vccnz .LBB143_2
; %bb.1:
	v_mov_b64_e32 v[4:5], s[8:9]
	flat_load_dwordx2 v[18:19], v[4:5] offset:8
.LBB143_2:
	s_and_b64 s[8:9], s[0:1], exec
	s_cselect_b32 s5, s7, s13
	v_mov_b32_e32 v1, s12
	v_cndmask_b32_e64 v0, v1, v0, s[0:1]
	v_mov_b32_e32 v1, s5
	flat_load_dwordx2 v[12:13], v[0:1]
	s_andn2_b64 vcc, exec, s[18:19]
	v_mov_b64_e32 v[14:15], s[14:15]
	s_cbranch_vccnz .LBB143_4
; %bb.3:
	v_mov_b64_e32 v[0:1], s[12:13]
	flat_load_dwordx2 v[14:15], v[0:1] offset:8
.LBB143_4:
	s_waitcnt vmcnt(0) lgkmcnt(0)
	v_cmp_eq_f64_e32 vcc, 0, v[16:17]
	v_cmp_eq_f64_e64 s[0:1], 0, v[18:19]
	s_and_b64 s[8:9], vcc, s[0:1]
	s_mov_b64 s[0:1], -1
	s_and_saveexec_b64 s[6:7], s[8:9]
; %bb.5:
	v_cmp_neq_f64_e32 vcc, 1.0, v[12:13]
	v_cmp_neq_f64_e64 s[0:1], 0, v[14:15]
	s_or_b64 s[0:1], vcc, s[0:1]
	s_orn2_b64 s[0:1], s[0:1], exec
; %bb.6:
	s_or_b64 exec, exec, s[6:7]
	s_and_saveexec_b64 s[6:7], s[0:1]
	s_cbranch_execz .LBB143_12
; %bb.7:
	s_load_dwordx2 s[6:7], s[2:3], 0x20
	s_load_dwordx2 s[0:1], s[2:3], 0x0
	v_lshrrev_b32_e32 v0, 5, v2
	v_lshl_or_b32 v0, s4, 3, v0
	s_mov_b64 s[4:5], 0
	s_waitcnt lgkmcnt(0)
	s_cmp_lg_u64 s[6:7], 0
	s_cbranch_scc0 .LBB143_13
; %bb.8:
	s_load_dword s8, s[2:3], 0x18
                                        ; implicit-def: $vgpr1
	s_waitcnt lgkmcnt(0)
	v_cmp_gt_i32_e32 vcc, s8, v0
	s_and_saveexec_b64 s[8:9], vcc
	s_xor_b64 s[8:9], exec, s[8:9]
	s_cbranch_execz .LBB143_10
; %bb.9:
	v_ashrrev_i32_e32 v1, 31, v0
	v_lshl_add_u64 v[4:5], v[0:1], 2, s[6:7]
	global_load_dword v1, v[4:5], off
	s_mov_b64 s[4:5], exec
	s_waitcnt vmcnt(0)
	v_subrev_u32_e32 v1, s16, v1
.LBB143_10:
	s_or_b64 exec, exec, s[8:9]
	s_branch .LBB143_14
.LBB143_11:
	v_cmp_gt_i32_e32 vcc, s0, v0
	s_andn2_b64 s[4:5], s[4:5], exec
	s_and_b64 s[6:7], vcc, exec
	s_or_b64 s[4:5], s[4:5], s[6:7]
	s_and_b64 exec, exec, s[4:5]
	s_cbranch_execnz .LBB143_15
.LBB143_12:
	s_endpgm
.LBB143_13:
                                        ; implicit-def: $vgpr1
	s_cbranch_execnz .LBB143_11
.LBB143_14:
	v_mov_b32_e32 v0, v1
	s_and_b64 exec, exec, s[4:5]
	s_cbranch_execz .LBB143_12
.LBB143_15:
	s_load_dwordx8 s[4:11], s[2:3], 0x28
	v_ashrrev_i32_e32 v1, 31, v0
	v_lshlrev_b64 v[4:5], 3, v[0:1]
	v_and_b32_e32 v2, 31, v2
	v_mov_b32_e32 v3, 0
	s_waitcnt lgkmcnt(0)
	v_lshl_add_u64 v[6:7], s[4:5], 0, v[4:5]
	global_load_dwordx2 v[8:9], v[6:7], off
	s_cmp_eq_u64 s[6:7], 0
	v_lshl_add_u64 v[4:5], s[6:7], 0, v[4:5]
	v_lshl_add_u64 v[6:7], v[6:7], 0, 8
	s_cselect_b64 vcc, -1, 0
	v_cndmask_b32_e32 v5, v5, v7, vcc
	v_cndmask_b32_e32 v4, v4, v6, vcc
	global_load_dwordx2 v[4:5], v[4:5], off
	s_load_dwordx2 s[4:5], s[2:3], 0x48
	s_movk_i32 s6, 0x48
	v_mov_b64_e32 v[6:7], s[10:11]
	s_cmp_eq_u32 s1, 1
	s_waitcnt vmcnt(1)
	v_subrev_co_u32_e32 v8, vcc, s16, v8
	s_nop 1
	v_subbrev_co_u32_e32 v9, vcc, 0, v9, vcc
	v_lshl_add_u64 v[22:23], v[8:9], 0, v[2:3]
	v_mad_u64_u32 v[26:27], s[0:1], v22, s6, v[6:7]
	s_waitcnt vmcnt(0)
	v_subrev_co_u32_e32 v24, vcc, s16, v4
	v_mov_b32_e32 v4, v27
	s_nop 0
	v_subbrev_co_u32_e32 v25, vcc, 0, v5, vcc
	v_mad_u64_u32 v[4:5], s[0:1], v23, s6, v[4:5]
	v_mov_b32_e32 v27, v4
	v_cmp_lt_i64_e64 s[0:1], v[22:23], v[24:25]
	s_cbranch_scc1 .LBB143_21
; %bb.16:
	v_mov_b64_e32 v[10:11], 0
	s_mov_b64 s[6:7], 0
	v_mov_b64_e32 v[28:29], v[10:11]
	v_mov_b64_e32 v[8:9], v[10:11]
	;; [unrolled: 1-line block ×5, first 2 shown]
	s_and_saveexec_b64 s[10:11], s[0:1]
	s_cbranch_execz .LBB143_20
; %bb.17:
	v_mov_b64_e32 v[10:11], 0
	v_lshl_add_u64 v[30:31], v[22:23], 2, s[8:9]
	s_mov_b64 s[12:13], 0
	s_mov_b64 s[14:15], 0x900
	;; [unrolled: 1-line block ×3, first 2 shown]
	v_mov_b64_e32 v[32:33], v[22:23]
	v_mov_b64_e32 v[34:35], v[26:27]
	;; [unrolled: 1-line block ×7, first 2 shown]
.LBB143_18:                             ; =>This Inner Loop Header: Depth=1
	global_load_dword v1, v[30:31], off
	global_load_dwordx4 v[36:39], v[34:35], off offset:48
	global_load_dwordx4 v[40:43], v[34:35], off offset:32
	;; [unrolled: 1-line block ×3, first 2 shown]
	global_load_dwordx4 v[48:51], v[34:35], off
	global_load_dwordx2 v[64:65], v[34:35], off offset:64
	v_lshl_add_u64 v[32:33], v[32:33], 0, 32
	v_cmp_ge_i64_e32 vcc, v[32:33], v[24:25]
	v_lshl_add_u64 v[34:35], v[34:35], 0, s[14:15]
	v_lshl_add_u64 v[30:31], v[30:31], 0, s[18:19]
	s_or_b64 s[12:13], vcc, s[12:13]
	s_waitcnt vmcnt(5)
	v_subrev_u32_e32 v1, s16, v1
	v_lshl_add_u32 v52, v1, 1, v1
	v_ashrrev_i32_e32 v53, 31, v52
	s_waitcnt lgkmcnt(0)
	v_lshl_add_u64 v[66:67], v[52:53], 4, s[4:5]
	global_load_dwordx4 v[52:55], v[66:67], off
	global_load_dwordx4 v[56:59], v[66:67], off offset:16
	global_load_dwordx4 v[60:63], v[66:67], off offset:32
	s_waitcnt vmcnt(2)
	v_fmac_f64_e32 v[28:29], v[48:49], v[52:53]
	v_fmac_f64_e32 v[10:11], 0, v[52:53]
	v_fmac_f64_e32 v[20:21], v[46:47], v[52:53]
	v_fmac_f64_e32 v[8:9], 0, v[52:53]
	v_fmac_f64_e32 v[6:7], v[36:37], v[52:53]
	v_fmac_f64_e32 v[4:5], 0, v[52:53]
	v_fmac_f64_e32 v[28:29], 0x80000000, v[54:55]
	v_fmac_f64_e32 v[10:11], v[48:49], v[54:55]
	v_fmac_f64_e32 v[20:21], 0x80000000, v[54:55]
	v_fmac_f64_e32 v[8:9], v[46:47], v[54:55]
	v_fmac_f64_e32 v[6:7], 0x80000000, v[54:55]
	v_fmac_f64_e32 v[4:5], v[36:37], v[54:55]
	s_waitcnt vmcnt(1)
	v_fmac_f64_e32 v[28:29], v[50:51], v[56:57]
	v_fmac_f64_e32 v[10:11], 0, v[56:57]
	v_fmac_f64_e32 v[20:21], v[40:41], v[56:57]
	v_fmac_f64_e32 v[8:9], 0, v[56:57]
	v_fmac_f64_e32 v[6:7], v[38:39], v[56:57]
	v_fmac_f64_e32 v[4:5], 0, v[56:57]
	v_fmac_f64_e32 v[28:29], 0x80000000, v[58:59]
	v_fmac_f64_e32 v[10:11], v[50:51], v[58:59]
	v_fmac_f64_e32 v[20:21], 0x80000000, v[58:59]
	v_fmac_f64_e32 v[8:9], v[40:41], v[58:59]
	v_fmac_f64_e32 v[6:7], 0x80000000, v[58:59]
	v_fmac_f64_e32 v[4:5], v[38:39], v[58:59]
	;; [unrolled: 13-line block ×3, first 2 shown]
	s_andn2_b64 exec, exec, s[12:13]
	s_cbranch_execnz .LBB143_18
; %bb.19:
	s_or_b64 exec, exec, s[12:13]
.LBB143_20:
	s_or_b64 exec, exec, s[10:11]
	s_andn2_b64 vcc, exec, s[6:7]
	s_cbranch_vccz .LBB143_22
	s_branch .LBB143_27
.LBB143_21:
                                        ; implicit-def: $vgpr10_vgpr11
                                        ; implicit-def: $vgpr28_vgpr29
                                        ; implicit-def: $vgpr8_vgpr9
                                        ; implicit-def: $vgpr20_vgpr21
                                        ; implicit-def: $vgpr4_vgpr5
                                        ; implicit-def: $vgpr6_vgpr7
.LBB143_22:
	v_mov_b64_e32 v[10:11], 0
	v_mov_b64_e32 v[28:29], v[10:11]
	;; [unrolled: 1-line block ×6, first 2 shown]
	s_and_saveexec_b64 s[6:7], s[0:1]
	s_cbranch_execz .LBB143_26
; %bb.23:
	v_mov_b64_e32 v[10:11], 0
	v_lshl_add_u64 v[30:31], v[22:23], 2, s[8:9]
	s_mov_b64 s[0:1], 0
	s_mov_b64 s[8:9], 0x900
	s_mov_b64 s[10:11], 0x80
	v_mov_b64_e32 v[28:29], v[10:11]
	v_mov_b64_e32 v[8:9], v[10:11]
	;; [unrolled: 1-line block ×5, first 2 shown]
.LBB143_24:                             ; =>This Inner Loop Header: Depth=1
	global_load_dword v1, v[30:31], off
	global_load_dwordx4 v[32:35], v[26:27], off offset:48
	global_load_dwordx4 v[36:39], v[26:27], off offset:32
	;; [unrolled: 1-line block ×3, first 2 shown]
	global_load_dwordx4 v[44:47], v[26:27], off
	global_load_dwordx2 v[60:61], v[26:27], off offset:64
	v_lshl_add_u64 v[22:23], v[22:23], 0, 32
	v_cmp_ge_i64_e32 vcc, v[22:23], v[24:25]
	v_lshl_add_u64 v[26:27], v[26:27], 0, s[8:9]
	v_lshl_add_u64 v[30:31], v[30:31], 0, s[10:11]
	s_or_b64 s[0:1], vcc, s[0:1]
	s_waitcnt vmcnt(5)
	v_subrev_u32_e32 v1, s16, v1
	v_lshl_add_u32 v48, v1, 1, v1
	v_ashrrev_i32_e32 v49, 31, v48
	s_waitcnt lgkmcnt(0)
	v_lshl_add_u64 v[62:63], v[48:49], 4, s[4:5]
	global_load_dwordx4 v[48:51], v[62:63], off
	global_load_dwordx4 v[52:55], v[62:63], off offset:16
	global_load_dwordx4 v[56:59], v[62:63], off offset:32
	s_waitcnt vmcnt(2)
	v_fmac_f64_e32 v[28:29], v[44:45], v[48:49]
	v_fmac_f64_e32 v[10:11], 0, v[48:49]
	v_fmac_f64_e32 v[20:21], v[46:47], v[48:49]
	v_fmac_f64_e32 v[8:9], 0, v[48:49]
	v_fmac_f64_e32 v[6:7], v[40:41], v[48:49]
	v_fmac_f64_e32 v[4:5], 0, v[48:49]
	v_fmac_f64_e32 v[28:29], 0x80000000, v[50:51]
	v_fmac_f64_e32 v[10:11], v[44:45], v[50:51]
	v_fmac_f64_e32 v[20:21], 0x80000000, v[50:51]
	v_fmac_f64_e32 v[8:9], v[46:47], v[50:51]
	v_fmac_f64_e32 v[6:7], 0x80000000, v[50:51]
	v_fmac_f64_e32 v[4:5], v[40:41], v[50:51]
	s_waitcnt vmcnt(1)
	v_fmac_f64_e32 v[28:29], v[42:43], v[52:53]
	v_fmac_f64_e32 v[10:11], 0, v[52:53]
	v_fmac_f64_e32 v[20:21], v[36:37], v[52:53]
	v_fmac_f64_e32 v[8:9], 0, v[52:53]
	v_fmac_f64_e32 v[6:7], v[38:39], v[52:53]
	v_fmac_f64_e32 v[4:5], 0, v[52:53]
	v_fmac_f64_e32 v[28:29], 0x80000000, v[54:55]
	v_fmac_f64_e32 v[10:11], v[42:43], v[54:55]
	v_fmac_f64_e32 v[20:21], 0x80000000, v[54:55]
	v_fmac_f64_e32 v[8:9], v[36:37], v[54:55]
	v_fmac_f64_e32 v[6:7], 0x80000000, v[54:55]
	v_fmac_f64_e32 v[4:5], v[38:39], v[54:55]
	;; [unrolled: 13-line block ×3, first 2 shown]
	s_andn2_b64 exec, exec, s[0:1]
	s_cbranch_execnz .LBB143_24
; %bb.25:
	s_or_b64 exec, exec, s[0:1]
.LBB143_26:
	s_or_b64 exec, exec, s[6:7]
.LBB143_27:
	v_mov_b32_dpp v22, v28 row_shr:1 row_mask:0xf bank_mask:0xf
	v_mov_b32_dpp v23, v29 row_shr:1 row_mask:0xf bank_mask:0xf
	v_add_f64 v[22:23], v[28:29], v[22:23]
	v_mov_b32_dpp v26, v10 row_shr:1 row_mask:0xf bank_mask:0xf
	v_mov_b32_dpp v27, v11 row_shr:1 row_mask:0xf bank_mask:0xf
	;; [unrolled: 1-line block ×10, first 2 shown]
	v_add_f64 v[10:11], v[10:11], v[26:27]
	v_add_f64 v[20:21], v[20:21], v[28:29]
	v_add_f64 v[8:9], v[8:9], v[30:31]
	v_add_f64 v[6:7], v[6:7], v[32:33]
	v_add_f64 v[4:5], v[4:5], v[34:35]
	v_mov_b32_dpp v24, v22 row_shr:2 row_mask:0xf bank_mask:0xf
	v_mov_b32_dpp v25, v23 row_shr:2 row_mask:0xf bank_mask:0xf
	v_mov_b32_dpp v26, v10 row_shr:2 row_mask:0xf bank_mask:0xf
	v_mov_b32_dpp v27, v11 row_shr:2 row_mask:0xf bank_mask:0xf
	v_mov_b32_dpp v28, v20 row_shr:2 row_mask:0xf bank_mask:0xf
	v_mov_b32_dpp v29, v21 row_shr:2 row_mask:0xf bank_mask:0xf
	v_mov_b32_dpp v30, v8 row_shr:2 row_mask:0xf bank_mask:0xf
	v_mov_b32_dpp v31, v9 row_shr:2 row_mask:0xf bank_mask:0xf
	v_mov_b32_dpp v32, v6 row_shr:2 row_mask:0xf bank_mask:0xf
	v_mov_b32_dpp v33, v7 row_shr:2 row_mask:0xf bank_mask:0xf
	v_mov_b32_dpp v34, v4 row_shr:2 row_mask:0xf bank_mask:0xf
	v_mov_b32_dpp v35, v5 row_shr:2 row_mask:0xf bank_mask:0xf
	v_add_f64 v[22:23], v[22:23], v[24:25]
	v_add_f64 v[10:11], v[10:11], v[26:27]
	v_add_f64 v[20:21], v[20:21], v[28:29]
	v_add_f64 v[8:9], v[8:9], v[30:31]
	v_add_f64 v[6:7], v[6:7], v[32:33]
	v_add_f64 v[4:5], v[4:5], v[34:35]
	v_mov_b32_dpp v24, v22 row_shr:4 row_mask:0xf bank_mask:0xe
	v_mov_b32_dpp v25, v23 row_shr:4 row_mask:0xf bank_mask:0xe
	v_mov_b32_dpp v26, v10 row_shr:4 row_mask:0xf bank_mask:0xe
	v_mov_b32_dpp v27, v11 row_shr:4 row_mask:0xf bank_mask:0xe
	v_mov_b32_dpp v28, v20 row_shr:4 row_mask:0xf bank_mask:0xe
	v_mov_b32_dpp v29, v21 row_shr:4 row_mask:0xf bank_mask:0xe
	v_mov_b32_dpp v30, v8 row_shr:4 row_mask:0xf bank_mask:0xe
	v_mov_b32_dpp v31, v9 row_shr:4 row_mask:0xf bank_mask:0xe
	v_mov_b32_dpp v32, v6 row_shr:4 row_mask:0xf bank_mask:0xe
	v_mov_b32_dpp v33, v7 row_shr:4 row_mask:0xf bank_mask:0xe
	v_mov_b32_dpp v34, v4 row_shr:4 row_mask:0xf bank_mask:0xe
	v_mov_b32_dpp v35, v5 row_shr:4 row_mask:0xf bank_mask:0xe
	v_add_f64 v[22:23], v[22:23], v[24:25]
	;; [unrolled: 18-line block ×3, first 2 shown]
	v_add_f64 v[10:11], v[10:11], v[26:27]
	v_add_f64 v[20:21], v[20:21], v[28:29]
	;; [unrolled: 1-line block ×5, first 2 shown]
	v_mov_b32_dpp v24, v22 row_bcast:15 row_mask:0xa bank_mask:0xf
	v_mov_b32_dpp v25, v23 row_bcast:15 row_mask:0xa bank_mask:0xf
	;; [unrolled: 1-line block ×12, first 2 shown]
	v_cmp_eq_u32_e32 vcc, 31, v2
	s_and_b64 exec, exec, vcc
	s_cbranch_execz .LBB143_12
; %bb.28:
	s_load_dwordx2 s[2:3], s[2:3], 0x60
	v_add_f64 v[2:3], v[10:11], v[26:27]
	v_add_f64 v[26:27], v[8:9], v[30:31]
	;; [unrolled: 1-line block ×6, first 2 shown]
	v_cmp_eq_f64_e32 vcc, 0, v[12:13]
	v_cmp_eq_f64_e64 s[0:1], 0, v[14:15]
	v_mul_f64 v[8:9], v[2:3], -v[18:19]
	v_mul_f64 v[10:11], v[16:17], v[2:3]
	v_lshl_add_u32 v20, v0, 1, v0
	v_mul_f64 v[4:5], v[26:27], -v[18:19]
	v_mul_f64 v[6:7], v[16:17], v[26:27]
	v_mul_f64 v[0:1], v[30:31], -v[18:19]
	v_mul_f64 v[2:3], v[16:17], v[30:31]
	s_and_b64 s[0:1], vcc, s[0:1]
	v_fmac_f64_e32 v[8:9], v[16:17], v[22:23]
	v_fmac_f64_e32 v[10:11], v[18:19], v[22:23]
	v_ashrrev_i32_e32 v21, 31, v20
	v_fmac_f64_e32 v[4:5], v[16:17], v[24:25]
	v_fmac_f64_e32 v[6:7], v[18:19], v[24:25]
	;; [unrolled: 1-line block ×4, first 2 shown]
	s_waitcnt lgkmcnt(0)
	s_and_saveexec_b64 s[4:5], s[0:1]
	s_xor_b64 s[0:1], exec, s[4:5]
	s_cbranch_execz .LBB143_30
; %bb.29:
	v_lshl_add_u64 v[12:13], v[20:21], 4, s[2:3]
	global_store_dwordx4 v[12:13], v[8:11], off
	global_store_dwordx4 v[12:13], v[4:7], off offset:16
	global_store_dwordx4 v[12:13], v[0:3], off offset:32
                                        ; implicit-def: $vgpr12_vgpr13
                                        ; implicit-def: $vgpr14_vgpr15
                                        ; implicit-def: $vgpr20
                                        ; implicit-def: $vgpr8_vgpr9
                                        ; implicit-def: $vgpr4_vgpr5
                                        ; implicit-def: $vgpr0_vgpr1
.LBB143_30:
	s_andn2_saveexec_b64 s[0:1], s[0:1]
	s_cbranch_execz .LBB143_12
; %bb.31:
	v_lshl_add_u64 v[28:29], v[20:21], 4, s[2:3]
	global_load_dwordx4 v[16:19], v[28:29], off
	global_load_dwordx4 v[20:23], v[28:29], off offset:16
	global_load_dwordx4 v[24:27], v[28:29], off offset:32
	s_waitcnt vmcnt(2)
	v_fmac_f64_e32 v[8:9], v[12:13], v[16:17]
	v_fmac_f64_e32 v[10:11], v[14:15], v[16:17]
	s_waitcnt vmcnt(1)
	v_fmac_f64_e32 v[4:5], v[12:13], v[20:21]
	v_fmac_f64_e32 v[6:7], v[14:15], v[20:21]
	;; [unrolled: 3-line block ×3, first 2 shown]
	v_fma_f64 v[8:9], -v[14:15], v[18:19], v[8:9]
	v_fmac_f64_e32 v[10:11], v[12:13], v[18:19]
	v_fma_f64 v[4:5], -v[14:15], v[22:23], v[4:5]
	v_fmac_f64_e32 v[6:7], v[12:13], v[22:23]
	v_fma_f64 v[0:1], -v[14:15], v[26:27], v[0:1]
	v_fmac_f64_e32 v[2:3], v[12:13], v[26:27]
	global_store_dwordx4 v[28:29], v[8:11], off
	global_store_dwordx4 v[28:29], v[4:7], off offset:16
	global_store_dwordx4 v[28:29], v[0:3], off offset:32
	s_endpgm
	.section	.rodata,"a",@progbits
	.p2align	6, 0x0
	.amdhsa_kernel _ZN9rocsparseL18bsrxmvn_3x3_kernelILj256ELj32E21rocsparse_complex_numIdElidS2_S2_EEvT3_20rocsparse_direction_NS_24const_host_device_scalarIT1_EES3_PKS3_PKT2_SC_S9_PKT4_PKT5_S7_PT6_21rocsparse_index_base_b
		.amdhsa_group_segment_fixed_size 4096
		.amdhsa_private_segment_fixed_size 0
		.amdhsa_kernarg_size 112
		.amdhsa_user_sgpr_count 4
		.amdhsa_user_sgpr_dispatch_ptr 1
		.amdhsa_user_sgpr_queue_ptr 0
		.amdhsa_user_sgpr_kernarg_segment_ptr 1
		.amdhsa_user_sgpr_dispatch_id 0
		.amdhsa_user_sgpr_kernarg_preload_length 0
		.amdhsa_user_sgpr_kernarg_preload_offset 0
		.amdhsa_user_sgpr_private_segment_size 0
		.amdhsa_uses_dynamic_stack 0
		.amdhsa_enable_private_segment 0
		.amdhsa_system_sgpr_workgroup_id_x 1
		.amdhsa_system_sgpr_workgroup_id_y 0
		.amdhsa_system_sgpr_workgroup_id_z 0
		.amdhsa_system_sgpr_workgroup_info 0
		.amdhsa_system_vgpr_workitem_id 2
		.amdhsa_next_free_vgpr 68
		.amdhsa_next_free_sgpr 20
		.amdhsa_accum_offset 68
		.amdhsa_reserve_vcc 1
		.amdhsa_float_round_mode_32 0
		.amdhsa_float_round_mode_16_64 0
		.amdhsa_float_denorm_mode_32 3
		.amdhsa_float_denorm_mode_16_64 3
		.amdhsa_dx10_clamp 1
		.amdhsa_ieee_mode 1
		.amdhsa_fp16_overflow 0
		.amdhsa_tg_split 0
		.amdhsa_exception_fp_ieee_invalid_op 0
		.amdhsa_exception_fp_denorm_src 0
		.amdhsa_exception_fp_ieee_div_zero 0
		.amdhsa_exception_fp_ieee_overflow 0
		.amdhsa_exception_fp_ieee_underflow 0
		.amdhsa_exception_fp_ieee_inexact 0
		.amdhsa_exception_int_div_zero 0
	.end_amdhsa_kernel
	.section	.text._ZN9rocsparseL18bsrxmvn_3x3_kernelILj256ELj32E21rocsparse_complex_numIdElidS2_S2_EEvT3_20rocsparse_direction_NS_24const_host_device_scalarIT1_EES3_PKS3_PKT2_SC_S9_PKT4_PKT5_S7_PT6_21rocsparse_index_base_b,"axG",@progbits,_ZN9rocsparseL18bsrxmvn_3x3_kernelILj256ELj32E21rocsparse_complex_numIdElidS2_S2_EEvT3_20rocsparse_direction_NS_24const_host_device_scalarIT1_EES3_PKS3_PKT2_SC_S9_PKT4_PKT5_S7_PT6_21rocsparse_index_base_b,comdat
.Lfunc_end143:
	.size	_ZN9rocsparseL18bsrxmvn_3x3_kernelILj256ELj32E21rocsparse_complex_numIdElidS2_S2_EEvT3_20rocsparse_direction_NS_24const_host_device_scalarIT1_EES3_PKS3_PKT2_SC_S9_PKT4_PKT5_S7_PT6_21rocsparse_index_base_b, .Lfunc_end143-_ZN9rocsparseL18bsrxmvn_3x3_kernelILj256ELj32E21rocsparse_complex_numIdElidS2_S2_EEvT3_20rocsparse_direction_NS_24const_host_device_scalarIT1_EES3_PKS3_PKT2_SC_S9_PKT4_PKT5_S7_PT6_21rocsparse_index_base_b
                                        ; -- End function
	.section	.AMDGPU.csdata,"",@progbits
; Kernel info:
; codeLenInByte = 2548
; NumSgprs: 26
; NumVgprs: 68
; NumAgprs: 0
; TotalNumVgprs: 68
; ScratchSize: 0
; MemoryBound: 0
; FloatMode: 240
; IeeeMode: 1
; LDSByteSize: 4096 bytes/workgroup (compile time only)
; SGPRBlocks: 3
; VGPRBlocks: 8
; NumSGPRsForWavesPerEU: 26
; NumVGPRsForWavesPerEU: 68
; AccumOffset: 68
; Occupancy: 7
; WaveLimiterHint : 1
; COMPUTE_PGM_RSRC2:SCRATCH_EN: 0
; COMPUTE_PGM_RSRC2:USER_SGPR: 4
; COMPUTE_PGM_RSRC2:TRAP_HANDLER: 0
; COMPUTE_PGM_RSRC2:TGID_X_EN: 1
; COMPUTE_PGM_RSRC2:TGID_Y_EN: 0
; COMPUTE_PGM_RSRC2:TGID_Z_EN: 0
; COMPUTE_PGM_RSRC2:TIDIG_COMP_CNT: 2
; COMPUTE_PGM_RSRC3_GFX90A:ACCUM_OFFSET: 16
; COMPUTE_PGM_RSRC3_GFX90A:TG_SPLIT: 0
	.section	.text._ZN9rocsparseL18bsrxmvn_3x3_kernelILj256ELj64E21rocsparse_complex_numIdElidS2_S2_EEvT3_20rocsparse_direction_NS_24const_host_device_scalarIT1_EES3_PKS3_PKT2_SC_S9_PKT4_PKT5_S7_PT6_21rocsparse_index_base_b,"axG",@progbits,_ZN9rocsparseL18bsrxmvn_3x3_kernelILj256ELj64E21rocsparse_complex_numIdElidS2_S2_EEvT3_20rocsparse_direction_NS_24const_host_device_scalarIT1_EES3_PKS3_PKT2_SC_S9_PKT4_PKT5_S7_PT6_21rocsparse_index_base_b,comdat
	.globl	_ZN9rocsparseL18bsrxmvn_3x3_kernelILj256ELj64E21rocsparse_complex_numIdElidS2_S2_EEvT3_20rocsparse_direction_NS_24const_host_device_scalarIT1_EES3_PKS3_PKT2_SC_S9_PKT4_PKT5_S7_PT6_21rocsparse_index_base_b ; -- Begin function _ZN9rocsparseL18bsrxmvn_3x3_kernelILj256ELj64E21rocsparse_complex_numIdElidS2_S2_EEvT3_20rocsparse_direction_NS_24const_host_device_scalarIT1_EES3_PKS3_PKT2_SC_S9_PKT4_PKT5_S7_PT6_21rocsparse_index_base_b
	.p2align	8
	.type	_ZN9rocsparseL18bsrxmvn_3x3_kernelILj256ELj64E21rocsparse_complex_numIdElidS2_S2_EEvT3_20rocsparse_direction_NS_24const_host_device_scalarIT1_EES3_PKS3_PKT2_SC_S9_PKT4_PKT5_S7_PT6_21rocsparse_index_base_b,@function
_ZN9rocsparseL18bsrxmvn_3x3_kernelILj256ELj64E21rocsparse_complex_numIdElidS2_S2_EEvT3_20rocsparse_direction_NS_24const_host_device_scalarIT1_EES3_PKS3_PKT2_SC_S9_PKT4_PKT5_S7_PT6_21rocsparse_index_base_b: ; @_ZN9rocsparseL18bsrxmvn_3x3_kernelILj256ELj64E21rocsparse_complex_numIdElidS2_S2_EEvT3_20rocsparse_direction_NS_24const_host_device_scalarIT1_EES3_PKS3_PKT2_SC_S9_PKT4_PKT5_S7_PT6_21rocsparse_index_base_b
; %bb.0:
	s_load_dwordx2 s[16:17], s[2:3], 0x68
	s_load_dwordx4 s[8:11], s[2:3], 0x8
	s_load_dwordx2 s[18:19], s[0:1], 0x4
	s_load_dwordx4 s[12:15], s[2:3], 0x50
	s_mov_b64 s[6:7], src_shared_base
	v_and_b32_e32 v2, 0x3ff, v0
	s_waitcnt lgkmcnt(0)
	s_bitcmp1_b32 s17, 0
	s_cselect_b64 s[0:1], -1, 0
	s_and_b64 vcc, s[0:1], exec
	s_cselect_b32 s5, s7, s9
	s_lshr_b32 s6, s18, 16
	s_mul_i32 s6, s6, s19
	v_mul_lo_u32 v3, s6, v2
	v_bfe_u32 v4, v0, 10, 10
	v_mad_u32_u24 v3, v4, s19, v3
	v_bfe_u32 v0, v0, 20, 10
	v_add_lshl_u32 v0, v3, v0, 3
	v_mov_b32_e32 v1, s8
	v_add_u32_e32 v3, 0x800, v0
	v_mov_b64_e32 v[4:5], s[8:9]
	v_mov_b64_e32 v[6:7], s[12:13]
	ds_write2st64_b64 v0, v[6:7], v[4:5] offset1:4
	v_cndmask_b32_e64 v4, v1, v3, s[0:1]
	v_mov_b32_e32 v5, s5
	flat_load_dwordx2 v[16:17], v[4:5]
	s_xor_b64 s[18:19], s[0:1], -1
	v_mov_b64_e32 v[18:19], s[10:11]
	s_cbranch_vccnz .LBB144_2
; %bb.1:
	v_mov_b64_e32 v[4:5], s[8:9]
	flat_load_dwordx2 v[18:19], v[4:5] offset:8
.LBB144_2:
	s_and_b64 s[8:9], s[0:1], exec
	s_cselect_b32 s5, s7, s13
	v_mov_b32_e32 v1, s12
	v_cndmask_b32_e64 v0, v1, v0, s[0:1]
	v_mov_b32_e32 v1, s5
	flat_load_dwordx2 v[12:13], v[0:1]
	s_andn2_b64 vcc, exec, s[18:19]
	v_mov_b64_e32 v[14:15], s[14:15]
	s_cbranch_vccnz .LBB144_4
; %bb.3:
	v_mov_b64_e32 v[0:1], s[12:13]
	flat_load_dwordx2 v[14:15], v[0:1] offset:8
.LBB144_4:
	s_waitcnt vmcnt(0) lgkmcnt(0)
	v_cmp_eq_f64_e32 vcc, 0, v[16:17]
	v_cmp_eq_f64_e64 s[0:1], 0, v[18:19]
	s_and_b64 s[8:9], vcc, s[0:1]
	s_mov_b64 s[0:1], -1
	s_and_saveexec_b64 s[6:7], s[8:9]
; %bb.5:
	v_cmp_neq_f64_e32 vcc, 1.0, v[12:13]
	v_cmp_neq_f64_e64 s[0:1], 0, v[14:15]
	s_or_b64 s[0:1], vcc, s[0:1]
	s_orn2_b64 s[0:1], s[0:1], exec
; %bb.6:
	s_or_b64 exec, exec, s[6:7]
	s_and_saveexec_b64 s[6:7], s[0:1]
	s_cbranch_execz .LBB144_12
; %bb.7:
	s_load_dwordx2 s[6:7], s[2:3], 0x20
	s_load_dwordx2 s[0:1], s[2:3], 0x0
	v_lshrrev_b32_e32 v0, 6, v2
	v_lshl_or_b32 v0, s4, 2, v0
	s_mov_b64 s[4:5], 0
	s_waitcnt lgkmcnt(0)
	s_cmp_lg_u64 s[6:7], 0
	s_cbranch_scc0 .LBB144_13
; %bb.8:
	s_load_dword s8, s[2:3], 0x18
                                        ; implicit-def: $vgpr1
	s_waitcnt lgkmcnt(0)
	v_cmp_gt_i32_e32 vcc, s8, v0
	s_and_saveexec_b64 s[8:9], vcc
	s_xor_b64 s[8:9], exec, s[8:9]
	s_cbranch_execz .LBB144_10
; %bb.9:
	v_ashrrev_i32_e32 v1, 31, v0
	v_lshl_add_u64 v[4:5], v[0:1], 2, s[6:7]
	global_load_dword v1, v[4:5], off
	s_mov_b64 s[4:5], exec
	s_waitcnt vmcnt(0)
	v_subrev_u32_e32 v1, s16, v1
.LBB144_10:
	s_or_b64 exec, exec, s[8:9]
	s_branch .LBB144_14
.LBB144_11:
	v_cmp_gt_i32_e32 vcc, s0, v0
	s_andn2_b64 s[4:5], s[4:5], exec
	s_and_b64 s[6:7], vcc, exec
	s_or_b64 s[4:5], s[4:5], s[6:7]
	s_and_b64 exec, exec, s[4:5]
	s_cbranch_execnz .LBB144_15
.LBB144_12:
	s_endpgm
.LBB144_13:
                                        ; implicit-def: $vgpr1
	s_cbranch_execnz .LBB144_11
.LBB144_14:
	v_mov_b32_e32 v0, v1
	s_and_b64 exec, exec, s[4:5]
	s_cbranch_execz .LBB144_12
.LBB144_15:
	s_load_dwordx8 s[4:11], s[2:3], 0x28
	v_ashrrev_i32_e32 v1, 31, v0
	v_lshlrev_b64 v[4:5], 3, v[0:1]
	v_and_b32_e32 v2, 63, v2
	v_mov_b32_e32 v3, 0
	s_waitcnt lgkmcnt(0)
	v_lshl_add_u64 v[6:7], s[4:5], 0, v[4:5]
	global_load_dwordx2 v[8:9], v[6:7], off
	s_cmp_eq_u64 s[6:7], 0
	v_lshl_add_u64 v[4:5], s[6:7], 0, v[4:5]
	v_lshl_add_u64 v[6:7], v[6:7], 0, 8
	s_cselect_b64 vcc, -1, 0
	v_cndmask_b32_e32 v5, v5, v7, vcc
	v_cndmask_b32_e32 v4, v4, v6, vcc
	global_load_dwordx2 v[4:5], v[4:5], off
	s_load_dwordx2 s[4:5], s[2:3], 0x48
	s_movk_i32 s6, 0x48
	v_mov_b64_e32 v[6:7], s[10:11]
	s_cmp_eq_u32 s1, 1
	s_waitcnt vmcnt(1)
	v_subrev_co_u32_e32 v8, vcc, s16, v8
	s_nop 1
	v_subbrev_co_u32_e32 v9, vcc, 0, v9, vcc
	v_lshl_add_u64 v[22:23], v[8:9], 0, v[2:3]
	v_mad_u64_u32 v[26:27], s[0:1], v22, s6, v[6:7]
	s_waitcnt vmcnt(0)
	v_subrev_co_u32_e32 v24, vcc, s16, v4
	v_mov_b32_e32 v4, v27
	s_nop 0
	v_subbrev_co_u32_e32 v25, vcc, 0, v5, vcc
	v_mad_u64_u32 v[4:5], s[0:1], v23, s6, v[4:5]
	v_mov_b32_e32 v27, v4
	v_cmp_lt_i64_e64 s[0:1], v[22:23], v[24:25]
	s_cbranch_scc1 .LBB144_21
; %bb.16:
	v_mov_b64_e32 v[10:11], 0
	s_mov_b64 s[6:7], 0
	v_mov_b64_e32 v[28:29], v[10:11]
	v_mov_b64_e32 v[8:9], v[10:11]
	;; [unrolled: 1-line block ×5, first 2 shown]
	s_and_saveexec_b64 s[10:11], s[0:1]
	s_cbranch_execz .LBB144_20
; %bb.17:
	v_mov_b64_e32 v[10:11], 0
	v_lshl_add_u64 v[30:31], v[22:23], 2, s[8:9]
	s_mov_b64 s[12:13], 0
	s_mov_b64 s[14:15], 0x1200
	;; [unrolled: 1-line block ×3, first 2 shown]
	v_mov_b64_e32 v[32:33], v[22:23]
	v_mov_b64_e32 v[34:35], v[26:27]
	;; [unrolled: 1-line block ×7, first 2 shown]
.LBB144_18:                             ; =>This Inner Loop Header: Depth=1
	global_load_dword v1, v[30:31], off
	global_load_dwordx4 v[36:39], v[34:35], off offset:48
	global_load_dwordx4 v[40:43], v[34:35], off offset:32
	;; [unrolled: 1-line block ×3, first 2 shown]
	global_load_dwordx4 v[48:51], v[34:35], off
	global_load_dwordx2 v[64:65], v[34:35], off offset:64
	v_lshl_add_u64 v[32:33], v[32:33], 0, 64
	v_cmp_ge_i64_e32 vcc, v[32:33], v[24:25]
	v_lshl_add_u64 v[34:35], v[34:35], 0, s[14:15]
	v_lshl_add_u64 v[30:31], v[30:31], 0, s[18:19]
	s_or_b64 s[12:13], vcc, s[12:13]
	s_waitcnt vmcnt(5)
	v_subrev_u32_e32 v1, s16, v1
	v_lshl_add_u32 v52, v1, 1, v1
	v_ashrrev_i32_e32 v53, 31, v52
	s_waitcnt lgkmcnt(0)
	v_lshl_add_u64 v[66:67], v[52:53], 4, s[4:5]
	global_load_dwordx4 v[52:55], v[66:67], off
	global_load_dwordx4 v[56:59], v[66:67], off offset:16
	global_load_dwordx4 v[60:63], v[66:67], off offset:32
	s_waitcnt vmcnt(2)
	v_fmac_f64_e32 v[28:29], v[48:49], v[52:53]
	v_fmac_f64_e32 v[10:11], 0, v[52:53]
	v_fmac_f64_e32 v[20:21], v[46:47], v[52:53]
	v_fmac_f64_e32 v[8:9], 0, v[52:53]
	v_fmac_f64_e32 v[6:7], v[36:37], v[52:53]
	v_fmac_f64_e32 v[4:5], 0, v[52:53]
	v_fmac_f64_e32 v[28:29], 0x80000000, v[54:55]
	v_fmac_f64_e32 v[10:11], v[48:49], v[54:55]
	v_fmac_f64_e32 v[20:21], 0x80000000, v[54:55]
	v_fmac_f64_e32 v[8:9], v[46:47], v[54:55]
	v_fmac_f64_e32 v[6:7], 0x80000000, v[54:55]
	v_fmac_f64_e32 v[4:5], v[36:37], v[54:55]
	s_waitcnt vmcnt(1)
	v_fmac_f64_e32 v[28:29], v[50:51], v[56:57]
	v_fmac_f64_e32 v[10:11], 0, v[56:57]
	v_fmac_f64_e32 v[20:21], v[40:41], v[56:57]
	v_fmac_f64_e32 v[8:9], 0, v[56:57]
	v_fmac_f64_e32 v[6:7], v[38:39], v[56:57]
	v_fmac_f64_e32 v[4:5], 0, v[56:57]
	v_fmac_f64_e32 v[28:29], 0x80000000, v[58:59]
	v_fmac_f64_e32 v[10:11], v[50:51], v[58:59]
	v_fmac_f64_e32 v[20:21], 0x80000000, v[58:59]
	v_fmac_f64_e32 v[8:9], v[40:41], v[58:59]
	v_fmac_f64_e32 v[6:7], 0x80000000, v[58:59]
	v_fmac_f64_e32 v[4:5], v[38:39], v[58:59]
	;; [unrolled: 13-line block ×3, first 2 shown]
	s_andn2_b64 exec, exec, s[12:13]
	s_cbranch_execnz .LBB144_18
; %bb.19:
	s_or_b64 exec, exec, s[12:13]
.LBB144_20:
	s_or_b64 exec, exec, s[10:11]
	s_andn2_b64 vcc, exec, s[6:7]
	s_cbranch_vccz .LBB144_22
	s_branch .LBB144_27
.LBB144_21:
                                        ; implicit-def: $vgpr10_vgpr11
                                        ; implicit-def: $vgpr28_vgpr29
                                        ; implicit-def: $vgpr8_vgpr9
                                        ; implicit-def: $vgpr20_vgpr21
                                        ; implicit-def: $vgpr4_vgpr5
                                        ; implicit-def: $vgpr6_vgpr7
.LBB144_22:
	v_mov_b64_e32 v[10:11], 0
	v_mov_b64_e32 v[28:29], v[10:11]
	;; [unrolled: 1-line block ×6, first 2 shown]
	s_and_saveexec_b64 s[6:7], s[0:1]
	s_cbranch_execz .LBB144_26
; %bb.23:
	v_mov_b64_e32 v[10:11], 0
	v_lshl_add_u64 v[30:31], v[22:23], 2, s[8:9]
	s_mov_b64 s[0:1], 0
	s_mov_b64 s[8:9], 0x1200
	;; [unrolled: 1-line block ×3, first 2 shown]
	v_mov_b64_e32 v[28:29], v[10:11]
	v_mov_b64_e32 v[8:9], v[10:11]
	;; [unrolled: 1-line block ×5, first 2 shown]
.LBB144_24:                             ; =>This Inner Loop Header: Depth=1
	global_load_dword v1, v[30:31], off
	global_load_dwordx4 v[32:35], v[26:27], off offset:48
	global_load_dwordx4 v[36:39], v[26:27], off offset:32
	;; [unrolled: 1-line block ×3, first 2 shown]
	global_load_dwordx4 v[44:47], v[26:27], off
	global_load_dwordx2 v[60:61], v[26:27], off offset:64
	v_lshl_add_u64 v[22:23], v[22:23], 0, 64
	v_cmp_ge_i64_e32 vcc, v[22:23], v[24:25]
	v_lshl_add_u64 v[26:27], v[26:27], 0, s[8:9]
	v_lshl_add_u64 v[30:31], v[30:31], 0, s[10:11]
	s_or_b64 s[0:1], vcc, s[0:1]
	s_waitcnt vmcnt(5)
	v_subrev_u32_e32 v1, s16, v1
	v_lshl_add_u32 v48, v1, 1, v1
	v_ashrrev_i32_e32 v49, 31, v48
	s_waitcnt lgkmcnt(0)
	v_lshl_add_u64 v[62:63], v[48:49], 4, s[4:5]
	global_load_dwordx4 v[48:51], v[62:63], off
	global_load_dwordx4 v[52:55], v[62:63], off offset:16
	global_load_dwordx4 v[56:59], v[62:63], off offset:32
	s_waitcnt vmcnt(2)
	v_fmac_f64_e32 v[28:29], v[44:45], v[48:49]
	v_fmac_f64_e32 v[10:11], 0, v[48:49]
	v_fmac_f64_e32 v[20:21], v[46:47], v[48:49]
	v_fmac_f64_e32 v[8:9], 0, v[48:49]
	v_fmac_f64_e32 v[6:7], v[40:41], v[48:49]
	v_fmac_f64_e32 v[4:5], 0, v[48:49]
	v_fmac_f64_e32 v[28:29], 0x80000000, v[50:51]
	v_fmac_f64_e32 v[10:11], v[44:45], v[50:51]
	v_fmac_f64_e32 v[20:21], 0x80000000, v[50:51]
	v_fmac_f64_e32 v[8:9], v[46:47], v[50:51]
	v_fmac_f64_e32 v[6:7], 0x80000000, v[50:51]
	v_fmac_f64_e32 v[4:5], v[40:41], v[50:51]
	s_waitcnt vmcnt(1)
	v_fmac_f64_e32 v[28:29], v[42:43], v[52:53]
	v_fmac_f64_e32 v[10:11], 0, v[52:53]
	v_fmac_f64_e32 v[20:21], v[36:37], v[52:53]
	v_fmac_f64_e32 v[8:9], 0, v[52:53]
	v_fmac_f64_e32 v[6:7], v[38:39], v[52:53]
	v_fmac_f64_e32 v[4:5], 0, v[52:53]
	v_fmac_f64_e32 v[28:29], 0x80000000, v[54:55]
	v_fmac_f64_e32 v[10:11], v[42:43], v[54:55]
	v_fmac_f64_e32 v[20:21], 0x80000000, v[54:55]
	v_fmac_f64_e32 v[8:9], v[36:37], v[54:55]
	v_fmac_f64_e32 v[6:7], 0x80000000, v[54:55]
	v_fmac_f64_e32 v[4:5], v[38:39], v[54:55]
	;; [unrolled: 13-line block ×3, first 2 shown]
	s_andn2_b64 exec, exec, s[0:1]
	s_cbranch_execnz .LBB144_24
; %bb.25:
	s_or_b64 exec, exec, s[0:1]
.LBB144_26:
	s_or_b64 exec, exec, s[6:7]
.LBB144_27:
	v_mov_b32_dpp v22, v28 row_shr:1 row_mask:0xf bank_mask:0xf
	v_mov_b32_dpp v23, v29 row_shr:1 row_mask:0xf bank_mask:0xf
	v_add_f64 v[22:23], v[28:29], v[22:23]
	v_mov_b32_dpp v26, v10 row_shr:1 row_mask:0xf bank_mask:0xf
	v_mov_b32_dpp v27, v11 row_shr:1 row_mask:0xf bank_mask:0xf
	;; [unrolled: 1-line block ×10, first 2 shown]
	v_add_f64 v[10:11], v[10:11], v[26:27]
	v_add_f64 v[20:21], v[20:21], v[28:29]
	v_add_f64 v[8:9], v[8:9], v[30:31]
	v_add_f64 v[6:7], v[6:7], v[32:33]
	v_add_f64 v[4:5], v[4:5], v[34:35]
	v_mov_b32_dpp v24, v22 row_shr:2 row_mask:0xf bank_mask:0xf
	v_mov_b32_dpp v25, v23 row_shr:2 row_mask:0xf bank_mask:0xf
	v_mov_b32_dpp v26, v10 row_shr:2 row_mask:0xf bank_mask:0xf
	v_mov_b32_dpp v27, v11 row_shr:2 row_mask:0xf bank_mask:0xf
	v_mov_b32_dpp v28, v20 row_shr:2 row_mask:0xf bank_mask:0xf
	v_mov_b32_dpp v29, v21 row_shr:2 row_mask:0xf bank_mask:0xf
	v_mov_b32_dpp v30, v8 row_shr:2 row_mask:0xf bank_mask:0xf
	v_mov_b32_dpp v31, v9 row_shr:2 row_mask:0xf bank_mask:0xf
	v_mov_b32_dpp v32, v6 row_shr:2 row_mask:0xf bank_mask:0xf
	v_mov_b32_dpp v33, v7 row_shr:2 row_mask:0xf bank_mask:0xf
	v_mov_b32_dpp v34, v4 row_shr:2 row_mask:0xf bank_mask:0xf
	v_mov_b32_dpp v35, v5 row_shr:2 row_mask:0xf bank_mask:0xf
	v_add_f64 v[22:23], v[22:23], v[24:25]
	v_add_f64 v[10:11], v[10:11], v[26:27]
	v_add_f64 v[20:21], v[20:21], v[28:29]
	v_add_f64 v[8:9], v[8:9], v[30:31]
	v_add_f64 v[6:7], v[6:7], v[32:33]
	v_add_f64 v[4:5], v[4:5], v[34:35]
	v_mov_b32_dpp v24, v22 row_shr:4 row_mask:0xf bank_mask:0xe
	v_mov_b32_dpp v25, v23 row_shr:4 row_mask:0xf bank_mask:0xe
	v_mov_b32_dpp v26, v10 row_shr:4 row_mask:0xf bank_mask:0xe
	v_mov_b32_dpp v27, v11 row_shr:4 row_mask:0xf bank_mask:0xe
	v_mov_b32_dpp v28, v20 row_shr:4 row_mask:0xf bank_mask:0xe
	v_mov_b32_dpp v29, v21 row_shr:4 row_mask:0xf bank_mask:0xe
	v_mov_b32_dpp v30, v8 row_shr:4 row_mask:0xf bank_mask:0xe
	v_mov_b32_dpp v31, v9 row_shr:4 row_mask:0xf bank_mask:0xe
	v_mov_b32_dpp v32, v6 row_shr:4 row_mask:0xf bank_mask:0xe
	v_mov_b32_dpp v33, v7 row_shr:4 row_mask:0xf bank_mask:0xe
	v_mov_b32_dpp v34, v4 row_shr:4 row_mask:0xf bank_mask:0xe
	v_mov_b32_dpp v35, v5 row_shr:4 row_mask:0xf bank_mask:0xe
	v_add_f64 v[22:23], v[22:23], v[24:25]
	;; [unrolled: 18-line block ×3, first 2 shown]
	v_add_f64 v[10:11], v[10:11], v[26:27]
	v_add_f64 v[20:21], v[20:21], v[28:29]
	;; [unrolled: 1-line block ×5, first 2 shown]
	v_mov_b32_dpp v24, v22 row_bcast:15 row_mask:0xa bank_mask:0xf
	v_mov_b32_dpp v25, v23 row_bcast:15 row_mask:0xa bank_mask:0xf
	;; [unrolled: 1-line block ×12, first 2 shown]
	v_add_f64 v[22:23], v[22:23], v[24:25]
	v_add_f64 v[10:11], v[10:11], v[26:27]
	;; [unrolled: 1-line block ×6, first 2 shown]
	v_mov_b32_dpp v24, v22 row_bcast:31 row_mask:0xc bank_mask:0xf
	v_mov_b32_dpp v25, v23 row_bcast:31 row_mask:0xc bank_mask:0xf
	;; [unrolled: 1-line block ×12, first 2 shown]
	v_cmp_eq_u32_e32 vcc, 63, v2
	s_and_b64 exec, exec, vcc
	s_cbranch_execz .LBB144_12
; %bb.28:
	s_load_dwordx2 s[2:3], s[2:3], 0x60
	v_add_f64 v[2:3], v[10:11], v[26:27]
	v_add_f64 v[26:27], v[8:9], v[30:31]
	;; [unrolled: 1-line block ×6, first 2 shown]
	v_cmp_eq_f64_e32 vcc, 0, v[12:13]
	v_cmp_eq_f64_e64 s[0:1], 0, v[14:15]
	v_mul_f64 v[8:9], v[2:3], -v[18:19]
	v_mul_f64 v[10:11], v[16:17], v[2:3]
	v_lshl_add_u32 v20, v0, 1, v0
	v_mul_f64 v[4:5], v[26:27], -v[18:19]
	v_mul_f64 v[6:7], v[16:17], v[26:27]
	v_mul_f64 v[0:1], v[30:31], -v[18:19]
	v_mul_f64 v[2:3], v[16:17], v[30:31]
	s_and_b64 s[0:1], vcc, s[0:1]
	v_fmac_f64_e32 v[8:9], v[16:17], v[22:23]
	v_fmac_f64_e32 v[10:11], v[18:19], v[22:23]
	v_ashrrev_i32_e32 v21, 31, v20
	v_fmac_f64_e32 v[4:5], v[16:17], v[24:25]
	v_fmac_f64_e32 v[6:7], v[18:19], v[24:25]
	;; [unrolled: 1-line block ×4, first 2 shown]
	s_waitcnt lgkmcnt(0)
	s_and_saveexec_b64 s[4:5], s[0:1]
	s_xor_b64 s[0:1], exec, s[4:5]
	s_cbranch_execz .LBB144_30
; %bb.29:
	v_lshl_add_u64 v[12:13], v[20:21], 4, s[2:3]
	global_store_dwordx4 v[12:13], v[8:11], off
	global_store_dwordx4 v[12:13], v[4:7], off offset:16
	global_store_dwordx4 v[12:13], v[0:3], off offset:32
                                        ; implicit-def: $vgpr12_vgpr13
                                        ; implicit-def: $vgpr14_vgpr15
                                        ; implicit-def: $vgpr20
                                        ; implicit-def: $vgpr8_vgpr9
                                        ; implicit-def: $vgpr4_vgpr5
                                        ; implicit-def: $vgpr0_vgpr1
.LBB144_30:
	s_andn2_saveexec_b64 s[0:1], s[0:1]
	s_cbranch_execz .LBB144_12
; %bb.31:
	v_lshl_add_u64 v[28:29], v[20:21], 4, s[2:3]
	global_load_dwordx4 v[16:19], v[28:29], off
	global_load_dwordx4 v[20:23], v[28:29], off offset:16
	global_load_dwordx4 v[24:27], v[28:29], off offset:32
	s_waitcnt vmcnt(2)
	v_fmac_f64_e32 v[8:9], v[12:13], v[16:17]
	v_fmac_f64_e32 v[10:11], v[14:15], v[16:17]
	s_waitcnt vmcnt(1)
	v_fmac_f64_e32 v[4:5], v[12:13], v[20:21]
	v_fmac_f64_e32 v[6:7], v[14:15], v[20:21]
	;; [unrolled: 3-line block ×3, first 2 shown]
	v_fma_f64 v[8:9], -v[14:15], v[18:19], v[8:9]
	v_fmac_f64_e32 v[10:11], v[12:13], v[18:19]
	v_fma_f64 v[4:5], -v[14:15], v[22:23], v[4:5]
	v_fmac_f64_e32 v[6:7], v[12:13], v[22:23]
	;; [unrolled: 2-line block ×3, first 2 shown]
	global_store_dwordx4 v[28:29], v[8:11], off
	global_store_dwordx4 v[28:29], v[4:7], off offset:16
	global_store_dwordx4 v[28:29], v[0:3], off offset:32
	s_endpgm
	.section	.rodata,"a",@progbits
	.p2align	6, 0x0
	.amdhsa_kernel _ZN9rocsparseL18bsrxmvn_3x3_kernelILj256ELj64E21rocsparse_complex_numIdElidS2_S2_EEvT3_20rocsparse_direction_NS_24const_host_device_scalarIT1_EES3_PKS3_PKT2_SC_S9_PKT4_PKT5_S7_PT6_21rocsparse_index_base_b
		.amdhsa_group_segment_fixed_size 4096
		.amdhsa_private_segment_fixed_size 0
		.amdhsa_kernarg_size 112
		.amdhsa_user_sgpr_count 4
		.amdhsa_user_sgpr_dispatch_ptr 1
		.amdhsa_user_sgpr_queue_ptr 0
		.amdhsa_user_sgpr_kernarg_segment_ptr 1
		.amdhsa_user_sgpr_dispatch_id 0
		.amdhsa_user_sgpr_kernarg_preload_length 0
		.amdhsa_user_sgpr_kernarg_preload_offset 0
		.amdhsa_user_sgpr_private_segment_size 0
		.amdhsa_uses_dynamic_stack 0
		.amdhsa_enable_private_segment 0
		.amdhsa_system_sgpr_workgroup_id_x 1
		.amdhsa_system_sgpr_workgroup_id_y 0
		.amdhsa_system_sgpr_workgroup_id_z 0
		.amdhsa_system_sgpr_workgroup_info 0
		.amdhsa_system_vgpr_workitem_id 2
		.amdhsa_next_free_vgpr 68
		.amdhsa_next_free_sgpr 20
		.amdhsa_accum_offset 68
		.amdhsa_reserve_vcc 1
		.amdhsa_float_round_mode_32 0
		.amdhsa_float_round_mode_16_64 0
		.amdhsa_float_denorm_mode_32 3
		.amdhsa_float_denorm_mode_16_64 3
		.amdhsa_dx10_clamp 1
		.amdhsa_ieee_mode 1
		.amdhsa_fp16_overflow 0
		.amdhsa_tg_split 0
		.amdhsa_exception_fp_ieee_invalid_op 0
		.amdhsa_exception_fp_denorm_src 0
		.amdhsa_exception_fp_ieee_div_zero 0
		.amdhsa_exception_fp_ieee_overflow 0
		.amdhsa_exception_fp_ieee_underflow 0
		.amdhsa_exception_fp_ieee_inexact 0
		.amdhsa_exception_int_div_zero 0
	.end_amdhsa_kernel
	.section	.text._ZN9rocsparseL18bsrxmvn_3x3_kernelILj256ELj64E21rocsparse_complex_numIdElidS2_S2_EEvT3_20rocsparse_direction_NS_24const_host_device_scalarIT1_EES3_PKS3_PKT2_SC_S9_PKT4_PKT5_S7_PT6_21rocsparse_index_base_b,"axG",@progbits,_ZN9rocsparseL18bsrxmvn_3x3_kernelILj256ELj64E21rocsparse_complex_numIdElidS2_S2_EEvT3_20rocsparse_direction_NS_24const_host_device_scalarIT1_EES3_PKS3_PKT2_SC_S9_PKT4_PKT5_S7_PT6_21rocsparse_index_base_b,comdat
.Lfunc_end144:
	.size	_ZN9rocsparseL18bsrxmvn_3x3_kernelILj256ELj64E21rocsparse_complex_numIdElidS2_S2_EEvT3_20rocsparse_direction_NS_24const_host_device_scalarIT1_EES3_PKS3_PKT2_SC_S9_PKT4_PKT5_S7_PT6_21rocsparse_index_base_b, .Lfunc_end144-_ZN9rocsparseL18bsrxmvn_3x3_kernelILj256ELj64E21rocsparse_complex_numIdElidS2_S2_EEvT3_20rocsparse_direction_NS_24const_host_device_scalarIT1_EES3_PKS3_PKT2_SC_S9_PKT4_PKT5_S7_PT6_21rocsparse_index_base_b
                                        ; -- End function
	.section	.AMDGPU.csdata,"",@progbits
; Kernel info:
; codeLenInByte = 2692
; NumSgprs: 26
; NumVgprs: 68
; NumAgprs: 0
; TotalNumVgprs: 68
; ScratchSize: 0
; MemoryBound: 0
; FloatMode: 240
; IeeeMode: 1
; LDSByteSize: 4096 bytes/workgroup (compile time only)
; SGPRBlocks: 3
; VGPRBlocks: 8
; NumSGPRsForWavesPerEU: 26
; NumVGPRsForWavesPerEU: 68
; AccumOffset: 68
; Occupancy: 7
; WaveLimiterHint : 1
; COMPUTE_PGM_RSRC2:SCRATCH_EN: 0
; COMPUTE_PGM_RSRC2:USER_SGPR: 4
; COMPUTE_PGM_RSRC2:TRAP_HANDLER: 0
; COMPUTE_PGM_RSRC2:TGID_X_EN: 1
; COMPUTE_PGM_RSRC2:TGID_Y_EN: 0
; COMPUTE_PGM_RSRC2:TGID_Z_EN: 0
; COMPUTE_PGM_RSRC2:TIDIG_COMP_CNT: 2
; COMPUTE_PGM_RSRC3_GFX90A:ACCUM_OFFSET: 16
; COMPUTE_PGM_RSRC3_GFX90A:TG_SPLIT: 0
	.section	.text._ZN9rocsparseL18bsrxmvn_3x3_kernelILj256ELj4E21rocsparse_complex_numIdElldS2_S2_EEvT3_20rocsparse_direction_NS_24const_host_device_scalarIT1_EES3_PKS3_PKT2_SC_S9_PKT4_PKT5_S7_PT6_21rocsparse_index_base_b,"axG",@progbits,_ZN9rocsparseL18bsrxmvn_3x3_kernelILj256ELj4E21rocsparse_complex_numIdElldS2_S2_EEvT3_20rocsparse_direction_NS_24const_host_device_scalarIT1_EES3_PKS3_PKT2_SC_S9_PKT4_PKT5_S7_PT6_21rocsparse_index_base_b,comdat
	.globl	_ZN9rocsparseL18bsrxmvn_3x3_kernelILj256ELj4E21rocsparse_complex_numIdElldS2_S2_EEvT3_20rocsparse_direction_NS_24const_host_device_scalarIT1_EES3_PKS3_PKT2_SC_S9_PKT4_PKT5_S7_PT6_21rocsparse_index_base_b ; -- Begin function _ZN9rocsparseL18bsrxmvn_3x3_kernelILj256ELj4E21rocsparse_complex_numIdElldS2_S2_EEvT3_20rocsparse_direction_NS_24const_host_device_scalarIT1_EES3_PKS3_PKT2_SC_S9_PKT4_PKT5_S7_PT6_21rocsparse_index_base_b
	.p2align	8
	.type	_ZN9rocsparseL18bsrxmvn_3x3_kernelILj256ELj4E21rocsparse_complex_numIdElldS2_S2_EEvT3_20rocsparse_direction_NS_24const_host_device_scalarIT1_EES3_PKS3_PKT2_SC_S9_PKT4_PKT5_S7_PT6_21rocsparse_index_base_b,@function
_ZN9rocsparseL18bsrxmvn_3x3_kernelILj256ELj4E21rocsparse_complex_numIdElldS2_S2_EEvT3_20rocsparse_direction_NS_24const_host_device_scalarIT1_EES3_PKS3_PKT2_SC_S9_PKT4_PKT5_S7_PT6_21rocsparse_index_base_b: ; @_ZN9rocsparseL18bsrxmvn_3x3_kernelILj256ELj4E21rocsparse_complex_numIdElldS2_S2_EEvT3_20rocsparse_direction_NS_24const_host_device_scalarIT1_EES3_PKS3_PKT2_SC_S9_PKT4_PKT5_S7_PT6_21rocsparse_index_base_b
; %bb.0:
	s_load_dwordx2 s[16:17], s[2:3], 0x70
	s_load_dwordx4 s[12:15], s[2:3], 0x10
	s_load_dwordx2 s[18:19], s[0:1], 0x4
	s_load_dwordx4 s[8:11], s[2:3], 0x58
	s_mov_b64 s[6:7], src_shared_base
	v_and_b32_e32 v2, 0x3ff, v0
	s_waitcnt lgkmcnt(0)
	s_bitcmp1_b32 s17, 0
	s_cselect_b64 s[0:1], -1, 0
	s_and_b64 vcc, s[0:1], exec
	s_cselect_b32 s5, s7, s13
	s_lshr_b32 s6, s18, 16
	s_mul_i32 s6, s6, s19
	v_mul_lo_u32 v3, s6, v2
	v_bfe_u32 v4, v0, 10, 10
	v_mad_u32_u24 v3, v4, s19, v3
	v_bfe_u32 v0, v0, 20, 10
	v_add_lshl_u32 v0, v3, v0, 3
	v_mov_b32_e32 v1, s12
	v_add_u32_e32 v3, 0x800, v0
	v_mov_b64_e32 v[4:5], s[12:13]
	v_mov_b64_e32 v[6:7], s[8:9]
	ds_write2st64_b64 v0, v[6:7], v[4:5] offset1:4
	v_cndmask_b32_e64 v4, v1, v3, s[0:1]
	v_mov_b32_e32 v5, s5
	flat_load_dwordx2 v[16:17], v[4:5]
	s_xor_b64 s[18:19], s[0:1], -1
	v_mov_b64_e32 v[18:19], s[14:15]
	s_cbranch_vccnz .LBB145_2
; %bb.1:
	v_mov_b64_e32 v[4:5], s[12:13]
	flat_load_dwordx2 v[18:19], v[4:5] offset:8
.LBB145_2:
	s_and_b64 s[12:13], s[0:1], exec
	s_cselect_b32 s5, s7, s9
	v_mov_b32_e32 v1, s8
	v_cndmask_b32_e64 v0, v1, v0, s[0:1]
	v_mov_b32_e32 v1, s5
	flat_load_dwordx2 v[12:13], v[0:1]
	s_andn2_b64 vcc, exec, s[18:19]
	v_mov_b64_e32 v[14:15], s[10:11]
	s_cbranch_vccnz .LBB145_4
; %bb.3:
	v_mov_b64_e32 v[0:1], s[8:9]
	flat_load_dwordx2 v[14:15], v[0:1] offset:8
.LBB145_4:
	s_waitcnt vmcnt(0) lgkmcnt(0)
	v_cmp_eq_f64_e32 vcc, 0, v[16:17]
	v_cmp_eq_f64_e64 s[0:1], 0, v[18:19]
	s_and_b64 s[8:9], vcc, s[0:1]
	s_mov_b64 s[0:1], -1
	s_and_saveexec_b64 s[6:7], s[8:9]
; %bb.5:
	v_cmp_neq_f64_e32 vcc, 1.0, v[12:13]
	v_cmp_neq_f64_e64 s[0:1], 0, v[14:15]
	s_or_b64 s[0:1], vcc, s[0:1]
	s_orn2_b64 s[0:1], s[0:1], exec
; %bb.6:
	s_or_b64 exec, exec, s[6:7]
	s_and_saveexec_b64 s[6:7], s[0:1]
	s_cbranch_execz .LBB145_12
; %bb.7:
	s_load_dwordx2 s[6:7], s[2:3], 0x28
	v_lshrrev_b32_e32 v0, 2, v2
	v_lshl_or_b32 v0, s4, 6, v0
	v_mov_b32_e32 v1, 0
	s_mov_b64 s[0:1], 0
	s_waitcnt lgkmcnt(0)
	s_cmp_lg_u64 s[6:7], 0
	s_cbranch_scc0 .LBB145_13
; %bb.8:
	s_load_dwordx2 s[4:5], s[2:3], 0x20
                                        ; implicit-def: $vgpr20_vgpr21
	s_waitcnt lgkmcnt(0)
	v_cmp_gt_i64_e32 vcc, s[4:5], v[0:1]
	s_and_saveexec_b64 s[4:5], vcc
	s_xor_b64 s[4:5], exec, s[4:5]
                                        ; implicit-def: $sgpr12_sgpr13
	s_cbranch_execz .LBB145_10
; %bb.9:
	v_lshl_add_u64 v[4:5], v[0:1], 3, s[6:7]
	global_load_dwordx2 v[4:5], v[4:5], off
	s_mov_b64 s[0:1], exec
	s_mov_b32 s13, 0
	s_waitcnt vmcnt(0)
	v_subrev_co_u32_e32 v20, vcc, s16, v4
	s_nop 1
	v_subbrev_co_u32_e32 v21, vcc, 0, v5, vcc
.LBB145_10:
	s_or_b64 exec, exec, s[4:5]
.LBB145_11:
	s_and_b64 exec, exec, s[0:1]
	s_cbranch_execnz .LBB145_17
.LBB145_12:
	s_endpgm
.LBB145_13:
                                        ; implicit-def: $vgpr20_vgpr21
                                        ; implicit-def: $sgpr12_sgpr13
	s_cbranch_execz .LBB145_11
; %bb.14:
	s_load_dwordx2 s[4:5], s[2:3], 0x0
                                        ; implicit-def: $vgpr20_vgpr21
	s_waitcnt lgkmcnt(0)
	v_cmp_gt_i64_e32 vcc, s[4:5], v[0:1]
	s_and_saveexec_b64 s[4:5], vcc
                                        ; implicit-def: $sgpr12_sgpr13
; %bb.15:
	s_mov_b32 s13, 0
	s_or_b64 s[0:1], s[0:1], exec
	v_mov_b64_e32 v[20:21], v[0:1]
; %bb.16:
	s_or_b64 exec, exec, s[4:5]
	s_and_b64 exec, exec, s[0:1]
	s_cbranch_execz .LBB145_12
.LBB145_17:
	s_load_dwordx8 s[4:11], s[2:3], 0x30
	v_lshlrev_b64 v[0:1], 3, v[20:21]
	s_load_dword s0, s[2:3], 0x8
	v_mov_b32_e32 v8, s13
	s_waitcnt lgkmcnt(0)
	v_lshl_add_u64 v[4:5], s[4:5], 0, v[0:1]
	global_load_dwordx2 v[6:7], v[4:5], off
	s_cmp_eq_u64 s[6:7], 0
	v_lshl_add_u64 v[0:1], s[6:7], 0, v[0:1]
	v_lshl_add_u64 v[4:5], v[4:5], 0, 8
	s_cselect_b64 vcc, -1, 0
	v_cndmask_b32_e32 v1, v1, v5, vcc
	v_cndmask_b32_e32 v0, v0, v4, vcc
	global_load_dwordx2 v[4:5], v[0:1], off
	v_and_b32_e32 v0, 3, v2
	v_mov_b32_e32 v1, 0
	s_load_dwordx2 s[4:5], s[2:3], 0x50
	s_movk_i32 s6, 0x48
	v_mov_b64_e32 v[2:3], s[10:11]
	s_cmp_eq_u32 s0, 1
	s_waitcnt vmcnt(1)
	v_subrev_co_u32_e32 v6, vcc, s16, v6
	s_nop 1
	v_subb_co_u32_e32 v7, vcc, v7, v8, vcc
	v_lshl_add_u64 v[10:11], v[6:7], 0, v[0:1]
	v_mad_u64_u32 v[26:27], s[0:1], v10, s6, v[2:3]
	s_waitcnt vmcnt(0)
	v_subrev_co_u32_e32 v22, vcc, s16, v4
	v_mov_b32_e32 v2, v27
	s_nop 0
	v_subb_co_u32_e32 v23, vcc, v5, v8, vcc
	v_mad_u64_u32 v[2:3], s[0:1], v11, s6, v[2:3]
	v_mov_b32_e32 v27, v2
	v_cmp_lt_i64_e64 s[0:1], v[10:11], v[22:23]
	s_cbranch_scc1 .LBB145_23
; %bb.18:
	v_mov_b64_e32 v[2:3], 0
	s_mov_b64 s[6:7], 0
	v_mov_b64_e32 v[28:29], v[2:3]
	v_mov_b64_e32 v[6:7], v[2:3]
	;; [unrolled: 1-line block ×5, first 2 shown]
	s_and_saveexec_b64 s[10:11], s[0:1]
	s_cbranch_execz .LBB145_22
; %bb.19:
	v_mov_b64_e32 v[2:3], 0
	v_lshl_add_u64 v[30:31], v[10:11], 3, s[8:9]
	s_mov_b64 s[14:15], 0
	v_mov_b32_e32 v1, s13
	s_mov_b64 s[18:19], 0x120
	v_mov_b64_e32 v[32:33], v[10:11]
	v_mov_b64_e32 v[34:35], v[26:27]
	;; [unrolled: 1-line block ×7, first 2 shown]
.LBB145_20:                             ; =>This Inner Loop Header: Depth=1
	global_load_dwordx2 v[52:53], v[30:31], off
	global_load_dwordx4 v[36:39], v[34:35], off offset:48
	global_load_dwordx4 v[40:43], v[34:35], off offset:32
	;; [unrolled: 1-line block ×3, first 2 shown]
	global_load_dwordx4 v[48:51], v[34:35], off
	global_load_dwordx2 v[64:65], v[34:35], off offset:64
	v_lshl_add_u64 v[32:33], v[32:33], 0, 4
	v_lshl_add_u64 v[34:35], v[34:35], 0, s[18:19]
	;; [unrolled: 1-line block ×3, first 2 shown]
	s_waitcnt vmcnt(5)
	v_subrev_co_u32_e32 v52, vcc, s16, v52
	s_waitcnt lgkmcnt(0)
	v_mad_u64_u32 v[66:67], s[20:21], v52, 48, s[4:5]
	v_subb_co_u32_e32 v53, vcc, v53, v1, vcc
	v_mov_b32_e32 v52, v67
	v_mad_u64_u32 v[52:53], s[20:21], v53, 48, v[52:53]
	v_mov_b32_e32 v67, v52
	global_load_dwordx4 v[52:55], v[66:67], off
	global_load_dwordx4 v[56:59], v[66:67], off offset:16
	global_load_dwordx4 v[60:63], v[66:67], off offset:32
	v_cmp_ge_i64_e32 vcc, v[32:33], v[22:23]
	s_or_b64 s[14:15], vcc, s[14:15]
	s_waitcnt vmcnt(2)
	v_fmac_f64_e32 v[28:29], v[48:49], v[52:53]
	v_fmac_f64_e32 v[2:3], 0, v[52:53]
	v_fmac_f64_e32 v[24:25], v[46:47], v[52:53]
	v_fmac_f64_e32 v[6:7], 0, v[52:53]
	v_fmac_f64_e32 v[8:9], v[36:37], v[52:53]
	v_fmac_f64_e32 v[4:5], 0, v[52:53]
	v_fmac_f64_e32 v[28:29], 0x80000000, v[54:55]
	v_fmac_f64_e32 v[2:3], v[48:49], v[54:55]
	v_fmac_f64_e32 v[24:25], 0x80000000, v[54:55]
	v_fmac_f64_e32 v[6:7], v[46:47], v[54:55]
	v_fmac_f64_e32 v[8:9], 0x80000000, v[54:55]
	v_fmac_f64_e32 v[4:5], v[36:37], v[54:55]
	s_waitcnt vmcnt(1)
	v_fmac_f64_e32 v[28:29], v[50:51], v[56:57]
	v_fmac_f64_e32 v[2:3], 0, v[56:57]
	v_fmac_f64_e32 v[24:25], v[40:41], v[56:57]
	v_fmac_f64_e32 v[6:7], 0, v[56:57]
	v_fmac_f64_e32 v[8:9], v[38:39], v[56:57]
	v_fmac_f64_e32 v[4:5], 0, v[56:57]
	v_fmac_f64_e32 v[28:29], 0x80000000, v[58:59]
	v_fmac_f64_e32 v[2:3], v[50:51], v[58:59]
	v_fmac_f64_e32 v[24:25], 0x80000000, v[58:59]
	v_fmac_f64_e32 v[6:7], v[40:41], v[58:59]
	v_fmac_f64_e32 v[8:9], 0x80000000, v[58:59]
	v_fmac_f64_e32 v[4:5], v[38:39], v[58:59]
	;; [unrolled: 13-line block ×3, first 2 shown]
	s_andn2_b64 exec, exec, s[14:15]
	s_cbranch_execnz .LBB145_20
; %bb.21:
	s_or_b64 exec, exec, s[14:15]
.LBB145_22:
	s_or_b64 exec, exec, s[10:11]
	s_andn2_b64 vcc, exec, s[6:7]
	s_cbranch_vccz .LBB145_24
	s_branch .LBB145_29
.LBB145_23:
                                        ; implicit-def: $vgpr2_vgpr3
                                        ; implicit-def: $vgpr28_vgpr29
                                        ; implicit-def: $vgpr6_vgpr7
                                        ; implicit-def: $vgpr24_vgpr25
                                        ; implicit-def: $vgpr4_vgpr5
                                        ; implicit-def: $vgpr8_vgpr9
.LBB145_24:
	v_mov_b64_e32 v[2:3], 0
	v_mov_b64_e32 v[28:29], v[2:3]
	;; [unrolled: 1-line block ×6, first 2 shown]
	s_and_saveexec_b64 s[6:7], s[0:1]
	s_cbranch_execz .LBB145_28
; %bb.25:
	v_mov_b64_e32 v[2:3], 0
	v_lshl_add_u64 v[30:31], v[10:11], 3, s[8:9]
	s_mov_b64 s[0:1], 0
	v_mov_b32_e32 v1, s13
	s_mov_b64 s[8:9], 0x120
	v_mov_b64_e32 v[28:29], v[2:3]
	v_mov_b64_e32 v[6:7], v[2:3]
	;; [unrolled: 1-line block ×5, first 2 shown]
.LBB145_26:                             ; =>This Inner Loop Header: Depth=1
	global_load_dwordx2 v[48:49], v[30:31], off
	global_load_dwordx4 v[32:35], v[26:27], off offset:48
	global_load_dwordx4 v[36:39], v[26:27], off offset:32
	;; [unrolled: 1-line block ×3, first 2 shown]
	global_load_dwordx4 v[44:47], v[26:27], off
	global_load_dwordx2 v[60:61], v[26:27], off offset:64
	v_lshl_add_u64 v[10:11], v[10:11], 0, 4
	v_lshl_add_u64 v[26:27], v[26:27], 0, s[8:9]
	;; [unrolled: 1-line block ×3, first 2 shown]
	s_waitcnt vmcnt(5)
	v_subrev_co_u32_e32 v48, vcc, s16, v48
	s_waitcnt lgkmcnt(0)
	v_mad_u64_u32 v[62:63], s[10:11], v48, 48, s[4:5]
	v_subb_co_u32_e32 v49, vcc, v49, v1, vcc
	v_mov_b32_e32 v48, v63
	v_mad_u64_u32 v[48:49], s[10:11], v49, 48, v[48:49]
	v_mov_b32_e32 v63, v48
	global_load_dwordx4 v[48:51], v[62:63], off
	global_load_dwordx4 v[52:55], v[62:63], off offset:16
	global_load_dwordx4 v[56:59], v[62:63], off offset:32
	v_cmp_ge_i64_e32 vcc, v[10:11], v[22:23]
	s_or_b64 s[0:1], vcc, s[0:1]
	s_waitcnt vmcnt(2)
	v_fmac_f64_e32 v[28:29], v[44:45], v[48:49]
	v_fmac_f64_e32 v[2:3], 0, v[48:49]
	v_fmac_f64_e32 v[24:25], v[46:47], v[48:49]
	v_fmac_f64_e32 v[6:7], 0, v[48:49]
	v_fmac_f64_e32 v[8:9], v[40:41], v[48:49]
	v_fmac_f64_e32 v[4:5], 0, v[48:49]
	v_fmac_f64_e32 v[28:29], 0x80000000, v[50:51]
	v_fmac_f64_e32 v[2:3], v[44:45], v[50:51]
	v_fmac_f64_e32 v[24:25], 0x80000000, v[50:51]
	v_fmac_f64_e32 v[6:7], v[46:47], v[50:51]
	v_fmac_f64_e32 v[8:9], 0x80000000, v[50:51]
	v_fmac_f64_e32 v[4:5], v[40:41], v[50:51]
	s_waitcnt vmcnt(1)
	v_fmac_f64_e32 v[28:29], v[42:43], v[52:53]
	v_fmac_f64_e32 v[2:3], 0, v[52:53]
	v_fmac_f64_e32 v[24:25], v[36:37], v[52:53]
	v_fmac_f64_e32 v[6:7], 0, v[52:53]
	v_fmac_f64_e32 v[8:9], v[38:39], v[52:53]
	v_fmac_f64_e32 v[4:5], 0, v[52:53]
	v_fmac_f64_e32 v[28:29], 0x80000000, v[54:55]
	v_fmac_f64_e32 v[2:3], v[42:43], v[54:55]
	v_fmac_f64_e32 v[24:25], 0x80000000, v[54:55]
	v_fmac_f64_e32 v[6:7], v[36:37], v[54:55]
	v_fmac_f64_e32 v[8:9], 0x80000000, v[54:55]
	v_fmac_f64_e32 v[4:5], v[38:39], v[54:55]
	;; [unrolled: 13-line block ×3, first 2 shown]
	s_andn2_b64 exec, exec, s[0:1]
	s_cbranch_execnz .LBB145_26
; %bb.27:
	s_or_b64 exec, exec, s[0:1]
.LBB145_28:
	s_or_b64 exec, exec, s[6:7]
.LBB145_29:
	v_mov_b32_dpp v10, v28 row_shr:1 row_mask:0xf bank_mask:0xf
	v_mov_b32_dpp v11, v29 row_shr:1 row_mask:0xf bank_mask:0xf
	v_add_f64 v[10:11], v[28:29], v[10:11]
	v_mov_b32_dpp v26, v2 row_shr:1 row_mask:0xf bank_mask:0xf
	v_mov_b32_dpp v27, v3 row_shr:1 row_mask:0xf bank_mask:0xf
	;; [unrolled: 1-line block ×10, first 2 shown]
	v_add_f64 v[2:3], v[2:3], v[26:27]
	v_add_f64 v[24:25], v[24:25], v[28:29]
	;; [unrolled: 1-line block ×5, first 2 shown]
	v_mov_b32_dpp v22, v10 row_shr:2 row_mask:0xf bank_mask:0xf
	v_mov_b32_dpp v23, v11 row_shr:2 row_mask:0xf bank_mask:0xf
	;; [unrolled: 1-line block ×12, first 2 shown]
	v_cmp_eq_u32_e32 vcc, 3, v0
	s_and_b64 exec, exec, vcc
	s_cbranch_execz .LBB145_12
; %bb.30:
	s_load_dwordx2 s[2:3], s[2:3], 0x68
	v_add_f64 v[0:1], v[2:3], v[26:27]
	v_add_f64 v[24:25], v[24:25], v[28:29]
	;; [unrolled: 1-line block ×6, first 2 shown]
	v_cmp_eq_f64_e32 vcc, 0, v[12:13]
	v_cmp_eq_f64_e64 s[0:1], 0, v[14:15]
	v_mul_f64 v[8:9], v[0:1], -v[18:19]
	v_mul_f64 v[10:11], v[16:17], v[0:1]
	v_mul_f64 v[4:5], v[2:3], -v[18:19]
	v_mul_f64 v[6:7], v[16:17], v[2:3]
	;; [unrolled: 2-line block ×3, first 2 shown]
	s_and_b64 s[0:1], vcc, s[0:1]
	v_fmac_f64_e32 v[8:9], v[16:17], v[22:23]
	v_fmac_f64_e32 v[10:11], v[18:19], v[22:23]
	;; [unrolled: 1-line block ×6, first 2 shown]
	s_waitcnt lgkmcnt(0)
	s_and_saveexec_b64 s[4:5], s[0:1]
	s_xor_b64 s[0:1], exec, s[4:5]
	s_cbranch_execz .LBB145_32
; %bb.31:
	v_mad_u64_u32 v[12:13], s[4:5], v20, 48, s[2:3]
	v_mov_b32_e32 v14, v13
	v_mad_u64_u32 v[14:15], s[4:5], v21, 48, v[14:15]
	v_mov_b32_e32 v13, v14
	global_store_dwordx4 v[12:13], v[8:11], off
	global_store_dwordx4 v[12:13], v[4:7], off offset:16
	global_store_dwordx4 v[12:13], v[0:3], off offset:32
                                        ; implicit-def: $vgpr12_vgpr13
                                        ; implicit-def: $vgpr14_vgpr15
                                        ; implicit-def: $vgpr20_vgpr21
                                        ; implicit-def: $vgpr8_vgpr9
                                        ; implicit-def: $vgpr4_vgpr5
                                        ; implicit-def: $vgpr0_vgpr1
.LBB145_32:
	s_andn2_saveexec_b64 s[0:1], s[0:1]
	s_cbranch_execz .LBB145_12
; %bb.33:
	v_mad_u64_u32 v[28:29], s[0:1], v20, 48, s[2:3]
	v_mov_b32_e32 v16, v29
	v_mad_u64_u32 v[16:17], s[0:1], v21, 48, v[16:17]
	v_mov_b32_e32 v29, v16
	global_load_dwordx4 v[16:19], v[28:29], off
	global_load_dwordx4 v[20:23], v[28:29], off offset:16
	global_load_dwordx4 v[24:27], v[28:29], off offset:32
	s_waitcnt vmcnt(2)
	v_fmac_f64_e32 v[8:9], v[12:13], v[16:17]
	v_fmac_f64_e32 v[10:11], v[14:15], v[16:17]
	s_waitcnt vmcnt(1)
	v_fmac_f64_e32 v[4:5], v[12:13], v[20:21]
	v_fmac_f64_e32 v[6:7], v[14:15], v[20:21]
	;; [unrolled: 3-line block ×3, first 2 shown]
	v_fma_f64 v[8:9], -v[14:15], v[18:19], v[8:9]
	v_fmac_f64_e32 v[10:11], v[12:13], v[18:19]
	v_fma_f64 v[4:5], -v[14:15], v[22:23], v[4:5]
	v_fmac_f64_e32 v[6:7], v[12:13], v[22:23]
	;; [unrolled: 2-line block ×3, first 2 shown]
	global_store_dwordx4 v[28:29], v[8:11], off
	global_store_dwordx4 v[28:29], v[4:7], off offset:16
	global_store_dwordx4 v[28:29], v[0:3], off offset:32
	s_endpgm
	.section	.rodata,"a",@progbits
	.p2align	6, 0x0
	.amdhsa_kernel _ZN9rocsparseL18bsrxmvn_3x3_kernelILj256ELj4E21rocsparse_complex_numIdElldS2_S2_EEvT3_20rocsparse_direction_NS_24const_host_device_scalarIT1_EES3_PKS3_PKT2_SC_S9_PKT4_PKT5_S7_PT6_21rocsparse_index_base_b
		.amdhsa_group_segment_fixed_size 4096
		.amdhsa_private_segment_fixed_size 0
		.amdhsa_kernarg_size 120
		.amdhsa_user_sgpr_count 4
		.amdhsa_user_sgpr_dispatch_ptr 1
		.amdhsa_user_sgpr_queue_ptr 0
		.amdhsa_user_sgpr_kernarg_segment_ptr 1
		.amdhsa_user_sgpr_dispatch_id 0
		.amdhsa_user_sgpr_kernarg_preload_length 0
		.amdhsa_user_sgpr_kernarg_preload_offset 0
		.amdhsa_user_sgpr_private_segment_size 0
		.amdhsa_uses_dynamic_stack 0
		.amdhsa_enable_private_segment 0
		.amdhsa_system_sgpr_workgroup_id_x 1
		.amdhsa_system_sgpr_workgroup_id_y 0
		.amdhsa_system_sgpr_workgroup_id_z 0
		.amdhsa_system_sgpr_workgroup_info 0
		.amdhsa_system_vgpr_workitem_id 2
		.amdhsa_next_free_vgpr 68
		.amdhsa_next_free_sgpr 22
		.amdhsa_accum_offset 68
		.amdhsa_reserve_vcc 1
		.amdhsa_float_round_mode_32 0
		.amdhsa_float_round_mode_16_64 0
		.amdhsa_float_denorm_mode_32 3
		.amdhsa_float_denorm_mode_16_64 3
		.amdhsa_dx10_clamp 1
		.amdhsa_ieee_mode 1
		.amdhsa_fp16_overflow 0
		.amdhsa_tg_split 0
		.amdhsa_exception_fp_ieee_invalid_op 0
		.amdhsa_exception_fp_denorm_src 0
		.amdhsa_exception_fp_ieee_div_zero 0
		.amdhsa_exception_fp_ieee_overflow 0
		.amdhsa_exception_fp_ieee_underflow 0
		.amdhsa_exception_fp_ieee_inexact 0
		.amdhsa_exception_int_div_zero 0
	.end_amdhsa_kernel
	.section	.text._ZN9rocsparseL18bsrxmvn_3x3_kernelILj256ELj4E21rocsparse_complex_numIdElldS2_S2_EEvT3_20rocsparse_direction_NS_24const_host_device_scalarIT1_EES3_PKS3_PKT2_SC_S9_PKT4_PKT5_S7_PT6_21rocsparse_index_base_b,"axG",@progbits,_ZN9rocsparseL18bsrxmvn_3x3_kernelILj256ELj4E21rocsparse_complex_numIdElldS2_S2_EEvT3_20rocsparse_direction_NS_24const_host_device_scalarIT1_EES3_PKS3_PKT2_SC_S9_PKT4_PKT5_S7_PT6_21rocsparse_index_base_b,comdat
.Lfunc_end145:
	.size	_ZN9rocsparseL18bsrxmvn_3x3_kernelILj256ELj4E21rocsparse_complex_numIdElldS2_S2_EEvT3_20rocsparse_direction_NS_24const_host_device_scalarIT1_EES3_PKS3_PKT2_SC_S9_PKT4_PKT5_S7_PT6_21rocsparse_index_base_b, .Lfunc_end145-_ZN9rocsparseL18bsrxmvn_3x3_kernelILj256ELj4E21rocsparse_complex_numIdElldS2_S2_EEvT3_20rocsparse_direction_NS_24const_host_device_scalarIT1_EES3_PKS3_PKT2_SC_S9_PKT4_PKT5_S7_PT6_21rocsparse_index_base_b
                                        ; -- End function
	.section	.AMDGPU.csdata,"",@progbits
; Kernel info:
; codeLenInByte = 2168
; NumSgprs: 28
; NumVgprs: 68
; NumAgprs: 0
; TotalNumVgprs: 68
; ScratchSize: 0
; MemoryBound: 0
; FloatMode: 240
; IeeeMode: 1
; LDSByteSize: 4096 bytes/workgroup (compile time only)
; SGPRBlocks: 3
; VGPRBlocks: 8
; NumSGPRsForWavesPerEU: 28
; NumVGPRsForWavesPerEU: 68
; AccumOffset: 68
; Occupancy: 7
; WaveLimiterHint : 1
; COMPUTE_PGM_RSRC2:SCRATCH_EN: 0
; COMPUTE_PGM_RSRC2:USER_SGPR: 4
; COMPUTE_PGM_RSRC2:TRAP_HANDLER: 0
; COMPUTE_PGM_RSRC2:TGID_X_EN: 1
; COMPUTE_PGM_RSRC2:TGID_Y_EN: 0
; COMPUTE_PGM_RSRC2:TGID_Z_EN: 0
; COMPUTE_PGM_RSRC2:TIDIG_COMP_CNT: 2
; COMPUTE_PGM_RSRC3_GFX90A:ACCUM_OFFSET: 16
; COMPUTE_PGM_RSRC3_GFX90A:TG_SPLIT: 0
	.section	.text._ZN9rocsparseL18bsrxmvn_3x3_kernelILj256ELj8E21rocsparse_complex_numIdElldS2_S2_EEvT3_20rocsparse_direction_NS_24const_host_device_scalarIT1_EES3_PKS3_PKT2_SC_S9_PKT4_PKT5_S7_PT6_21rocsparse_index_base_b,"axG",@progbits,_ZN9rocsparseL18bsrxmvn_3x3_kernelILj256ELj8E21rocsparse_complex_numIdElldS2_S2_EEvT3_20rocsparse_direction_NS_24const_host_device_scalarIT1_EES3_PKS3_PKT2_SC_S9_PKT4_PKT5_S7_PT6_21rocsparse_index_base_b,comdat
	.globl	_ZN9rocsparseL18bsrxmvn_3x3_kernelILj256ELj8E21rocsparse_complex_numIdElldS2_S2_EEvT3_20rocsparse_direction_NS_24const_host_device_scalarIT1_EES3_PKS3_PKT2_SC_S9_PKT4_PKT5_S7_PT6_21rocsparse_index_base_b ; -- Begin function _ZN9rocsparseL18bsrxmvn_3x3_kernelILj256ELj8E21rocsparse_complex_numIdElldS2_S2_EEvT3_20rocsparse_direction_NS_24const_host_device_scalarIT1_EES3_PKS3_PKT2_SC_S9_PKT4_PKT5_S7_PT6_21rocsparse_index_base_b
	.p2align	8
	.type	_ZN9rocsparseL18bsrxmvn_3x3_kernelILj256ELj8E21rocsparse_complex_numIdElldS2_S2_EEvT3_20rocsparse_direction_NS_24const_host_device_scalarIT1_EES3_PKS3_PKT2_SC_S9_PKT4_PKT5_S7_PT6_21rocsparse_index_base_b,@function
_ZN9rocsparseL18bsrxmvn_3x3_kernelILj256ELj8E21rocsparse_complex_numIdElldS2_S2_EEvT3_20rocsparse_direction_NS_24const_host_device_scalarIT1_EES3_PKS3_PKT2_SC_S9_PKT4_PKT5_S7_PT6_21rocsparse_index_base_b: ; @_ZN9rocsparseL18bsrxmvn_3x3_kernelILj256ELj8E21rocsparse_complex_numIdElldS2_S2_EEvT3_20rocsparse_direction_NS_24const_host_device_scalarIT1_EES3_PKS3_PKT2_SC_S9_PKT4_PKT5_S7_PT6_21rocsparse_index_base_b
; %bb.0:
	s_load_dwordx2 s[16:17], s[2:3], 0x70
	s_load_dwordx4 s[12:15], s[2:3], 0x10
	s_load_dwordx2 s[18:19], s[0:1], 0x4
	s_load_dwordx4 s[8:11], s[2:3], 0x58
	s_mov_b64 s[6:7], src_shared_base
	v_and_b32_e32 v2, 0x3ff, v0
	s_waitcnt lgkmcnt(0)
	s_bitcmp1_b32 s17, 0
	s_cselect_b64 s[0:1], -1, 0
	s_and_b64 vcc, s[0:1], exec
	s_cselect_b32 s5, s7, s13
	s_lshr_b32 s6, s18, 16
	s_mul_i32 s6, s6, s19
	v_mul_lo_u32 v3, s6, v2
	v_bfe_u32 v4, v0, 10, 10
	v_mad_u32_u24 v3, v4, s19, v3
	v_bfe_u32 v0, v0, 20, 10
	v_add_lshl_u32 v0, v3, v0, 3
	v_mov_b32_e32 v1, s12
	v_add_u32_e32 v3, 0x800, v0
	v_mov_b64_e32 v[4:5], s[12:13]
	v_mov_b64_e32 v[6:7], s[8:9]
	ds_write2st64_b64 v0, v[6:7], v[4:5] offset1:4
	v_cndmask_b32_e64 v4, v1, v3, s[0:1]
	v_mov_b32_e32 v5, s5
	flat_load_dwordx2 v[16:17], v[4:5]
	s_xor_b64 s[18:19], s[0:1], -1
	v_mov_b64_e32 v[18:19], s[14:15]
	s_cbranch_vccnz .LBB146_2
; %bb.1:
	v_mov_b64_e32 v[4:5], s[12:13]
	flat_load_dwordx2 v[18:19], v[4:5] offset:8
.LBB146_2:
	s_and_b64 s[12:13], s[0:1], exec
	s_cselect_b32 s5, s7, s9
	v_mov_b32_e32 v1, s8
	v_cndmask_b32_e64 v0, v1, v0, s[0:1]
	v_mov_b32_e32 v1, s5
	flat_load_dwordx2 v[12:13], v[0:1]
	s_andn2_b64 vcc, exec, s[18:19]
	v_mov_b64_e32 v[14:15], s[10:11]
	s_cbranch_vccnz .LBB146_4
; %bb.3:
	v_mov_b64_e32 v[0:1], s[8:9]
	flat_load_dwordx2 v[14:15], v[0:1] offset:8
.LBB146_4:
	s_waitcnt vmcnt(0) lgkmcnt(0)
	v_cmp_eq_f64_e32 vcc, 0, v[16:17]
	v_cmp_eq_f64_e64 s[0:1], 0, v[18:19]
	s_and_b64 s[8:9], vcc, s[0:1]
	s_mov_b64 s[0:1], -1
	s_and_saveexec_b64 s[6:7], s[8:9]
; %bb.5:
	v_cmp_neq_f64_e32 vcc, 1.0, v[12:13]
	v_cmp_neq_f64_e64 s[0:1], 0, v[14:15]
	s_or_b64 s[0:1], vcc, s[0:1]
	s_orn2_b64 s[0:1], s[0:1], exec
; %bb.6:
	s_or_b64 exec, exec, s[6:7]
	s_and_saveexec_b64 s[6:7], s[0:1]
	s_cbranch_execz .LBB146_12
; %bb.7:
	s_load_dwordx2 s[6:7], s[2:3], 0x28
	v_lshrrev_b32_e32 v0, 3, v2
	v_lshl_or_b32 v0, s4, 5, v0
	v_mov_b32_e32 v1, 0
	s_mov_b64 s[0:1], 0
	s_waitcnt lgkmcnt(0)
	s_cmp_lg_u64 s[6:7], 0
	s_cbranch_scc0 .LBB146_13
; %bb.8:
	s_load_dwordx2 s[4:5], s[2:3], 0x20
                                        ; implicit-def: $vgpr20_vgpr21
	s_waitcnt lgkmcnt(0)
	v_cmp_gt_i64_e32 vcc, s[4:5], v[0:1]
	s_and_saveexec_b64 s[4:5], vcc
	s_xor_b64 s[4:5], exec, s[4:5]
                                        ; implicit-def: $sgpr12_sgpr13
	s_cbranch_execz .LBB146_10
; %bb.9:
	v_lshl_add_u64 v[4:5], v[0:1], 3, s[6:7]
	global_load_dwordx2 v[4:5], v[4:5], off
	s_mov_b64 s[0:1], exec
	s_mov_b32 s13, 0
	s_waitcnt vmcnt(0)
	v_subrev_co_u32_e32 v20, vcc, s16, v4
	s_nop 1
	v_subbrev_co_u32_e32 v21, vcc, 0, v5, vcc
.LBB146_10:
	s_or_b64 exec, exec, s[4:5]
.LBB146_11:
	s_and_b64 exec, exec, s[0:1]
	s_cbranch_execnz .LBB146_17
.LBB146_12:
	s_endpgm
.LBB146_13:
                                        ; implicit-def: $vgpr20_vgpr21
                                        ; implicit-def: $sgpr12_sgpr13
	s_cbranch_execz .LBB146_11
; %bb.14:
	s_load_dwordx2 s[4:5], s[2:3], 0x0
                                        ; implicit-def: $vgpr20_vgpr21
	s_waitcnt lgkmcnt(0)
	v_cmp_gt_i64_e32 vcc, s[4:5], v[0:1]
	s_and_saveexec_b64 s[4:5], vcc
                                        ; implicit-def: $sgpr12_sgpr13
; %bb.15:
	s_mov_b32 s13, 0
	s_or_b64 s[0:1], s[0:1], exec
	v_mov_b64_e32 v[20:21], v[0:1]
; %bb.16:
	s_or_b64 exec, exec, s[4:5]
	s_and_b64 exec, exec, s[0:1]
	s_cbranch_execz .LBB146_12
.LBB146_17:
	s_load_dwordx8 s[4:11], s[2:3], 0x30
	v_lshlrev_b64 v[0:1], 3, v[20:21]
	s_load_dword s0, s[2:3], 0x8
	v_mov_b32_e32 v8, s13
	s_waitcnt lgkmcnt(0)
	v_lshl_add_u64 v[4:5], s[4:5], 0, v[0:1]
	global_load_dwordx2 v[6:7], v[4:5], off
	s_cmp_eq_u64 s[6:7], 0
	v_lshl_add_u64 v[0:1], s[6:7], 0, v[0:1]
	v_lshl_add_u64 v[4:5], v[4:5], 0, 8
	s_cselect_b64 vcc, -1, 0
	v_cndmask_b32_e32 v1, v1, v5, vcc
	v_cndmask_b32_e32 v0, v0, v4, vcc
	global_load_dwordx2 v[4:5], v[0:1], off
	v_and_b32_e32 v0, 7, v2
	v_mov_b32_e32 v1, 0
	s_load_dwordx2 s[4:5], s[2:3], 0x50
	s_movk_i32 s6, 0x48
	v_mov_b64_e32 v[2:3], s[10:11]
	s_cmp_eq_u32 s0, 1
	s_waitcnt vmcnt(1)
	v_subrev_co_u32_e32 v6, vcc, s16, v6
	s_nop 1
	v_subb_co_u32_e32 v7, vcc, v7, v8, vcc
	v_lshl_add_u64 v[22:23], v[6:7], 0, v[0:1]
	v_mad_u64_u32 v[26:27], s[0:1], v22, s6, v[2:3]
	s_waitcnt vmcnt(0)
	v_subrev_co_u32_e32 v24, vcc, s16, v4
	v_mov_b32_e32 v2, v27
	s_nop 0
	v_subb_co_u32_e32 v25, vcc, v5, v8, vcc
	v_mad_u64_u32 v[2:3], s[0:1], v23, s6, v[2:3]
	v_mov_b32_e32 v27, v2
	v_cmp_lt_i64_e64 s[0:1], v[22:23], v[24:25]
	s_cbranch_scc1 .LBB146_23
; %bb.18:
	v_mov_b64_e32 v[4:5], 0
	s_mov_b64 s[6:7], 0
	v_mov_b64_e32 v[28:29], v[4:5]
	v_mov_b64_e32 v[6:7], v[4:5]
	;; [unrolled: 1-line block ×5, first 2 shown]
	s_and_saveexec_b64 s[10:11], s[0:1]
	s_cbranch_execz .LBB146_22
; %bb.19:
	v_mov_b64_e32 v[4:5], 0
	v_lshl_add_u64 v[30:31], v[22:23], 3, s[8:9]
	s_mov_b64 s[14:15], 0
	v_mov_b32_e32 v1, s13
	s_mov_b64 s[18:19], 0x240
	v_mov_b64_e32 v[32:33], v[22:23]
	v_mov_b64_e32 v[34:35], v[26:27]
	;; [unrolled: 1-line block ×7, first 2 shown]
.LBB146_20:                             ; =>This Inner Loop Header: Depth=1
	global_load_dwordx2 v[52:53], v[30:31], off
	global_load_dwordx4 v[36:39], v[34:35], off offset:48
	global_load_dwordx4 v[40:43], v[34:35], off offset:32
	;; [unrolled: 1-line block ×3, first 2 shown]
	global_load_dwordx4 v[48:51], v[34:35], off
	global_load_dwordx2 v[64:65], v[34:35], off offset:64
	v_lshl_add_u64 v[32:33], v[32:33], 0, 8
	v_lshl_add_u64 v[34:35], v[34:35], 0, s[18:19]
	;; [unrolled: 1-line block ×3, first 2 shown]
	s_waitcnt vmcnt(5)
	v_subrev_co_u32_e32 v52, vcc, s16, v52
	s_waitcnt lgkmcnt(0)
	v_mad_u64_u32 v[66:67], s[20:21], v52, 48, s[4:5]
	v_subb_co_u32_e32 v53, vcc, v53, v1, vcc
	v_mov_b32_e32 v52, v67
	v_mad_u64_u32 v[52:53], s[20:21], v53, 48, v[52:53]
	v_mov_b32_e32 v67, v52
	global_load_dwordx4 v[52:55], v[66:67], off
	global_load_dwordx4 v[56:59], v[66:67], off offset:16
	global_load_dwordx4 v[60:63], v[66:67], off offset:32
	v_cmp_ge_i64_e32 vcc, v[32:33], v[24:25]
	s_or_b64 s[14:15], vcc, s[14:15]
	s_waitcnt vmcnt(2)
	v_fmac_f64_e32 v[28:29], v[48:49], v[52:53]
	v_fmac_f64_e32 v[4:5], 0, v[52:53]
	v_fmac_f64_e32 v[10:11], v[46:47], v[52:53]
	v_fmac_f64_e32 v[6:7], 0, v[52:53]
	v_fmac_f64_e32 v[8:9], v[36:37], v[52:53]
	v_fmac_f64_e32 v[2:3], 0, v[52:53]
	v_fmac_f64_e32 v[28:29], 0x80000000, v[54:55]
	v_fmac_f64_e32 v[4:5], v[48:49], v[54:55]
	v_fmac_f64_e32 v[10:11], 0x80000000, v[54:55]
	v_fmac_f64_e32 v[6:7], v[46:47], v[54:55]
	v_fmac_f64_e32 v[8:9], 0x80000000, v[54:55]
	v_fmac_f64_e32 v[2:3], v[36:37], v[54:55]
	s_waitcnt vmcnt(1)
	v_fmac_f64_e32 v[28:29], v[50:51], v[56:57]
	v_fmac_f64_e32 v[4:5], 0, v[56:57]
	v_fmac_f64_e32 v[10:11], v[40:41], v[56:57]
	v_fmac_f64_e32 v[6:7], 0, v[56:57]
	v_fmac_f64_e32 v[8:9], v[38:39], v[56:57]
	v_fmac_f64_e32 v[2:3], 0, v[56:57]
	v_fmac_f64_e32 v[28:29], 0x80000000, v[58:59]
	v_fmac_f64_e32 v[4:5], v[50:51], v[58:59]
	v_fmac_f64_e32 v[10:11], 0x80000000, v[58:59]
	v_fmac_f64_e32 v[6:7], v[40:41], v[58:59]
	v_fmac_f64_e32 v[8:9], 0x80000000, v[58:59]
	v_fmac_f64_e32 v[2:3], v[38:39], v[58:59]
	s_waitcnt vmcnt(0)
	v_fmac_f64_e32 v[28:29], v[44:45], v[60:61]
	v_fmac_f64_e32 v[4:5], 0, v[60:61]
	v_fmac_f64_e32 v[10:11], v[42:43], v[60:61]
	v_fmac_f64_e32 v[6:7], 0, v[60:61]
	v_fmac_f64_e32 v[8:9], v[64:65], v[60:61]
	v_fmac_f64_e32 v[2:3], 0, v[60:61]
	v_fmac_f64_e32 v[28:29], 0x80000000, v[62:63]
	v_fmac_f64_e32 v[4:5], v[44:45], v[62:63]
	v_fmac_f64_e32 v[10:11], 0x80000000, v[62:63]
	v_fmac_f64_e32 v[6:7], v[42:43], v[62:63]
	v_fmac_f64_e32 v[8:9], 0x80000000, v[62:63]
	v_fmac_f64_e32 v[2:3], v[64:65], v[62:63]
	s_andn2_b64 exec, exec, s[14:15]
	s_cbranch_execnz .LBB146_20
; %bb.21:
	s_or_b64 exec, exec, s[14:15]
.LBB146_22:
	s_or_b64 exec, exec, s[10:11]
	s_andn2_b64 vcc, exec, s[6:7]
	s_cbranch_vccz .LBB146_24
	s_branch .LBB146_29
.LBB146_23:
                                        ; implicit-def: $vgpr4_vgpr5
                                        ; implicit-def: $vgpr28_vgpr29
                                        ; implicit-def: $vgpr6_vgpr7
                                        ; implicit-def: $vgpr10_vgpr11
                                        ; implicit-def: $vgpr2_vgpr3
                                        ; implicit-def: $vgpr8_vgpr9
.LBB146_24:
	v_mov_b64_e32 v[4:5], 0
	v_mov_b64_e32 v[28:29], v[4:5]
	;; [unrolled: 1-line block ×6, first 2 shown]
	s_and_saveexec_b64 s[6:7], s[0:1]
	s_cbranch_execz .LBB146_28
; %bb.25:
	v_mov_b64_e32 v[4:5], 0
	v_lshl_add_u64 v[30:31], v[22:23], 3, s[8:9]
	s_mov_b64 s[0:1], 0
	v_mov_b32_e32 v1, s13
	s_mov_b64 s[8:9], 0x240
	v_mov_b64_e32 v[28:29], v[4:5]
	v_mov_b64_e32 v[6:7], v[4:5]
	;; [unrolled: 1-line block ×5, first 2 shown]
.LBB146_26:                             ; =>This Inner Loop Header: Depth=1
	global_load_dwordx2 v[48:49], v[30:31], off
	global_load_dwordx4 v[32:35], v[26:27], off offset:48
	global_load_dwordx4 v[36:39], v[26:27], off offset:32
	;; [unrolled: 1-line block ×3, first 2 shown]
	global_load_dwordx4 v[44:47], v[26:27], off
	global_load_dwordx2 v[60:61], v[26:27], off offset:64
	v_lshl_add_u64 v[22:23], v[22:23], 0, 8
	v_lshl_add_u64 v[26:27], v[26:27], 0, s[8:9]
	;; [unrolled: 1-line block ×3, first 2 shown]
	s_waitcnt vmcnt(5)
	v_subrev_co_u32_e32 v48, vcc, s16, v48
	s_waitcnt lgkmcnt(0)
	v_mad_u64_u32 v[62:63], s[10:11], v48, 48, s[4:5]
	v_subb_co_u32_e32 v49, vcc, v49, v1, vcc
	v_mov_b32_e32 v48, v63
	v_mad_u64_u32 v[48:49], s[10:11], v49, 48, v[48:49]
	v_mov_b32_e32 v63, v48
	global_load_dwordx4 v[48:51], v[62:63], off
	global_load_dwordx4 v[52:55], v[62:63], off offset:16
	global_load_dwordx4 v[56:59], v[62:63], off offset:32
	v_cmp_ge_i64_e32 vcc, v[22:23], v[24:25]
	s_or_b64 s[0:1], vcc, s[0:1]
	s_waitcnt vmcnt(2)
	v_fmac_f64_e32 v[28:29], v[44:45], v[48:49]
	v_fmac_f64_e32 v[4:5], 0, v[48:49]
	v_fmac_f64_e32 v[10:11], v[46:47], v[48:49]
	v_fmac_f64_e32 v[6:7], 0, v[48:49]
	v_fmac_f64_e32 v[8:9], v[40:41], v[48:49]
	v_fmac_f64_e32 v[2:3], 0, v[48:49]
	v_fmac_f64_e32 v[28:29], 0x80000000, v[50:51]
	v_fmac_f64_e32 v[4:5], v[44:45], v[50:51]
	v_fmac_f64_e32 v[10:11], 0x80000000, v[50:51]
	v_fmac_f64_e32 v[6:7], v[46:47], v[50:51]
	v_fmac_f64_e32 v[8:9], 0x80000000, v[50:51]
	v_fmac_f64_e32 v[2:3], v[40:41], v[50:51]
	s_waitcnt vmcnt(1)
	v_fmac_f64_e32 v[28:29], v[42:43], v[52:53]
	v_fmac_f64_e32 v[4:5], 0, v[52:53]
	v_fmac_f64_e32 v[10:11], v[36:37], v[52:53]
	v_fmac_f64_e32 v[6:7], 0, v[52:53]
	v_fmac_f64_e32 v[8:9], v[38:39], v[52:53]
	v_fmac_f64_e32 v[2:3], 0, v[52:53]
	v_fmac_f64_e32 v[28:29], 0x80000000, v[54:55]
	v_fmac_f64_e32 v[4:5], v[42:43], v[54:55]
	v_fmac_f64_e32 v[10:11], 0x80000000, v[54:55]
	v_fmac_f64_e32 v[6:7], v[36:37], v[54:55]
	v_fmac_f64_e32 v[8:9], 0x80000000, v[54:55]
	v_fmac_f64_e32 v[2:3], v[38:39], v[54:55]
	;; [unrolled: 13-line block ×3, first 2 shown]
	s_andn2_b64 exec, exec, s[0:1]
	s_cbranch_execnz .LBB146_26
; %bb.27:
	s_or_b64 exec, exec, s[0:1]
.LBB146_28:
	s_or_b64 exec, exec, s[6:7]
.LBB146_29:
	v_mov_b32_dpp v22, v28 row_shr:1 row_mask:0xf bank_mask:0xf
	v_mov_b32_dpp v23, v29 row_shr:1 row_mask:0xf bank_mask:0xf
	v_add_f64 v[22:23], v[28:29], v[22:23]
	v_mov_b32_dpp v26, v4 row_shr:1 row_mask:0xf bank_mask:0xf
	v_mov_b32_dpp v27, v5 row_shr:1 row_mask:0xf bank_mask:0xf
	;; [unrolled: 1-line block ×10, first 2 shown]
	v_add_f64 v[4:5], v[4:5], v[26:27]
	v_add_f64 v[10:11], v[10:11], v[28:29]
	;; [unrolled: 1-line block ×5, first 2 shown]
	v_mov_b32_dpp v24, v22 row_shr:2 row_mask:0xf bank_mask:0xf
	v_mov_b32_dpp v25, v23 row_shr:2 row_mask:0xf bank_mask:0xf
	;; [unrolled: 1-line block ×12, first 2 shown]
	v_add_f64 v[22:23], v[22:23], v[24:25]
	v_add_f64 v[4:5], v[4:5], v[26:27]
	;; [unrolled: 1-line block ×6, first 2 shown]
	v_mov_b32_dpp v24, v22 row_shr:4 row_mask:0xf bank_mask:0xe
	v_mov_b32_dpp v25, v23 row_shr:4 row_mask:0xf bank_mask:0xe
	;; [unrolled: 1-line block ×12, first 2 shown]
	v_cmp_eq_u32_e32 vcc, 7, v0
	s_and_b64 exec, exec, vcc
	s_cbranch_execz .LBB146_12
; %bb.30:
	s_load_dwordx2 s[2:3], s[2:3], 0x68
	v_add_f64 v[0:1], v[4:5], v[26:27]
	v_add_f64 v[6:7], v[6:7], v[30:31]
	;; [unrolled: 1-line block ×6, first 2 shown]
	v_cmp_eq_f64_e32 vcc, 0, v[12:13]
	v_cmp_eq_f64_e64 s[0:1], 0, v[14:15]
	v_mul_f64 v[8:9], v[0:1], -v[18:19]
	v_mul_f64 v[10:11], v[16:17], v[0:1]
	v_mul_f64 v[4:5], v[6:7], -v[18:19]
	v_mul_f64 v[6:7], v[16:17], v[6:7]
	;; [unrolled: 2-line block ×3, first 2 shown]
	s_and_b64 s[0:1], vcc, s[0:1]
	v_fmac_f64_e32 v[8:9], v[16:17], v[22:23]
	v_fmac_f64_e32 v[10:11], v[18:19], v[22:23]
	;; [unrolled: 1-line block ×6, first 2 shown]
	s_waitcnt lgkmcnt(0)
	s_and_saveexec_b64 s[4:5], s[0:1]
	s_xor_b64 s[0:1], exec, s[4:5]
	s_cbranch_execz .LBB146_32
; %bb.31:
	v_mad_u64_u32 v[12:13], s[4:5], v20, 48, s[2:3]
	v_mov_b32_e32 v14, v13
	v_mad_u64_u32 v[14:15], s[4:5], v21, 48, v[14:15]
	v_mov_b32_e32 v13, v14
	global_store_dwordx4 v[12:13], v[8:11], off
	global_store_dwordx4 v[12:13], v[4:7], off offset:16
	global_store_dwordx4 v[12:13], v[0:3], off offset:32
                                        ; implicit-def: $vgpr12_vgpr13
                                        ; implicit-def: $vgpr14_vgpr15
                                        ; implicit-def: $vgpr20_vgpr21
                                        ; implicit-def: $vgpr8_vgpr9
                                        ; implicit-def: $vgpr4_vgpr5
                                        ; implicit-def: $vgpr0_vgpr1
.LBB146_32:
	s_andn2_saveexec_b64 s[0:1], s[0:1]
	s_cbranch_execz .LBB146_12
; %bb.33:
	v_mad_u64_u32 v[28:29], s[0:1], v20, 48, s[2:3]
	v_mov_b32_e32 v16, v29
	v_mad_u64_u32 v[16:17], s[0:1], v21, 48, v[16:17]
	v_mov_b32_e32 v29, v16
	global_load_dwordx4 v[16:19], v[28:29], off
	global_load_dwordx4 v[20:23], v[28:29], off offset:16
	global_load_dwordx4 v[24:27], v[28:29], off offset:32
	s_waitcnt vmcnt(2)
	v_fmac_f64_e32 v[8:9], v[12:13], v[16:17]
	v_fmac_f64_e32 v[10:11], v[14:15], v[16:17]
	s_waitcnt vmcnt(1)
	v_fmac_f64_e32 v[4:5], v[12:13], v[20:21]
	v_fmac_f64_e32 v[6:7], v[14:15], v[20:21]
	;; [unrolled: 3-line block ×3, first 2 shown]
	v_fma_f64 v[8:9], -v[14:15], v[18:19], v[8:9]
	v_fmac_f64_e32 v[10:11], v[12:13], v[18:19]
	v_fma_f64 v[4:5], -v[14:15], v[22:23], v[4:5]
	v_fmac_f64_e32 v[6:7], v[12:13], v[22:23]
	;; [unrolled: 2-line block ×3, first 2 shown]
	global_store_dwordx4 v[28:29], v[8:11], off
	global_store_dwordx4 v[28:29], v[4:7], off offset:16
	global_store_dwordx4 v[28:29], v[0:3], off offset:32
	s_endpgm
	.section	.rodata,"a",@progbits
	.p2align	6, 0x0
	.amdhsa_kernel _ZN9rocsparseL18bsrxmvn_3x3_kernelILj256ELj8E21rocsparse_complex_numIdElldS2_S2_EEvT3_20rocsparse_direction_NS_24const_host_device_scalarIT1_EES3_PKS3_PKT2_SC_S9_PKT4_PKT5_S7_PT6_21rocsparse_index_base_b
		.amdhsa_group_segment_fixed_size 4096
		.amdhsa_private_segment_fixed_size 0
		.amdhsa_kernarg_size 120
		.amdhsa_user_sgpr_count 4
		.amdhsa_user_sgpr_dispatch_ptr 1
		.amdhsa_user_sgpr_queue_ptr 0
		.amdhsa_user_sgpr_kernarg_segment_ptr 1
		.amdhsa_user_sgpr_dispatch_id 0
		.amdhsa_user_sgpr_kernarg_preload_length 0
		.amdhsa_user_sgpr_kernarg_preload_offset 0
		.amdhsa_user_sgpr_private_segment_size 0
		.amdhsa_uses_dynamic_stack 0
		.amdhsa_enable_private_segment 0
		.amdhsa_system_sgpr_workgroup_id_x 1
		.amdhsa_system_sgpr_workgroup_id_y 0
		.amdhsa_system_sgpr_workgroup_id_z 0
		.amdhsa_system_sgpr_workgroup_info 0
		.amdhsa_system_vgpr_workitem_id 2
		.amdhsa_next_free_vgpr 68
		.amdhsa_next_free_sgpr 22
		.amdhsa_accum_offset 68
		.amdhsa_reserve_vcc 1
		.amdhsa_float_round_mode_32 0
		.amdhsa_float_round_mode_16_64 0
		.amdhsa_float_denorm_mode_32 3
		.amdhsa_float_denorm_mode_16_64 3
		.amdhsa_dx10_clamp 1
		.amdhsa_ieee_mode 1
		.amdhsa_fp16_overflow 0
		.amdhsa_tg_split 0
		.amdhsa_exception_fp_ieee_invalid_op 0
		.amdhsa_exception_fp_denorm_src 0
		.amdhsa_exception_fp_ieee_div_zero 0
		.amdhsa_exception_fp_ieee_overflow 0
		.amdhsa_exception_fp_ieee_underflow 0
		.amdhsa_exception_fp_ieee_inexact 0
		.amdhsa_exception_int_div_zero 0
	.end_amdhsa_kernel
	.section	.text._ZN9rocsparseL18bsrxmvn_3x3_kernelILj256ELj8E21rocsparse_complex_numIdElldS2_S2_EEvT3_20rocsparse_direction_NS_24const_host_device_scalarIT1_EES3_PKS3_PKT2_SC_S9_PKT4_PKT5_S7_PT6_21rocsparse_index_base_b,"axG",@progbits,_ZN9rocsparseL18bsrxmvn_3x3_kernelILj256ELj8E21rocsparse_complex_numIdElldS2_S2_EEvT3_20rocsparse_direction_NS_24const_host_device_scalarIT1_EES3_PKS3_PKT2_SC_S9_PKT4_PKT5_S7_PT6_21rocsparse_index_base_b,comdat
.Lfunc_end146:
	.size	_ZN9rocsparseL18bsrxmvn_3x3_kernelILj256ELj8E21rocsparse_complex_numIdElldS2_S2_EEvT3_20rocsparse_direction_NS_24const_host_device_scalarIT1_EES3_PKS3_PKT2_SC_S9_PKT4_PKT5_S7_PT6_21rocsparse_index_base_b, .Lfunc_end146-_ZN9rocsparseL18bsrxmvn_3x3_kernelILj256ELj8E21rocsparse_complex_numIdElldS2_S2_EEvT3_20rocsparse_direction_NS_24const_host_device_scalarIT1_EES3_PKS3_PKT2_SC_S9_PKT4_PKT5_S7_PT6_21rocsparse_index_base_b
                                        ; -- End function
	.section	.AMDGPU.csdata,"",@progbits
; Kernel info:
; codeLenInByte = 2312
; NumSgprs: 28
; NumVgprs: 68
; NumAgprs: 0
; TotalNumVgprs: 68
; ScratchSize: 0
; MemoryBound: 0
; FloatMode: 240
; IeeeMode: 1
; LDSByteSize: 4096 bytes/workgroup (compile time only)
; SGPRBlocks: 3
; VGPRBlocks: 8
; NumSGPRsForWavesPerEU: 28
; NumVGPRsForWavesPerEU: 68
; AccumOffset: 68
; Occupancy: 7
; WaveLimiterHint : 1
; COMPUTE_PGM_RSRC2:SCRATCH_EN: 0
; COMPUTE_PGM_RSRC2:USER_SGPR: 4
; COMPUTE_PGM_RSRC2:TRAP_HANDLER: 0
; COMPUTE_PGM_RSRC2:TGID_X_EN: 1
; COMPUTE_PGM_RSRC2:TGID_Y_EN: 0
; COMPUTE_PGM_RSRC2:TGID_Z_EN: 0
; COMPUTE_PGM_RSRC2:TIDIG_COMP_CNT: 2
; COMPUTE_PGM_RSRC3_GFX90A:ACCUM_OFFSET: 16
; COMPUTE_PGM_RSRC3_GFX90A:TG_SPLIT: 0
	.section	.text._ZN9rocsparseL18bsrxmvn_3x3_kernelILj256ELj16E21rocsparse_complex_numIdElldS2_S2_EEvT3_20rocsparse_direction_NS_24const_host_device_scalarIT1_EES3_PKS3_PKT2_SC_S9_PKT4_PKT5_S7_PT6_21rocsparse_index_base_b,"axG",@progbits,_ZN9rocsparseL18bsrxmvn_3x3_kernelILj256ELj16E21rocsparse_complex_numIdElldS2_S2_EEvT3_20rocsparse_direction_NS_24const_host_device_scalarIT1_EES3_PKS3_PKT2_SC_S9_PKT4_PKT5_S7_PT6_21rocsparse_index_base_b,comdat
	.globl	_ZN9rocsparseL18bsrxmvn_3x3_kernelILj256ELj16E21rocsparse_complex_numIdElldS2_S2_EEvT3_20rocsparse_direction_NS_24const_host_device_scalarIT1_EES3_PKS3_PKT2_SC_S9_PKT4_PKT5_S7_PT6_21rocsparse_index_base_b ; -- Begin function _ZN9rocsparseL18bsrxmvn_3x3_kernelILj256ELj16E21rocsparse_complex_numIdElldS2_S2_EEvT3_20rocsparse_direction_NS_24const_host_device_scalarIT1_EES3_PKS3_PKT2_SC_S9_PKT4_PKT5_S7_PT6_21rocsparse_index_base_b
	.p2align	8
	.type	_ZN9rocsparseL18bsrxmvn_3x3_kernelILj256ELj16E21rocsparse_complex_numIdElldS2_S2_EEvT3_20rocsparse_direction_NS_24const_host_device_scalarIT1_EES3_PKS3_PKT2_SC_S9_PKT4_PKT5_S7_PT6_21rocsparse_index_base_b,@function
_ZN9rocsparseL18bsrxmvn_3x3_kernelILj256ELj16E21rocsparse_complex_numIdElldS2_S2_EEvT3_20rocsparse_direction_NS_24const_host_device_scalarIT1_EES3_PKS3_PKT2_SC_S9_PKT4_PKT5_S7_PT6_21rocsparse_index_base_b: ; @_ZN9rocsparseL18bsrxmvn_3x3_kernelILj256ELj16E21rocsparse_complex_numIdElldS2_S2_EEvT3_20rocsparse_direction_NS_24const_host_device_scalarIT1_EES3_PKS3_PKT2_SC_S9_PKT4_PKT5_S7_PT6_21rocsparse_index_base_b
; %bb.0:
	s_load_dwordx2 s[16:17], s[2:3], 0x70
	s_load_dwordx4 s[12:15], s[2:3], 0x10
	s_load_dwordx2 s[18:19], s[0:1], 0x4
	s_load_dwordx4 s[8:11], s[2:3], 0x58
	s_mov_b64 s[6:7], src_shared_base
	v_and_b32_e32 v2, 0x3ff, v0
	s_waitcnt lgkmcnt(0)
	s_bitcmp1_b32 s17, 0
	s_cselect_b64 s[0:1], -1, 0
	s_and_b64 vcc, s[0:1], exec
	s_cselect_b32 s5, s7, s13
	s_lshr_b32 s6, s18, 16
	s_mul_i32 s6, s6, s19
	v_mul_lo_u32 v3, s6, v2
	v_bfe_u32 v4, v0, 10, 10
	v_mad_u32_u24 v3, v4, s19, v3
	v_bfe_u32 v0, v0, 20, 10
	v_add_lshl_u32 v0, v3, v0, 3
	v_mov_b32_e32 v1, s12
	v_add_u32_e32 v3, 0x800, v0
	v_mov_b64_e32 v[4:5], s[12:13]
	v_mov_b64_e32 v[6:7], s[8:9]
	ds_write2st64_b64 v0, v[6:7], v[4:5] offset1:4
	v_cndmask_b32_e64 v4, v1, v3, s[0:1]
	v_mov_b32_e32 v5, s5
	flat_load_dwordx2 v[16:17], v[4:5]
	s_xor_b64 s[18:19], s[0:1], -1
	v_mov_b64_e32 v[18:19], s[14:15]
	s_cbranch_vccnz .LBB147_2
; %bb.1:
	v_mov_b64_e32 v[4:5], s[12:13]
	flat_load_dwordx2 v[18:19], v[4:5] offset:8
.LBB147_2:
	s_and_b64 s[12:13], s[0:1], exec
	s_cselect_b32 s5, s7, s9
	v_mov_b32_e32 v1, s8
	v_cndmask_b32_e64 v0, v1, v0, s[0:1]
	v_mov_b32_e32 v1, s5
	flat_load_dwordx2 v[12:13], v[0:1]
	s_andn2_b64 vcc, exec, s[18:19]
	v_mov_b64_e32 v[14:15], s[10:11]
	s_cbranch_vccnz .LBB147_4
; %bb.3:
	v_mov_b64_e32 v[0:1], s[8:9]
	flat_load_dwordx2 v[14:15], v[0:1] offset:8
.LBB147_4:
	s_waitcnt vmcnt(0) lgkmcnt(0)
	v_cmp_eq_f64_e32 vcc, 0, v[16:17]
	v_cmp_eq_f64_e64 s[0:1], 0, v[18:19]
	s_and_b64 s[8:9], vcc, s[0:1]
	s_mov_b64 s[0:1], -1
	s_and_saveexec_b64 s[6:7], s[8:9]
; %bb.5:
	v_cmp_neq_f64_e32 vcc, 1.0, v[12:13]
	v_cmp_neq_f64_e64 s[0:1], 0, v[14:15]
	s_or_b64 s[0:1], vcc, s[0:1]
	s_orn2_b64 s[0:1], s[0:1], exec
; %bb.6:
	s_or_b64 exec, exec, s[6:7]
	s_and_saveexec_b64 s[6:7], s[0:1]
	s_cbranch_execz .LBB147_12
; %bb.7:
	s_load_dwordx2 s[6:7], s[2:3], 0x28
	v_lshrrev_b32_e32 v0, 4, v2
	v_lshl_or_b32 v0, s4, 4, v0
	v_mov_b32_e32 v1, 0
	s_mov_b64 s[0:1], 0
	s_waitcnt lgkmcnt(0)
	s_cmp_lg_u64 s[6:7], 0
	s_cbranch_scc0 .LBB147_13
; %bb.8:
	s_load_dwordx2 s[4:5], s[2:3], 0x20
                                        ; implicit-def: $vgpr20_vgpr21
	s_waitcnt lgkmcnt(0)
	v_cmp_gt_i64_e32 vcc, s[4:5], v[0:1]
	s_and_saveexec_b64 s[4:5], vcc
	s_xor_b64 s[4:5], exec, s[4:5]
                                        ; implicit-def: $sgpr12_sgpr13
	s_cbranch_execz .LBB147_10
; %bb.9:
	v_lshl_add_u64 v[4:5], v[0:1], 3, s[6:7]
	global_load_dwordx2 v[4:5], v[4:5], off
	s_mov_b64 s[0:1], exec
	s_mov_b32 s13, 0
	s_waitcnt vmcnt(0)
	v_subrev_co_u32_e32 v20, vcc, s16, v4
	s_nop 1
	v_subbrev_co_u32_e32 v21, vcc, 0, v5, vcc
.LBB147_10:
	s_or_b64 exec, exec, s[4:5]
.LBB147_11:
	s_and_b64 exec, exec, s[0:1]
	s_cbranch_execnz .LBB147_17
.LBB147_12:
	s_endpgm
.LBB147_13:
                                        ; implicit-def: $vgpr20_vgpr21
                                        ; implicit-def: $sgpr12_sgpr13
	s_cbranch_execz .LBB147_11
; %bb.14:
	s_load_dwordx2 s[4:5], s[2:3], 0x0
                                        ; implicit-def: $vgpr20_vgpr21
	s_waitcnt lgkmcnt(0)
	v_cmp_gt_i64_e32 vcc, s[4:5], v[0:1]
	s_and_saveexec_b64 s[4:5], vcc
                                        ; implicit-def: $sgpr12_sgpr13
; %bb.15:
	s_mov_b32 s13, 0
	s_or_b64 s[0:1], s[0:1], exec
	v_mov_b64_e32 v[20:21], v[0:1]
; %bb.16:
	s_or_b64 exec, exec, s[4:5]
	s_and_b64 exec, exec, s[0:1]
	s_cbranch_execz .LBB147_12
.LBB147_17:
	s_load_dwordx8 s[4:11], s[2:3], 0x30
	v_lshlrev_b64 v[0:1], 3, v[20:21]
	s_load_dword s0, s[2:3], 0x8
	v_mov_b32_e32 v8, s13
	s_waitcnt lgkmcnt(0)
	v_lshl_add_u64 v[4:5], s[4:5], 0, v[0:1]
	global_load_dwordx2 v[6:7], v[4:5], off
	s_cmp_eq_u64 s[6:7], 0
	v_lshl_add_u64 v[0:1], s[6:7], 0, v[0:1]
	v_lshl_add_u64 v[4:5], v[4:5], 0, 8
	s_cselect_b64 vcc, -1, 0
	v_cndmask_b32_e32 v1, v1, v5, vcc
	v_cndmask_b32_e32 v0, v0, v4, vcc
	global_load_dwordx2 v[4:5], v[0:1], off
	v_and_b32_e32 v0, 15, v2
	v_mov_b32_e32 v1, 0
	s_load_dwordx2 s[4:5], s[2:3], 0x50
	s_movk_i32 s6, 0x48
	v_mov_b64_e32 v[2:3], s[10:11]
	s_cmp_eq_u32 s0, 1
	s_waitcnt vmcnt(1)
	v_subrev_co_u32_e32 v6, vcc, s16, v6
	s_nop 1
	v_subb_co_u32_e32 v7, vcc, v7, v8, vcc
	v_lshl_add_u64 v[22:23], v[6:7], 0, v[0:1]
	v_mad_u64_u32 v[26:27], s[0:1], v22, s6, v[2:3]
	s_waitcnt vmcnt(0)
	v_subrev_co_u32_e32 v24, vcc, s16, v4
	v_mov_b32_e32 v2, v27
	s_nop 0
	v_subb_co_u32_e32 v25, vcc, v5, v8, vcc
	v_mad_u64_u32 v[2:3], s[0:1], v23, s6, v[2:3]
	v_mov_b32_e32 v27, v2
	v_cmp_lt_i64_e64 s[0:1], v[22:23], v[24:25]
	s_cbranch_scc1 .LBB147_23
; %bb.18:
	v_mov_b64_e32 v[8:9], 0
	s_mov_b64 s[6:7], 0
	v_mov_b64_e32 v[28:29], v[8:9]
	v_mov_b64_e32 v[6:7], v[8:9]
	;; [unrolled: 1-line block ×5, first 2 shown]
	s_and_saveexec_b64 s[10:11], s[0:1]
	s_cbranch_execz .LBB147_22
; %bb.19:
	v_mov_b64_e32 v[8:9], 0
	v_lshl_add_u64 v[30:31], v[22:23], 3, s[8:9]
	s_mov_b64 s[14:15], 0
	v_mov_b32_e32 v1, s13
	s_mov_b64 s[18:19], 0x480
	s_mov_b64 s[20:21], 0x80
	v_mov_b64_e32 v[32:33], v[22:23]
	v_mov_b64_e32 v[34:35], v[26:27]
	v_mov_b64_e32 v[28:29], v[8:9]
	v_mov_b64_e32 v[6:7], v[8:9]
	v_mov_b64_e32 v[10:11], v[8:9]
	v_mov_b64_e32 v[2:3], v[8:9]
	v_mov_b64_e32 v[4:5], v[8:9]
.LBB147_20:                             ; =>This Inner Loop Header: Depth=1
	global_load_dwordx2 v[52:53], v[30:31], off
	global_load_dwordx4 v[36:39], v[34:35], off offset:48
	global_load_dwordx4 v[40:43], v[34:35], off offset:32
	;; [unrolled: 1-line block ×3, first 2 shown]
	global_load_dwordx4 v[48:51], v[34:35], off
	global_load_dwordx2 v[64:65], v[34:35], off offset:64
	v_lshl_add_u64 v[32:33], v[32:33], 0, 16
	v_lshl_add_u64 v[34:35], v[34:35], 0, s[18:19]
	;; [unrolled: 1-line block ×3, first 2 shown]
	s_waitcnt vmcnt(5)
	v_subrev_co_u32_e32 v52, vcc, s16, v52
	s_waitcnt lgkmcnt(0)
	v_mad_u64_u32 v[66:67], s[22:23], v52, 48, s[4:5]
	v_subb_co_u32_e32 v53, vcc, v53, v1, vcc
	v_mov_b32_e32 v52, v67
	v_mad_u64_u32 v[52:53], s[22:23], v53, 48, v[52:53]
	v_mov_b32_e32 v67, v52
	global_load_dwordx4 v[52:55], v[66:67], off
	global_load_dwordx4 v[56:59], v[66:67], off offset:16
	global_load_dwordx4 v[60:63], v[66:67], off offset:32
	v_cmp_ge_i64_e32 vcc, v[32:33], v[24:25]
	s_or_b64 s[14:15], vcc, s[14:15]
	s_waitcnt vmcnt(2)
	v_fmac_f64_e32 v[28:29], v[48:49], v[52:53]
	v_fmac_f64_e32 v[8:9], 0, v[52:53]
	v_fmac_f64_e32 v[10:11], v[46:47], v[52:53]
	v_fmac_f64_e32 v[6:7], 0, v[52:53]
	v_fmac_f64_e32 v[4:5], v[36:37], v[52:53]
	v_fmac_f64_e32 v[2:3], 0, v[52:53]
	v_fmac_f64_e32 v[28:29], 0x80000000, v[54:55]
	v_fmac_f64_e32 v[8:9], v[48:49], v[54:55]
	v_fmac_f64_e32 v[10:11], 0x80000000, v[54:55]
	v_fmac_f64_e32 v[6:7], v[46:47], v[54:55]
	v_fmac_f64_e32 v[4:5], 0x80000000, v[54:55]
	v_fmac_f64_e32 v[2:3], v[36:37], v[54:55]
	s_waitcnt vmcnt(1)
	v_fmac_f64_e32 v[28:29], v[50:51], v[56:57]
	v_fmac_f64_e32 v[8:9], 0, v[56:57]
	v_fmac_f64_e32 v[10:11], v[40:41], v[56:57]
	v_fmac_f64_e32 v[6:7], 0, v[56:57]
	v_fmac_f64_e32 v[4:5], v[38:39], v[56:57]
	v_fmac_f64_e32 v[2:3], 0, v[56:57]
	v_fmac_f64_e32 v[28:29], 0x80000000, v[58:59]
	v_fmac_f64_e32 v[8:9], v[50:51], v[58:59]
	v_fmac_f64_e32 v[10:11], 0x80000000, v[58:59]
	v_fmac_f64_e32 v[6:7], v[40:41], v[58:59]
	v_fmac_f64_e32 v[4:5], 0x80000000, v[58:59]
	v_fmac_f64_e32 v[2:3], v[38:39], v[58:59]
	s_waitcnt vmcnt(0)
	v_fmac_f64_e32 v[28:29], v[44:45], v[60:61]
	v_fmac_f64_e32 v[8:9], 0, v[60:61]
	v_fmac_f64_e32 v[10:11], v[42:43], v[60:61]
	v_fmac_f64_e32 v[6:7], 0, v[60:61]
	v_fmac_f64_e32 v[4:5], v[64:65], v[60:61]
	v_fmac_f64_e32 v[2:3], 0, v[60:61]
	v_fmac_f64_e32 v[28:29], 0x80000000, v[62:63]
	v_fmac_f64_e32 v[8:9], v[44:45], v[62:63]
	v_fmac_f64_e32 v[10:11], 0x80000000, v[62:63]
	v_fmac_f64_e32 v[6:7], v[42:43], v[62:63]
	v_fmac_f64_e32 v[4:5], 0x80000000, v[62:63]
	v_fmac_f64_e32 v[2:3], v[64:65], v[62:63]
	s_andn2_b64 exec, exec, s[14:15]
	s_cbranch_execnz .LBB147_20
; %bb.21:
	s_or_b64 exec, exec, s[14:15]
.LBB147_22:
	s_or_b64 exec, exec, s[10:11]
	s_andn2_b64 vcc, exec, s[6:7]
	s_cbranch_vccz .LBB147_24
	s_branch .LBB147_29
.LBB147_23:
                                        ; implicit-def: $vgpr8_vgpr9
                                        ; implicit-def: $vgpr28_vgpr29
                                        ; implicit-def: $vgpr6_vgpr7
                                        ; implicit-def: $vgpr10_vgpr11
                                        ; implicit-def: $vgpr2_vgpr3
                                        ; implicit-def: $vgpr4_vgpr5
.LBB147_24:
	v_mov_b64_e32 v[8:9], 0
	v_mov_b64_e32 v[28:29], v[8:9]
	;; [unrolled: 1-line block ×6, first 2 shown]
	s_and_saveexec_b64 s[6:7], s[0:1]
	s_cbranch_execz .LBB147_28
; %bb.25:
	v_mov_b64_e32 v[8:9], 0
	v_lshl_add_u64 v[30:31], v[22:23], 3, s[8:9]
	s_mov_b64 s[0:1], 0
	v_mov_b32_e32 v1, s13
	s_mov_b64 s[8:9], 0x480
	s_mov_b64 s[10:11], 0x80
	v_mov_b64_e32 v[28:29], v[8:9]
	v_mov_b64_e32 v[6:7], v[8:9]
	;; [unrolled: 1-line block ×5, first 2 shown]
.LBB147_26:                             ; =>This Inner Loop Header: Depth=1
	global_load_dwordx2 v[48:49], v[30:31], off
	global_load_dwordx4 v[32:35], v[26:27], off offset:48
	global_load_dwordx4 v[36:39], v[26:27], off offset:32
	;; [unrolled: 1-line block ×3, first 2 shown]
	global_load_dwordx4 v[44:47], v[26:27], off
	global_load_dwordx2 v[60:61], v[26:27], off offset:64
	v_lshl_add_u64 v[22:23], v[22:23], 0, 16
	v_lshl_add_u64 v[26:27], v[26:27], 0, s[8:9]
	v_lshl_add_u64 v[30:31], v[30:31], 0, s[10:11]
	s_waitcnt vmcnt(5)
	v_subrev_co_u32_e32 v48, vcc, s16, v48
	s_waitcnt lgkmcnt(0)
	v_mad_u64_u32 v[62:63], s[12:13], v48, 48, s[4:5]
	v_subb_co_u32_e32 v49, vcc, v49, v1, vcc
	v_mov_b32_e32 v48, v63
	v_mad_u64_u32 v[48:49], s[12:13], v49, 48, v[48:49]
	v_mov_b32_e32 v63, v48
	global_load_dwordx4 v[48:51], v[62:63], off
	global_load_dwordx4 v[52:55], v[62:63], off offset:16
	global_load_dwordx4 v[56:59], v[62:63], off offset:32
	v_cmp_ge_i64_e32 vcc, v[22:23], v[24:25]
	s_or_b64 s[0:1], vcc, s[0:1]
	s_waitcnt vmcnt(2)
	v_fmac_f64_e32 v[28:29], v[44:45], v[48:49]
	v_fmac_f64_e32 v[8:9], 0, v[48:49]
	v_fmac_f64_e32 v[10:11], v[46:47], v[48:49]
	v_fmac_f64_e32 v[6:7], 0, v[48:49]
	v_fmac_f64_e32 v[4:5], v[40:41], v[48:49]
	v_fmac_f64_e32 v[2:3], 0, v[48:49]
	v_fmac_f64_e32 v[28:29], 0x80000000, v[50:51]
	v_fmac_f64_e32 v[8:9], v[44:45], v[50:51]
	v_fmac_f64_e32 v[10:11], 0x80000000, v[50:51]
	v_fmac_f64_e32 v[6:7], v[46:47], v[50:51]
	v_fmac_f64_e32 v[4:5], 0x80000000, v[50:51]
	v_fmac_f64_e32 v[2:3], v[40:41], v[50:51]
	s_waitcnt vmcnt(1)
	v_fmac_f64_e32 v[28:29], v[42:43], v[52:53]
	v_fmac_f64_e32 v[8:9], 0, v[52:53]
	v_fmac_f64_e32 v[10:11], v[36:37], v[52:53]
	v_fmac_f64_e32 v[6:7], 0, v[52:53]
	v_fmac_f64_e32 v[4:5], v[38:39], v[52:53]
	v_fmac_f64_e32 v[2:3], 0, v[52:53]
	v_fmac_f64_e32 v[28:29], 0x80000000, v[54:55]
	v_fmac_f64_e32 v[8:9], v[42:43], v[54:55]
	v_fmac_f64_e32 v[10:11], 0x80000000, v[54:55]
	v_fmac_f64_e32 v[6:7], v[36:37], v[54:55]
	v_fmac_f64_e32 v[4:5], 0x80000000, v[54:55]
	v_fmac_f64_e32 v[2:3], v[38:39], v[54:55]
	s_waitcnt vmcnt(0)
	v_fmac_f64_e32 v[28:29], v[32:33], v[56:57]
	v_fmac_f64_e32 v[8:9], 0, v[56:57]
	v_fmac_f64_e32 v[10:11], v[34:35], v[56:57]
	v_fmac_f64_e32 v[6:7], 0, v[56:57]
	v_fmac_f64_e32 v[4:5], v[60:61], v[56:57]
	v_fmac_f64_e32 v[2:3], 0, v[56:57]
	v_fmac_f64_e32 v[28:29], 0x80000000, v[58:59]
	v_fmac_f64_e32 v[8:9], v[32:33], v[58:59]
	v_fmac_f64_e32 v[10:11], 0x80000000, v[58:59]
	v_fmac_f64_e32 v[6:7], v[34:35], v[58:59]
	v_fmac_f64_e32 v[4:5], 0x80000000, v[58:59]
	v_fmac_f64_e32 v[2:3], v[60:61], v[58:59]
	s_andn2_b64 exec, exec, s[0:1]
	s_cbranch_execnz .LBB147_26
; %bb.27:
	s_or_b64 exec, exec, s[0:1]
.LBB147_28:
	s_or_b64 exec, exec, s[6:7]
.LBB147_29:
	v_mov_b32_dpp v22, v28 row_shr:1 row_mask:0xf bank_mask:0xf
	v_mov_b32_dpp v23, v29 row_shr:1 row_mask:0xf bank_mask:0xf
	v_add_f64 v[22:23], v[28:29], v[22:23]
	v_mov_b32_dpp v26, v8 row_shr:1 row_mask:0xf bank_mask:0xf
	v_mov_b32_dpp v27, v9 row_shr:1 row_mask:0xf bank_mask:0xf
	;; [unrolled: 1-line block ×10, first 2 shown]
	v_add_f64 v[8:9], v[8:9], v[26:27]
	v_add_f64 v[10:11], v[10:11], v[28:29]
	;; [unrolled: 1-line block ×5, first 2 shown]
	v_mov_b32_dpp v24, v22 row_shr:2 row_mask:0xf bank_mask:0xf
	v_mov_b32_dpp v25, v23 row_shr:2 row_mask:0xf bank_mask:0xf
	;; [unrolled: 1-line block ×12, first 2 shown]
	v_add_f64 v[22:23], v[22:23], v[24:25]
	v_add_f64 v[8:9], v[8:9], v[26:27]
	;; [unrolled: 1-line block ×6, first 2 shown]
	v_mov_b32_dpp v24, v22 row_shr:4 row_mask:0xf bank_mask:0xe
	v_mov_b32_dpp v25, v23 row_shr:4 row_mask:0xf bank_mask:0xe
	;; [unrolled: 1-line block ×12, first 2 shown]
	v_add_f64 v[22:23], v[22:23], v[24:25]
	v_add_f64 v[8:9], v[8:9], v[26:27]
	;; [unrolled: 1-line block ×6, first 2 shown]
	v_mov_b32_dpp v24, v22 row_shr:8 row_mask:0xf bank_mask:0xc
	v_mov_b32_dpp v25, v23 row_shr:8 row_mask:0xf bank_mask:0xc
	;; [unrolled: 1-line block ×12, first 2 shown]
	v_cmp_eq_u32_e32 vcc, 15, v0
	s_and_b64 exec, exec, vcc
	s_cbranch_execz .LBB147_12
; %bb.30:
	s_load_dwordx2 s[2:3], s[2:3], 0x68
	v_add_f64 v[0:1], v[8:9], v[26:27]
	v_add_f64 v[6:7], v[6:7], v[30:31]
	v_add_f64 v[2:3], v[2:3], v[34:35]
	v_add_f64 v[22:23], v[22:23], v[24:25]
	v_add_f64 v[24:25], v[10:11], v[28:29]
	v_add_f64 v[26:27], v[4:5], v[32:33]
	v_cmp_eq_f64_e32 vcc, 0, v[12:13]
	v_cmp_eq_f64_e64 s[0:1], 0, v[14:15]
	v_mul_f64 v[8:9], v[0:1], -v[18:19]
	v_mul_f64 v[10:11], v[16:17], v[0:1]
	v_mul_f64 v[4:5], v[6:7], -v[18:19]
	v_mul_f64 v[6:7], v[16:17], v[6:7]
	;; [unrolled: 2-line block ×3, first 2 shown]
	s_and_b64 s[0:1], vcc, s[0:1]
	v_fmac_f64_e32 v[8:9], v[16:17], v[22:23]
	v_fmac_f64_e32 v[10:11], v[18:19], v[22:23]
	;; [unrolled: 1-line block ×6, first 2 shown]
	s_waitcnt lgkmcnt(0)
	s_and_saveexec_b64 s[4:5], s[0:1]
	s_xor_b64 s[0:1], exec, s[4:5]
	s_cbranch_execz .LBB147_32
; %bb.31:
	v_mad_u64_u32 v[12:13], s[4:5], v20, 48, s[2:3]
	v_mov_b32_e32 v14, v13
	v_mad_u64_u32 v[14:15], s[4:5], v21, 48, v[14:15]
	v_mov_b32_e32 v13, v14
	global_store_dwordx4 v[12:13], v[8:11], off
	global_store_dwordx4 v[12:13], v[4:7], off offset:16
	global_store_dwordx4 v[12:13], v[0:3], off offset:32
                                        ; implicit-def: $vgpr12_vgpr13
                                        ; implicit-def: $vgpr14_vgpr15
                                        ; implicit-def: $vgpr20_vgpr21
                                        ; implicit-def: $vgpr8_vgpr9
                                        ; implicit-def: $vgpr4_vgpr5
                                        ; implicit-def: $vgpr0_vgpr1
.LBB147_32:
	s_andn2_saveexec_b64 s[0:1], s[0:1]
	s_cbranch_execz .LBB147_12
; %bb.33:
	v_mad_u64_u32 v[28:29], s[0:1], v20, 48, s[2:3]
	v_mov_b32_e32 v16, v29
	v_mad_u64_u32 v[16:17], s[0:1], v21, 48, v[16:17]
	v_mov_b32_e32 v29, v16
	global_load_dwordx4 v[16:19], v[28:29], off
	global_load_dwordx4 v[20:23], v[28:29], off offset:16
	global_load_dwordx4 v[24:27], v[28:29], off offset:32
	s_waitcnt vmcnt(2)
	v_fmac_f64_e32 v[8:9], v[12:13], v[16:17]
	v_fmac_f64_e32 v[10:11], v[14:15], v[16:17]
	s_waitcnt vmcnt(1)
	v_fmac_f64_e32 v[4:5], v[12:13], v[20:21]
	v_fmac_f64_e32 v[6:7], v[14:15], v[20:21]
	;; [unrolled: 3-line block ×3, first 2 shown]
	v_fma_f64 v[8:9], -v[14:15], v[18:19], v[8:9]
	v_fmac_f64_e32 v[10:11], v[12:13], v[18:19]
	v_fma_f64 v[4:5], -v[14:15], v[22:23], v[4:5]
	v_fmac_f64_e32 v[6:7], v[12:13], v[22:23]
	;; [unrolled: 2-line block ×3, first 2 shown]
	global_store_dwordx4 v[28:29], v[8:11], off
	global_store_dwordx4 v[28:29], v[4:7], off offset:16
	global_store_dwordx4 v[28:29], v[0:3], off offset:32
	s_endpgm
	.section	.rodata,"a",@progbits
	.p2align	6, 0x0
	.amdhsa_kernel _ZN9rocsparseL18bsrxmvn_3x3_kernelILj256ELj16E21rocsparse_complex_numIdElldS2_S2_EEvT3_20rocsparse_direction_NS_24const_host_device_scalarIT1_EES3_PKS3_PKT2_SC_S9_PKT4_PKT5_S7_PT6_21rocsparse_index_base_b
		.amdhsa_group_segment_fixed_size 4096
		.amdhsa_private_segment_fixed_size 0
		.amdhsa_kernarg_size 120
		.amdhsa_user_sgpr_count 4
		.amdhsa_user_sgpr_dispatch_ptr 1
		.amdhsa_user_sgpr_queue_ptr 0
		.amdhsa_user_sgpr_kernarg_segment_ptr 1
		.amdhsa_user_sgpr_dispatch_id 0
		.amdhsa_user_sgpr_kernarg_preload_length 0
		.amdhsa_user_sgpr_kernarg_preload_offset 0
		.amdhsa_user_sgpr_private_segment_size 0
		.amdhsa_uses_dynamic_stack 0
		.amdhsa_enable_private_segment 0
		.amdhsa_system_sgpr_workgroup_id_x 1
		.amdhsa_system_sgpr_workgroup_id_y 0
		.amdhsa_system_sgpr_workgroup_id_z 0
		.amdhsa_system_sgpr_workgroup_info 0
		.amdhsa_system_vgpr_workitem_id 2
		.amdhsa_next_free_vgpr 68
		.amdhsa_next_free_sgpr 24
		.amdhsa_accum_offset 68
		.amdhsa_reserve_vcc 1
		.amdhsa_float_round_mode_32 0
		.amdhsa_float_round_mode_16_64 0
		.amdhsa_float_denorm_mode_32 3
		.amdhsa_float_denorm_mode_16_64 3
		.amdhsa_dx10_clamp 1
		.amdhsa_ieee_mode 1
		.amdhsa_fp16_overflow 0
		.amdhsa_tg_split 0
		.amdhsa_exception_fp_ieee_invalid_op 0
		.amdhsa_exception_fp_denorm_src 0
		.amdhsa_exception_fp_ieee_div_zero 0
		.amdhsa_exception_fp_ieee_overflow 0
		.amdhsa_exception_fp_ieee_underflow 0
		.amdhsa_exception_fp_ieee_inexact 0
		.amdhsa_exception_int_div_zero 0
	.end_amdhsa_kernel
	.section	.text._ZN9rocsparseL18bsrxmvn_3x3_kernelILj256ELj16E21rocsparse_complex_numIdElldS2_S2_EEvT3_20rocsparse_direction_NS_24const_host_device_scalarIT1_EES3_PKS3_PKT2_SC_S9_PKT4_PKT5_S7_PT6_21rocsparse_index_base_b,"axG",@progbits,_ZN9rocsparseL18bsrxmvn_3x3_kernelILj256ELj16E21rocsparse_complex_numIdElldS2_S2_EEvT3_20rocsparse_direction_NS_24const_host_device_scalarIT1_EES3_PKS3_PKT2_SC_S9_PKT4_PKT5_S7_PT6_21rocsparse_index_base_b,comdat
.Lfunc_end147:
	.size	_ZN9rocsparseL18bsrxmvn_3x3_kernelILj256ELj16E21rocsparse_complex_numIdElldS2_S2_EEvT3_20rocsparse_direction_NS_24const_host_device_scalarIT1_EES3_PKS3_PKT2_SC_S9_PKT4_PKT5_S7_PT6_21rocsparse_index_base_b, .Lfunc_end147-_ZN9rocsparseL18bsrxmvn_3x3_kernelILj256ELj16E21rocsparse_complex_numIdElldS2_S2_EEvT3_20rocsparse_direction_NS_24const_host_device_scalarIT1_EES3_PKS3_PKT2_SC_S9_PKT4_PKT5_S7_PT6_21rocsparse_index_base_b
                                        ; -- End function
	.section	.AMDGPU.csdata,"",@progbits
; Kernel info:
; codeLenInByte = 2472
; NumSgprs: 30
; NumVgprs: 68
; NumAgprs: 0
; TotalNumVgprs: 68
; ScratchSize: 0
; MemoryBound: 0
; FloatMode: 240
; IeeeMode: 1
; LDSByteSize: 4096 bytes/workgroup (compile time only)
; SGPRBlocks: 3
; VGPRBlocks: 8
; NumSGPRsForWavesPerEU: 30
; NumVGPRsForWavesPerEU: 68
; AccumOffset: 68
; Occupancy: 7
; WaveLimiterHint : 1
; COMPUTE_PGM_RSRC2:SCRATCH_EN: 0
; COMPUTE_PGM_RSRC2:USER_SGPR: 4
; COMPUTE_PGM_RSRC2:TRAP_HANDLER: 0
; COMPUTE_PGM_RSRC2:TGID_X_EN: 1
; COMPUTE_PGM_RSRC2:TGID_Y_EN: 0
; COMPUTE_PGM_RSRC2:TGID_Z_EN: 0
; COMPUTE_PGM_RSRC2:TIDIG_COMP_CNT: 2
; COMPUTE_PGM_RSRC3_GFX90A:ACCUM_OFFSET: 16
; COMPUTE_PGM_RSRC3_GFX90A:TG_SPLIT: 0
	.section	.text._ZN9rocsparseL18bsrxmvn_3x3_kernelILj256ELj32E21rocsparse_complex_numIdElldS2_S2_EEvT3_20rocsparse_direction_NS_24const_host_device_scalarIT1_EES3_PKS3_PKT2_SC_S9_PKT4_PKT5_S7_PT6_21rocsparse_index_base_b,"axG",@progbits,_ZN9rocsparseL18bsrxmvn_3x3_kernelILj256ELj32E21rocsparse_complex_numIdElldS2_S2_EEvT3_20rocsparse_direction_NS_24const_host_device_scalarIT1_EES3_PKS3_PKT2_SC_S9_PKT4_PKT5_S7_PT6_21rocsparse_index_base_b,comdat
	.globl	_ZN9rocsparseL18bsrxmvn_3x3_kernelILj256ELj32E21rocsparse_complex_numIdElldS2_S2_EEvT3_20rocsparse_direction_NS_24const_host_device_scalarIT1_EES3_PKS3_PKT2_SC_S9_PKT4_PKT5_S7_PT6_21rocsparse_index_base_b ; -- Begin function _ZN9rocsparseL18bsrxmvn_3x3_kernelILj256ELj32E21rocsparse_complex_numIdElldS2_S2_EEvT3_20rocsparse_direction_NS_24const_host_device_scalarIT1_EES3_PKS3_PKT2_SC_S9_PKT4_PKT5_S7_PT6_21rocsparse_index_base_b
	.p2align	8
	.type	_ZN9rocsparseL18bsrxmvn_3x3_kernelILj256ELj32E21rocsparse_complex_numIdElldS2_S2_EEvT3_20rocsparse_direction_NS_24const_host_device_scalarIT1_EES3_PKS3_PKT2_SC_S9_PKT4_PKT5_S7_PT6_21rocsparse_index_base_b,@function
_ZN9rocsparseL18bsrxmvn_3x3_kernelILj256ELj32E21rocsparse_complex_numIdElldS2_S2_EEvT3_20rocsparse_direction_NS_24const_host_device_scalarIT1_EES3_PKS3_PKT2_SC_S9_PKT4_PKT5_S7_PT6_21rocsparse_index_base_b: ; @_ZN9rocsparseL18bsrxmvn_3x3_kernelILj256ELj32E21rocsparse_complex_numIdElldS2_S2_EEvT3_20rocsparse_direction_NS_24const_host_device_scalarIT1_EES3_PKS3_PKT2_SC_S9_PKT4_PKT5_S7_PT6_21rocsparse_index_base_b
; %bb.0:
	s_load_dwordx2 s[16:17], s[2:3], 0x70
	s_load_dwordx4 s[12:15], s[2:3], 0x10
	s_load_dwordx2 s[18:19], s[0:1], 0x4
	s_load_dwordx4 s[8:11], s[2:3], 0x58
	s_mov_b64 s[6:7], src_shared_base
	v_and_b32_e32 v2, 0x3ff, v0
	s_waitcnt lgkmcnt(0)
	s_bitcmp1_b32 s17, 0
	s_cselect_b64 s[0:1], -1, 0
	s_and_b64 vcc, s[0:1], exec
	s_cselect_b32 s5, s7, s13
	s_lshr_b32 s6, s18, 16
	s_mul_i32 s6, s6, s19
	v_mul_lo_u32 v3, s6, v2
	v_bfe_u32 v4, v0, 10, 10
	v_mad_u32_u24 v3, v4, s19, v3
	v_bfe_u32 v0, v0, 20, 10
	v_add_lshl_u32 v0, v3, v0, 3
	v_mov_b32_e32 v1, s12
	v_add_u32_e32 v3, 0x800, v0
	v_mov_b64_e32 v[4:5], s[12:13]
	v_mov_b64_e32 v[6:7], s[8:9]
	ds_write2st64_b64 v0, v[6:7], v[4:5] offset1:4
	v_cndmask_b32_e64 v4, v1, v3, s[0:1]
	v_mov_b32_e32 v5, s5
	flat_load_dwordx2 v[16:17], v[4:5]
	s_xor_b64 s[18:19], s[0:1], -1
	v_mov_b64_e32 v[18:19], s[14:15]
	s_cbranch_vccnz .LBB148_2
; %bb.1:
	v_mov_b64_e32 v[4:5], s[12:13]
	flat_load_dwordx2 v[18:19], v[4:5] offset:8
.LBB148_2:
	s_and_b64 s[12:13], s[0:1], exec
	s_cselect_b32 s5, s7, s9
	v_mov_b32_e32 v1, s8
	v_cndmask_b32_e64 v0, v1, v0, s[0:1]
	v_mov_b32_e32 v1, s5
	flat_load_dwordx2 v[12:13], v[0:1]
	s_andn2_b64 vcc, exec, s[18:19]
	v_mov_b64_e32 v[14:15], s[10:11]
	s_cbranch_vccnz .LBB148_4
; %bb.3:
	v_mov_b64_e32 v[0:1], s[8:9]
	flat_load_dwordx2 v[14:15], v[0:1] offset:8
.LBB148_4:
	s_waitcnt vmcnt(0) lgkmcnt(0)
	v_cmp_eq_f64_e32 vcc, 0, v[16:17]
	v_cmp_eq_f64_e64 s[0:1], 0, v[18:19]
	s_and_b64 s[8:9], vcc, s[0:1]
	s_mov_b64 s[0:1], -1
	s_and_saveexec_b64 s[6:7], s[8:9]
; %bb.5:
	v_cmp_neq_f64_e32 vcc, 1.0, v[12:13]
	v_cmp_neq_f64_e64 s[0:1], 0, v[14:15]
	s_or_b64 s[0:1], vcc, s[0:1]
	s_orn2_b64 s[0:1], s[0:1], exec
; %bb.6:
	s_or_b64 exec, exec, s[6:7]
	s_and_saveexec_b64 s[6:7], s[0:1]
	s_cbranch_execz .LBB148_12
; %bb.7:
	s_load_dwordx2 s[6:7], s[2:3], 0x28
	v_lshrrev_b32_e32 v0, 5, v2
	v_lshl_or_b32 v0, s4, 3, v0
	v_mov_b32_e32 v1, 0
	s_mov_b64 s[0:1], 0
	s_waitcnt lgkmcnt(0)
	s_cmp_lg_u64 s[6:7], 0
	s_cbranch_scc0 .LBB148_13
; %bb.8:
	s_load_dwordx2 s[4:5], s[2:3], 0x20
                                        ; implicit-def: $vgpr20_vgpr21
	s_waitcnt lgkmcnt(0)
	v_cmp_gt_i64_e32 vcc, s[4:5], v[0:1]
	s_and_saveexec_b64 s[4:5], vcc
	s_xor_b64 s[4:5], exec, s[4:5]
                                        ; implicit-def: $sgpr12_sgpr13
	s_cbranch_execz .LBB148_10
; %bb.9:
	v_lshl_add_u64 v[4:5], v[0:1], 3, s[6:7]
	global_load_dwordx2 v[4:5], v[4:5], off
	s_mov_b64 s[0:1], exec
	s_mov_b32 s13, 0
	s_waitcnt vmcnt(0)
	v_subrev_co_u32_e32 v20, vcc, s16, v4
	s_nop 1
	v_subbrev_co_u32_e32 v21, vcc, 0, v5, vcc
.LBB148_10:
	s_or_b64 exec, exec, s[4:5]
.LBB148_11:
	s_and_b64 exec, exec, s[0:1]
	s_cbranch_execnz .LBB148_17
.LBB148_12:
	s_endpgm
.LBB148_13:
                                        ; implicit-def: $vgpr20_vgpr21
                                        ; implicit-def: $sgpr12_sgpr13
	s_cbranch_execz .LBB148_11
; %bb.14:
	s_load_dwordx2 s[4:5], s[2:3], 0x0
                                        ; implicit-def: $vgpr20_vgpr21
	s_waitcnt lgkmcnt(0)
	v_cmp_gt_i64_e32 vcc, s[4:5], v[0:1]
	s_and_saveexec_b64 s[4:5], vcc
                                        ; implicit-def: $sgpr12_sgpr13
; %bb.15:
	s_mov_b32 s13, 0
	s_or_b64 s[0:1], s[0:1], exec
	v_mov_b64_e32 v[20:21], v[0:1]
; %bb.16:
	s_or_b64 exec, exec, s[4:5]
	s_and_b64 exec, exec, s[0:1]
	s_cbranch_execz .LBB148_12
.LBB148_17:
	s_load_dwordx8 s[4:11], s[2:3], 0x30
	v_lshlrev_b64 v[0:1], 3, v[20:21]
	s_load_dword s0, s[2:3], 0x8
	v_mov_b32_e32 v8, s13
	s_waitcnt lgkmcnt(0)
	v_lshl_add_u64 v[4:5], s[4:5], 0, v[0:1]
	global_load_dwordx2 v[6:7], v[4:5], off
	s_cmp_eq_u64 s[6:7], 0
	v_lshl_add_u64 v[0:1], s[6:7], 0, v[0:1]
	v_lshl_add_u64 v[4:5], v[4:5], 0, 8
	s_cselect_b64 vcc, -1, 0
	v_cndmask_b32_e32 v1, v1, v5, vcc
	v_cndmask_b32_e32 v0, v0, v4, vcc
	global_load_dwordx2 v[4:5], v[0:1], off
	v_and_b32_e32 v0, 31, v2
	v_mov_b32_e32 v1, 0
	s_load_dwordx2 s[4:5], s[2:3], 0x50
	s_movk_i32 s6, 0x48
	v_mov_b64_e32 v[2:3], s[10:11]
	s_cmp_eq_u32 s0, 1
	s_waitcnt vmcnt(1)
	v_subrev_co_u32_e32 v6, vcc, s16, v6
	s_nop 1
	v_subb_co_u32_e32 v7, vcc, v7, v8, vcc
	v_lshl_add_u64 v[22:23], v[6:7], 0, v[0:1]
	v_mad_u64_u32 v[26:27], s[0:1], v22, s6, v[2:3]
	s_waitcnt vmcnt(0)
	v_subrev_co_u32_e32 v24, vcc, s16, v4
	v_mov_b32_e32 v2, v27
	s_nop 0
	v_subb_co_u32_e32 v25, vcc, v5, v8, vcc
	v_mad_u64_u32 v[2:3], s[0:1], v23, s6, v[2:3]
	v_mov_b32_e32 v27, v2
	v_cmp_lt_i64_e64 s[0:1], v[22:23], v[24:25]
	s_cbranch_scc1 .LBB148_23
; %bb.18:
	v_mov_b64_e32 v[8:9], 0
	s_mov_b64 s[6:7], 0
	v_mov_b64_e32 v[28:29], v[8:9]
	v_mov_b64_e32 v[6:7], v[8:9]
	v_mov_b64_e32 v[10:11], v[8:9]
	v_mov_b64_e32 v[2:3], v[8:9]
	v_mov_b64_e32 v[4:5], v[8:9]
	s_and_saveexec_b64 s[10:11], s[0:1]
	s_cbranch_execz .LBB148_22
; %bb.19:
	v_mov_b64_e32 v[8:9], 0
	v_lshl_add_u64 v[30:31], v[22:23], 3, s[8:9]
	s_mov_b64 s[14:15], 0
	v_mov_b32_e32 v1, s13
	s_mov_b64 s[18:19], 0x900
	s_mov_b64 s[20:21], 0x100
	v_mov_b64_e32 v[32:33], v[22:23]
	v_mov_b64_e32 v[34:35], v[26:27]
	;; [unrolled: 1-line block ×7, first 2 shown]
.LBB148_20:                             ; =>This Inner Loop Header: Depth=1
	global_load_dwordx2 v[52:53], v[30:31], off
	global_load_dwordx4 v[36:39], v[34:35], off offset:48
	global_load_dwordx4 v[40:43], v[34:35], off offset:32
	;; [unrolled: 1-line block ×3, first 2 shown]
	global_load_dwordx4 v[48:51], v[34:35], off
	global_load_dwordx2 v[64:65], v[34:35], off offset:64
	v_lshl_add_u64 v[32:33], v[32:33], 0, 32
	v_lshl_add_u64 v[34:35], v[34:35], 0, s[18:19]
	;; [unrolled: 1-line block ×3, first 2 shown]
	s_waitcnt vmcnt(5)
	v_subrev_co_u32_e32 v52, vcc, s16, v52
	s_waitcnt lgkmcnt(0)
	v_mad_u64_u32 v[66:67], s[22:23], v52, 48, s[4:5]
	v_subb_co_u32_e32 v53, vcc, v53, v1, vcc
	v_mov_b32_e32 v52, v67
	v_mad_u64_u32 v[52:53], s[22:23], v53, 48, v[52:53]
	v_mov_b32_e32 v67, v52
	global_load_dwordx4 v[52:55], v[66:67], off
	global_load_dwordx4 v[56:59], v[66:67], off offset:16
	global_load_dwordx4 v[60:63], v[66:67], off offset:32
	v_cmp_ge_i64_e32 vcc, v[32:33], v[24:25]
	s_or_b64 s[14:15], vcc, s[14:15]
	s_waitcnt vmcnt(2)
	v_fmac_f64_e32 v[28:29], v[48:49], v[52:53]
	v_fmac_f64_e32 v[8:9], 0, v[52:53]
	v_fmac_f64_e32 v[10:11], v[46:47], v[52:53]
	v_fmac_f64_e32 v[6:7], 0, v[52:53]
	v_fmac_f64_e32 v[4:5], v[36:37], v[52:53]
	v_fmac_f64_e32 v[2:3], 0, v[52:53]
	v_fmac_f64_e32 v[28:29], 0x80000000, v[54:55]
	v_fmac_f64_e32 v[8:9], v[48:49], v[54:55]
	v_fmac_f64_e32 v[10:11], 0x80000000, v[54:55]
	v_fmac_f64_e32 v[6:7], v[46:47], v[54:55]
	v_fmac_f64_e32 v[4:5], 0x80000000, v[54:55]
	v_fmac_f64_e32 v[2:3], v[36:37], v[54:55]
	s_waitcnt vmcnt(1)
	v_fmac_f64_e32 v[28:29], v[50:51], v[56:57]
	v_fmac_f64_e32 v[8:9], 0, v[56:57]
	v_fmac_f64_e32 v[10:11], v[40:41], v[56:57]
	v_fmac_f64_e32 v[6:7], 0, v[56:57]
	v_fmac_f64_e32 v[4:5], v[38:39], v[56:57]
	v_fmac_f64_e32 v[2:3], 0, v[56:57]
	v_fmac_f64_e32 v[28:29], 0x80000000, v[58:59]
	v_fmac_f64_e32 v[8:9], v[50:51], v[58:59]
	v_fmac_f64_e32 v[10:11], 0x80000000, v[58:59]
	v_fmac_f64_e32 v[6:7], v[40:41], v[58:59]
	v_fmac_f64_e32 v[4:5], 0x80000000, v[58:59]
	v_fmac_f64_e32 v[2:3], v[38:39], v[58:59]
	;; [unrolled: 13-line block ×3, first 2 shown]
	s_andn2_b64 exec, exec, s[14:15]
	s_cbranch_execnz .LBB148_20
; %bb.21:
	s_or_b64 exec, exec, s[14:15]
.LBB148_22:
	s_or_b64 exec, exec, s[10:11]
	s_andn2_b64 vcc, exec, s[6:7]
	s_cbranch_vccz .LBB148_24
	s_branch .LBB148_29
.LBB148_23:
                                        ; implicit-def: $vgpr8_vgpr9
                                        ; implicit-def: $vgpr28_vgpr29
                                        ; implicit-def: $vgpr6_vgpr7
                                        ; implicit-def: $vgpr10_vgpr11
                                        ; implicit-def: $vgpr2_vgpr3
                                        ; implicit-def: $vgpr4_vgpr5
.LBB148_24:
	v_mov_b64_e32 v[8:9], 0
	v_mov_b64_e32 v[28:29], v[8:9]
	;; [unrolled: 1-line block ×6, first 2 shown]
	s_and_saveexec_b64 s[6:7], s[0:1]
	s_cbranch_execz .LBB148_28
; %bb.25:
	v_mov_b64_e32 v[8:9], 0
	v_lshl_add_u64 v[30:31], v[22:23], 3, s[8:9]
	s_mov_b64 s[0:1], 0
	v_mov_b32_e32 v1, s13
	s_mov_b64 s[8:9], 0x900
	s_mov_b64 s[10:11], 0x100
	v_mov_b64_e32 v[28:29], v[8:9]
	v_mov_b64_e32 v[6:7], v[8:9]
	;; [unrolled: 1-line block ×5, first 2 shown]
.LBB148_26:                             ; =>This Inner Loop Header: Depth=1
	global_load_dwordx2 v[48:49], v[30:31], off
	global_load_dwordx4 v[32:35], v[26:27], off offset:48
	global_load_dwordx4 v[36:39], v[26:27], off offset:32
	global_load_dwordx4 v[40:43], v[26:27], off offset:16
	global_load_dwordx4 v[44:47], v[26:27], off
	global_load_dwordx2 v[60:61], v[26:27], off offset:64
	v_lshl_add_u64 v[22:23], v[22:23], 0, 32
	v_lshl_add_u64 v[26:27], v[26:27], 0, s[8:9]
	;; [unrolled: 1-line block ×3, first 2 shown]
	s_waitcnt vmcnt(5)
	v_subrev_co_u32_e32 v48, vcc, s16, v48
	s_waitcnt lgkmcnt(0)
	v_mad_u64_u32 v[62:63], s[12:13], v48, 48, s[4:5]
	v_subb_co_u32_e32 v49, vcc, v49, v1, vcc
	v_mov_b32_e32 v48, v63
	v_mad_u64_u32 v[48:49], s[12:13], v49, 48, v[48:49]
	v_mov_b32_e32 v63, v48
	global_load_dwordx4 v[48:51], v[62:63], off
	global_load_dwordx4 v[52:55], v[62:63], off offset:16
	global_load_dwordx4 v[56:59], v[62:63], off offset:32
	v_cmp_ge_i64_e32 vcc, v[22:23], v[24:25]
	s_or_b64 s[0:1], vcc, s[0:1]
	s_waitcnt vmcnt(2)
	v_fmac_f64_e32 v[28:29], v[44:45], v[48:49]
	v_fmac_f64_e32 v[8:9], 0, v[48:49]
	v_fmac_f64_e32 v[10:11], v[46:47], v[48:49]
	v_fmac_f64_e32 v[6:7], 0, v[48:49]
	v_fmac_f64_e32 v[4:5], v[40:41], v[48:49]
	v_fmac_f64_e32 v[2:3], 0, v[48:49]
	v_fmac_f64_e32 v[28:29], 0x80000000, v[50:51]
	v_fmac_f64_e32 v[8:9], v[44:45], v[50:51]
	v_fmac_f64_e32 v[10:11], 0x80000000, v[50:51]
	v_fmac_f64_e32 v[6:7], v[46:47], v[50:51]
	v_fmac_f64_e32 v[4:5], 0x80000000, v[50:51]
	v_fmac_f64_e32 v[2:3], v[40:41], v[50:51]
	s_waitcnt vmcnt(1)
	v_fmac_f64_e32 v[28:29], v[42:43], v[52:53]
	v_fmac_f64_e32 v[8:9], 0, v[52:53]
	v_fmac_f64_e32 v[10:11], v[36:37], v[52:53]
	v_fmac_f64_e32 v[6:7], 0, v[52:53]
	v_fmac_f64_e32 v[4:5], v[38:39], v[52:53]
	v_fmac_f64_e32 v[2:3], 0, v[52:53]
	v_fmac_f64_e32 v[28:29], 0x80000000, v[54:55]
	v_fmac_f64_e32 v[8:9], v[42:43], v[54:55]
	v_fmac_f64_e32 v[10:11], 0x80000000, v[54:55]
	v_fmac_f64_e32 v[6:7], v[36:37], v[54:55]
	v_fmac_f64_e32 v[4:5], 0x80000000, v[54:55]
	v_fmac_f64_e32 v[2:3], v[38:39], v[54:55]
	;; [unrolled: 13-line block ×3, first 2 shown]
	s_andn2_b64 exec, exec, s[0:1]
	s_cbranch_execnz .LBB148_26
; %bb.27:
	s_or_b64 exec, exec, s[0:1]
.LBB148_28:
	s_or_b64 exec, exec, s[6:7]
.LBB148_29:
	v_mov_b32_dpp v22, v28 row_shr:1 row_mask:0xf bank_mask:0xf
	v_mov_b32_dpp v23, v29 row_shr:1 row_mask:0xf bank_mask:0xf
	v_add_f64 v[22:23], v[28:29], v[22:23]
	v_mov_b32_dpp v26, v8 row_shr:1 row_mask:0xf bank_mask:0xf
	v_mov_b32_dpp v27, v9 row_shr:1 row_mask:0xf bank_mask:0xf
	;; [unrolled: 1-line block ×10, first 2 shown]
	v_add_f64 v[8:9], v[8:9], v[26:27]
	v_add_f64 v[10:11], v[10:11], v[28:29]
	v_add_f64 v[6:7], v[6:7], v[30:31]
	v_add_f64 v[4:5], v[4:5], v[32:33]
	v_add_f64 v[2:3], v[2:3], v[34:35]
	v_mov_b32_dpp v24, v22 row_shr:2 row_mask:0xf bank_mask:0xf
	v_mov_b32_dpp v25, v23 row_shr:2 row_mask:0xf bank_mask:0xf
	v_mov_b32_dpp v26, v8 row_shr:2 row_mask:0xf bank_mask:0xf
	v_mov_b32_dpp v27, v9 row_shr:2 row_mask:0xf bank_mask:0xf
	v_mov_b32_dpp v28, v10 row_shr:2 row_mask:0xf bank_mask:0xf
	v_mov_b32_dpp v29, v11 row_shr:2 row_mask:0xf bank_mask:0xf
	v_mov_b32_dpp v30, v6 row_shr:2 row_mask:0xf bank_mask:0xf
	v_mov_b32_dpp v31, v7 row_shr:2 row_mask:0xf bank_mask:0xf
	v_mov_b32_dpp v32, v4 row_shr:2 row_mask:0xf bank_mask:0xf
	v_mov_b32_dpp v33, v5 row_shr:2 row_mask:0xf bank_mask:0xf
	v_mov_b32_dpp v34, v2 row_shr:2 row_mask:0xf bank_mask:0xf
	v_mov_b32_dpp v35, v3 row_shr:2 row_mask:0xf bank_mask:0xf
	v_add_f64 v[22:23], v[22:23], v[24:25]
	v_add_f64 v[8:9], v[8:9], v[26:27]
	v_add_f64 v[10:11], v[10:11], v[28:29]
	v_add_f64 v[6:7], v[6:7], v[30:31]
	v_add_f64 v[4:5], v[4:5], v[32:33]
	v_add_f64 v[2:3], v[2:3], v[34:35]
	v_mov_b32_dpp v24, v22 row_shr:4 row_mask:0xf bank_mask:0xe
	v_mov_b32_dpp v25, v23 row_shr:4 row_mask:0xf bank_mask:0xe
	v_mov_b32_dpp v26, v8 row_shr:4 row_mask:0xf bank_mask:0xe
	v_mov_b32_dpp v27, v9 row_shr:4 row_mask:0xf bank_mask:0xe
	v_mov_b32_dpp v28, v10 row_shr:4 row_mask:0xf bank_mask:0xe
	v_mov_b32_dpp v29, v11 row_shr:4 row_mask:0xf bank_mask:0xe
	v_mov_b32_dpp v30, v6 row_shr:4 row_mask:0xf bank_mask:0xe
	v_mov_b32_dpp v31, v7 row_shr:4 row_mask:0xf bank_mask:0xe
	v_mov_b32_dpp v32, v4 row_shr:4 row_mask:0xf bank_mask:0xe
	v_mov_b32_dpp v33, v5 row_shr:4 row_mask:0xf bank_mask:0xe
	v_mov_b32_dpp v34, v2 row_shr:4 row_mask:0xf bank_mask:0xe
	v_mov_b32_dpp v35, v3 row_shr:4 row_mask:0xf bank_mask:0xe
	v_add_f64 v[22:23], v[22:23], v[24:25]
	;; [unrolled: 18-line block ×3, first 2 shown]
	v_add_f64 v[8:9], v[8:9], v[26:27]
	v_add_f64 v[10:11], v[10:11], v[28:29]
	;; [unrolled: 1-line block ×5, first 2 shown]
	v_mov_b32_dpp v24, v22 row_bcast:15 row_mask:0xa bank_mask:0xf
	v_mov_b32_dpp v25, v23 row_bcast:15 row_mask:0xa bank_mask:0xf
	;; [unrolled: 1-line block ×12, first 2 shown]
	v_cmp_eq_u32_e32 vcc, 31, v0
	s_and_b64 exec, exec, vcc
	s_cbranch_execz .LBB148_12
; %bb.30:
	s_load_dwordx2 s[2:3], s[2:3], 0x68
	v_add_f64 v[0:1], v[8:9], v[26:27]
	v_add_f64 v[6:7], v[6:7], v[30:31]
	v_add_f64 v[2:3], v[2:3], v[34:35]
	v_add_f64 v[22:23], v[22:23], v[24:25]
	v_add_f64 v[24:25], v[10:11], v[28:29]
	v_add_f64 v[26:27], v[4:5], v[32:33]
	v_cmp_eq_f64_e32 vcc, 0, v[12:13]
	v_cmp_eq_f64_e64 s[0:1], 0, v[14:15]
	v_mul_f64 v[8:9], v[0:1], -v[18:19]
	v_mul_f64 v[10:11], v[16:17], v[0:1]
	v_mul_f64 v[4:5], v[6:7], -v[18:19]
	v_mul_f64 v[6:7], v[16:17], v[6:7]
	;; [unrolled: 2-line block ×3, first 2 shown]
	s_and_b64 s[0:1], vcc, s[0:1]
	v_fmac_f64_e32 v[8:9], v[16:17], v[22:23]
	v_fmac_f64_e32 v[10:11], v[18:19], v[22:23]
	v_fmac_f64_e32 v[4:5], v[16:17], v[24:25]
	v_fmac_f64_e32 v[6:7], v[18:19], v[24:25]
	v_fmac_f64_e32 v[0:1], v[16:17], v[26:27]
	v_fmac_f64_e32 v[2:3], v[18:19], v[26:27]
	s_waitcnt lgkmcnt(0)
	s_and_saveexec_b64 s[4:5], s[0:1]
	s_xor_b64 s[0:1], exec, s[4:5]
	s_cbranch_execz .LBB148_32
; %bb.31:
	v_mad_u64_u32 v[12:13], s[4:5], v20, 48, s[2:3]
	v_mov_b32_e32 v14, v13
	v_mad_u64_u32 v[14:15], s[4:5], v21, 48, v[14:15]
	v_mov_b32_e32 v13, v14
	global_store_dwordx4 v[12:13], v[8:11], off
	global_store_dwordx4 v[12:13], v[4:7], off offset:16
	global_store_dwordx4 v[12:13], v[0:3], off offset:32
                                        ; implicit-def: $vgpr12_vgpr13
                                        ; implicit-def: $vgpr14_vgpr15
                                        ; implicit-def: $vgpr20_vgpr21
                                        ; implicit-def: $vgpr8_vgpr9
                                        ; implicit-def: $vgpr4_vgpr5
                                        ; implicit-def: $vgpr0_vgpr1
.LBB148_32:
	s_andn2_saveexec_b64 s[0:1], s[0:1]
	s_cbranch_execz .LBB148_12
; %bb.33:
	v_mad_u64_u32 v[28:29], s[0:1], v20, 48, s[2:3]
	v_mov_b32_e32 v16, v29
	v_mad_u64_u32 v[16:17], s[0:1], v21, 48, v[16:17]
	v_mov_b32_e32 v29, v16
	global_load_dwordx4 v[16:19], v[28:29], off
	global_load_dwordx4 v[20:23], v[28:29], off offset:16
	global_load_dwordx4 v[24:27], v[28:29], off offset:32
	s_waitcnt vmcnt(2)
	v_fmac_f64_e32 v[8:9], v[12:13], v[16:17]
	v_fmac_f64_e32 v[10:11], v[14:15], v[16:17]
	s_waitcnt vmcnt(1)
	v_fmac_f64_e32 v[4:5], v[12:13], v[20:21]
	v_fmac_f64_e32 v[6:7], v[14:15], v[20:21]
	;; [unrolled: 3-line block ×3, first 2 shown]
	v_fma_f64 v[8:9], -v[14:15], v[18:19], v[8:9]
	v_fmac_f64_e32 v[10:11], v[12:13], v[18:19]
	v_fma_f64 v[4:5], -v[14:15], v[22:23], v[4:5]
	v_fmac_f64_e32 v[6:7], v[12:13], v[22:23]
	;; [unrolled: 2-line block ×3, first 2 shown]
	global_store_dwordx4 v[28:29], v[8:11], off
	global_store_dwordx4 v[28:29], v[4:7], off offset:16
	global_store_dwordx4 v[28:29], v[0:3], off offset:32
	s_endpgm
	.section	.rodata,"a",@progbits
	.p2align	6, 0x0
	.amdhsa_kernel _ZN9rocsparseL18bsrxmvn_3x3_kernelILj256ELj32E21rocsparse_complex_numIdElldS2_S2_EEvT3_20rocsparse_direction_NS_24const_host_device_scalarIT1_EES3_PKS3_PKT2_SC_S9_PKT4_PKT5_S7_PT6_21rocsparse_index_base_b
		.amdhsa_group_segment_fixed_size 4096
		.amdhsa_private_segment_fixed_size 0
		.amdhsa_kernarg_size 120
		.amdhsa_user_sgpr_count 4
		.amdhsa_user_sgpr_dispatch_ptr 1
		.amdhsa_user_sgpr_queue_ptr 0
		.amdhsa_user_sgpr_kernarg_segment_ptr 1
		.amdhsa_user_sgpr_dispatch_id 0
		.amdhsa_user_sgpr_kernarg_preload_length 0
		.amdhsa_user_sgpr_kernarg_preload_offset 0
		.amdhsa_user_sgpr_private_segment_size 0
		.amdhsa_uses_dynamic_stack 0
		.amdhsa_enable_private_segment 0
		.amdhsa_system_sgpr_workgroup_id_x 1
		.amdhsa_system_sgpr_workgroup_id_y 0
		.amdhsa_system_sgpr_workgroup_id_z 0
		.amdhsa_system_sgpr_workgroup_info 0
		.amdhsa_system_vgpr_workitem_id 2
		.amdhsa_next_free_vgpr 68
		.amdhsa_next_free_sgpr 24
		.amdhsa_accum_offset 68
		.amdhsa_reserve_vcc 1
		.amdhsa_float_round_mode_32 0
		.amdhsa_float_round_mode_16_64 0
		.amdhsa_float_denorm_mode_32 3
		.amdhsa_float_denorm_mode_16_64 3
		.amdhsa_dx10_clamp 1
		.amdhsa_ieee_mode 1
		.amdhsa_fp16_overflow 0
		.amdhsa_tg_split 0
		.amdhsa_exception_fp_ieee_invalid_op 0
		.amdhsa_exception_fp_denorm_src 0
		.amdhsa_exception_fp_ieee_div_zero 0
		.amdhsa_exception_fp_ieee_overflow 0
		.amdhsa_exception_fp_ieee_underflow 0
		.amdhsa_exception_fp_ieee_inexact 0
		.amdhsa_exception_int_div_zero 0
	.end_amdhsa_kernel
	.section	.text._ZN9rocsparseL18bsrxmvn_3x3_kernelILj256ELj32E21rocsparse_complex_numIdElldS2_S2_EEvT3_20rocsparse_direction_NS_24const_host_device_scalarIT1_EES3_PKS3_PKT2_SC_S9_PKT4_PKT5_S7_PT6_21rocsparse_index_base_b,"axG",@progbits,_ZN9rocsparseL18bsrxmvn_3x3_kernelILj256ELj32E21rocsparse_complex_numIdElldS2_S2_EEvT3_20rocsparse_direction_NS_24const_host_device_scalarIT1_EES3_PKS3_PKT2_SC_S9_PKT4_PKT5_S7_PT6_21rocsparse_index_base_b,comdat
.Lfunc_end148:
	.size	_ZN9rocsparseL18bsrxmvn_3x3_kernelILj256ELj32E21rocsparse_complex_numIdElldS2_S2_EEvT3_20rocsparse_direction_NS_24const_host_device_scalarIT1_EES3_PKS3_PKT2_SC_S9_PKT4_PKT5_S7_PT6_21rocsparse_index_base_b, .Lfunc_end148-_ZN9rocsparseL18bsrxmvn_3x3_kernelILj256ELj32E21rocsparse_complex_numIdElldS2_S2_EEvT3_20rocsparse_direction_NS_24const_host_device_scalarIT1_EES3_PKS3_PKT2_SC_S9_PKT4_PKT5_S7_PT6_21rocsparse_index_base_b
                                        ; -- End function
	.section	.AMDGPU.csdata,"",@progbits
; Kernel info:
; codeLenInByte = 2616
; NumSgprs: 30
; NumVgprs: 68
; NumAgprs: 0
; TotalNumVgprs: 68
; ScratchSize: 0
; MemoryBound: 0
; FloatMode: 240
; IeeeMode: 1
; LDSByteSize: 4096 bytes/workgroup (compile time only)
; SGPRBlocks: 3
; VGPRBlocks: 8
; NumSGPRsForWavesPerEU: 30
; NumVGPRsForWavesPerEU: 68
; AccumOffset: 68
; Occupancy: 7
; WaveLimiterHint : 1
; COMPUTE_PGM_RSRC2:SCRATCH_EN: 0
; COMPUTE_PGM_RSRC2:USER_SGPR: 4
; COMPUTE_PGM_RSRC2:TRAP_HANDLER: 0
; COMPUTE_PGM_RSRC2:TGID_X_EN: 1
; COMPUTE_PGM_RSRC2:TGID_Y_EN: 0
; COMPUTE_PGM_RSRC2:TGID_Z_EN: 0
; COMPUTE_PGM_RSRC2:TIDIG_COMP_CNT: 2
; COMPUTE_PGM_RSRC3_GFX90A:ACCUM_OFFSET: 16
; COMPUTE_PGM_RSRC3_GFX90A:TG_SPLIT: 0
	.section	.text._ZN9rocsparseL18bsrxmvn_3x3_kernelILj256ELj64E21rocsparse_complex_numIdElldS2_S2_EEvT3_20rocsparse_direction_NS_24const_host_device_scalarIT1_EES3_PKS3_PKT2_SC_S9_PKT4_PKT5_S7_PT6_21rocsparse_index_base_b,"axG",@progbits,_ZN9rocsparseL18bsrxmvn_3x3_kernelILj256ELj64E21rocsparse_complex_numIdElldS2_S2_EEvT3_20rocsparse_direction_NS_24const_host_device_scalarIT1_EES3_PKS3_PKT2_SC_S9_PKT4_PKT5_S7_PT6_21rocsparse_index_base_b,comdat
	.globl	_ZN9rocsparseL18bsrxmvn_3x3_kernelILj256ELj64E21rocsparse_complex_numIdElldS2_S2_EEvT3_20rocsparse_direction_NS_24const_host_device_scalarIT1_EES3_PKS3_PKT2_SC_S9_PKT4_PKT5_S7_PT6_21rocsparse_index_base_b ; -- Begin function _ZN9rocsparseL18bsrxmvn_3x3_kernelILj256ELj64E21rocsparse_complex_numIdElldS2_S2_EEvT3_20rocsparse_direction_NS_24const_host_device_scalarIT1_EES3_PKS3_PKT2_SC_S9_PKT4_PKT5_S7_PT6_21rocsparse_index_base_b
	.p2align	8
	.type	_ZN9rocsparseL18bsrxmvn_3x3_kernelILj256ELj64E21rocsparse_complex_numIdElldS2_S2_EEvT3_20rocsparse_direction_NS_24const_host_device_scalarIT1_EES3_PKS3_PKT2_SC_S9_PKT4_PKT5_S7_PT6_21rocsparse_index_base_b,@function
_ZN9rocsparseL18bsrxmvn_3x3_kernelILj256ELj64E21rocsparse_complex_numIdElldS2_S2_EEvT3_20rocsparse_direction_NS_24const_host_device_scalarIT1_EES3_PKS3_PKT2_SC_S9_PKT4_PKT5_S7_PT6_21rocsparse_index_base_b: ; @_ZN9rocsparseL18bsrxmvn_3x3_kernelILj256ELj64E21rocsparse_complex_numIdElldS2_S2_EEvT3_20rocsparse_direction_NS_24const_host_device_scalarIT1_EES3_PKS3_PKT2_SC_S9_PKT4_PKT5_S7_PT6_21rocsparse_index_base_b
; %bb.0:
	s_load_dwordx2 s[16:17], s[2:3], 0x70
	s_load_dwordx4 s[12:15], s[2:3], 0x10
	s_load_dwordx2 s[18:19], s[0:1], 0x4
	s_load_dwordx4 s[8:11], s[2:3], 0x58
	s_mov_b64 s[6:7], src_shared_base
	v_and_b32_e32 v2, 0x3ff, v0
	s_waitcnt lgkmcnt(0)
	s_bitcmp1_b32 s17, 0
	s_cselect_b64 s[0:1], -1, 0
	s_and_b64 vcc, s[0:1], exec
	s_cselect_b32 s5, s7, s13
	s_lshr_b32 s6, s18, 16
	s_mul_i32 s6, s6, s19
	v_mul_lo_u32 v3, s6, v2
	v_bfe_u32 v4, v0, 10, 10
	v_mad_u32_u24 v3, v4, s19, v3
	v_bfe_u32 v0, v0, 20, 10
	v_add_lshl_u32 v0, v3, v0, 3
	v_mov_b32_e32 v1, s12
	v_add_u32_e32 v3, 0x800, v0
	v_mov_b64_e32 v[4:5], s[12:13]
	v_mov_b64_e32 v[6:7], s[8:9]
	ds_write2st64_b64 v0, v[6:7], v[4:5] offset1:4
	v_cndmask_b32_e64 v4, v1, v3, s[0:1]
	v_mov_b32_e32 v5, s5
	flat_load_dwordx2 v[16:17], v[4:5]
	s_xor_b64 s[18:19], s[0:1], -1
	v_mov_b64_e32 v[18:19], s[14:15]
	s_cbranch_vccnz .LBB149_2
; %bb.1:
	v_mov_b64_e32 v[4:5], s[12:13]
	flat_load_dwordx2 v[18:19], v[4:5] offset:8
.LBB149_2:
	s_and_b64 s[12:13], s[0:1], exec
	s_cselect_b32 s5, s7, s9
	v_mov_b32_e32 v1, s8
	v_cndmask_b32_e64 v0, v1, v0, s[0:1]
	v_mov_b32_e32 v1, s5
	flat_load_dwordx2 v[12:13], v[0:1]
	s_andn2_b64 vcc, exec, s[18:19]
	v_mov_b64_e32 v[14:15], s[10:11]
	s_cbranch_vccnz .LBB149_4
; %bb.3:
	v_mov_b64_e32 v[0:1], s[8:9]
	flat_load_dwordx2 v[14:15], v[0:1] offset:8
.LBB149_4:
	s_waitcnt vmcnt(0) lgkmcnt(0)
	v_cmp_eq_f64_e32 vcc, 0, v[16:17]
	v_cmp_eq_f64_e64 s[0:1], 0, v[18:19]
	s_and_b64 s[8:9], vcc, s[0:1]
	s_mov_b64 s[0:1], -1
	s_and_saveexec_b64 s[6:7], s[8:9]
; %bb.5:
	v_cmp_neq_f64_e32 vcc, 1.0, v[12:13]
	v_cmp_neq_f64_e64 s[0:1], 0, v[14:15]
	s_or_b64 s[0:1], vcc, s[0:1]
	s_orn2_b64 s[0:1], s[0:1], exec
; %bb.6:
	s_or_b64 exec, exec, s[6:7]
	s_and_saveexec_b64 s[6:7], s[0:1]
	s_cbranch_execz .LBB149_12
; %bb.7:
	s_load_dwordx2 s[6:7], s[2:3], 0x28
	v_lshrrev_b32_e32 v0, 6, v2
	v_lshl_or_b32 v0, s4, 2, v0
	v_mov_b32_e32 v1, 0
	s_mov_b64 s[0:1], 0
	s_waitcnt lgkmcnt(0)
	s_cmp_lg_u64 s[6:7], 0
	s_cbranch_scc0 .LBB149_13
; %bb.8:
	s_load_dwordx2 s[4:5], s[2:3], 0x20
                                        ; implicit-def: $vgpr20_vgpr21
	s_waitcnt lgkmcnt(0)
	v_cmp_gt_i64_e32 vcc, s[4:5], v[0:1]
	s_and_saveexec_b64 s[4:5], vcc
	s_xor_b64 s[4:5], exec, s[4:5]
                                        ; implicit-def: $sgpr12_sgpr13
	s_cbranch_execz .LBB149_10
; %bb.9:
	v_lshl_add_u64 v[4:5], v[0:1], 3, s[6:7]
	global_load_dwordx2 v[4:5], v[4:5], off
	s_mov_b64 s[0:1], exec
	s_mov_b32 s13, 0
	s_waitcnt vmcnt(0)
	v_subrev_co_u32_e32 v20, vcc, s16, v4
	s_nop 1
	v_subbrev_co_u32_e32 v21, vcc, 0, v5, vcc
.LBB149_10:
	s_or_b64 exec, exec, s[4:5]
.LBB149_11:
	s_and_b64 exec, exec, s[0:1]
	s_cbranch_execnz .LBB149_17
.LBB149_12:
	s_endpgm
.LBB149_13:
                                        ; implicit-def: $vgpr20_vgpr21
                                        ; implicit-def: $sgpr12_sgpr13
	s_cbranch_execz .LBB149_11
; %bb.14:
	s_load_dwordx2 s[4:5], s[2:3], 0x0
                                        ; implicit-def: $vgpr20_vgpr21
	s_waitcnt lgkmcnt(0)
	v_cmp_gt_i64_e32 vcc, s[4:5], v[0:1]
	s_and_saveexec_b64 s[4:5], vcc
                                        ; implicit-def: $sgpr12_sgpr13
; %bb.15:
	s_mov_b32 s13, 0
	s_or_b64 s[0:1], s[0:1], exec
	v_mov_b64_e32 v[20:21], v[0:1]
; %bb.16:
	s_or_b64 exec, exec, s[4:5]
	s_and_b64 exec, exec, s[0:1]
	s_cbranch_execz .LBB149_12
.LBB149_17:
	s_load_dwordx8 s[4:11], s[2:3], 0x30
	v_lshlrev_b64 v[0:1], 3, v[20:21]
	s_load_dword s0, s[2:3], 0x8
	v_mov_b32_e32 v8, s13
	s_waitcnt lgkmcnt(0)
	v_lshl_add_u64 v[4:5], s[4:5], 0, v[0:1]
	global_load_dwordx2 v[6:7], v[4:5], off
	s_cmp_eq_u64 s[6:7], 0
	v_lshl_add_u64 v[0:1], s[6:7], 0, v[0:1]
	v_lshl_add_u64 v[4:5], v[4:5], 0, 8
	s_cselect_b64 vcc, -1, 0
	v_cndmask_b32_e32 v1, v1, v5, vcc
	v_cndmask_b32_e32 v0, v0, v4, vcc
	global_load_dwordx2 v[4:5], v[0:1], off
	v_and_b32_e32 v0, 63, v2
	v_mov_b32_e32 v1, 0
	s_load_dwordx2 s[4:5], s[2:3], 0x50
	s_movk_i32 s6, 0x48
	v_mov_b64_e32 v[2:3], s[10:11]
	s_cmp_eq_u32 s0, 1
	s_waitcnt vmcnt(1)
	v_subrev_co_u32_e32 v6, vcc, s16, v6
	s_nop 1
	v_subb_co_u32_e32 v7, vcc, v7, v8, vcc
	v_lshl_add_u64 v[22:23], v[6:7], 0, v[0:1]
	v_mad_u64_u32 v[26:27], s[0:1], v22, s6, v[2:3]
	s_waitcnt vmcnt(0)
	v_subrev_co_u32_e32 v24, vcc, s16, v4
	v_mov_b32_e32 v2, v27
	s_nop 0
	v_subb_co_u32_e32 v25, vcc, v5, v8, vcc
	v_mad_u64_u32 v[2:3], s[0:1], v23, s6, v[2:3]
	v_mov_b32_e32 v27, v2
	v_cmp_lt_i64_e64 s[0:1], v[22:23], v[24:25]
	s_cbranch_scc1 .LBB149_23
; %bb.18:
	v_mov_b64_e32 v[8:9], 0
	s_mov_b64 s[6:7], 0
	v_mov_b64_e32 v[28:29], v[8:9]
	v_mov_b64_e32 v[6:7], v[8:9]
	;; [unrolled: 1-line block ×5, first 2 shown]
	s_and_saveexec_b64 s[10:11], s[0:1]
	s_cbranch_execz .LBB149_22
; %bb.19:
	v_mov_b64_e32 v[8:9], 0
	v_lshl_add_u64 v[30:31], v[22:23], 3, s[8:9]
	s_mov_b64 s[14:15], 0
	v_mov_b32_e32 v1, s13
	s_mov_b64 s[18:19], 0x1200
	s_mov_b64 s[20:21], 0x200
	v_mov_b64_e32 v[32:33], v[22:23]
	v_mov_b64_e32 v[34:35], v[26:27]
	;; [unrolled: 1-line block ×7, first 2 shown]
.LBB149_20:                             ; =>This Inner Loop Header: Depth=1
	global_load_dwordx2 v[52:53], v[30:31], off
	global_load_dwordx4 v[36:39], v[34:35], off offset:48
	global_load_dwordx4 v[40:43], v[34:35], off offset:32
	;; [unrolled: 1-line block ×3, first 2 shown]
	global_load_dwordx4 v[48:51], v[34:35], off
	global_load_dwordx2 v[64:65], v[34:35], off offset:64
	v_lshl_add_u64 v[32:33], v[32:33], 0, 64
	v_lshl_add_u64 v[34:35], v[34:35], 0, s[18:19]
	;; [unrolled: 1-line block ×3, first 2 shown]
	s_waitcnt vmcnt(5)
	v_subrev_co_u32_e32 v52, vcc, s16, v52
	s_waitcnt lgkmcnt(0)
	v_mad_u64_u32 v[66:67], s[22:23], v52, 48, s[4:5]
	v_subb_co_u32_e32 v53, vcc, v53, v1, vcc
	v_mov_b32_e32 v52, v67
	v_mad_u64_u32 v[52:53], s[22:23], v53, 48, v[52:53]
	v_mov_b32_e32 v67, v52
	global_load_dwordx4 v[52:55], v[66:67], off
	global_load_dwordx4 v[56:59], v[66:67], off offset:16
	global_load_dwordx4 v[60:63], v[66:67], off offset:32
	v_cmp_ge_i64_e32 vcc, v[32:33], v[24:25]
	s_or_b64 s[14:15], vcc, s[14:15]
	s_waitcnt vmcnt(2)
	v_fmac_f64_e32 v[28:29], v[48:49], v[52:53]
	v_fmac_f64_e32 v[8:9], 0, v[52:53]
	v_fmac_f64_e32 v[10:11], v[46:47], v[52:53]
	v_fmac_f64_e32 v[6:7], 0, v[52:53]
	v_fmac_f64_e32 v[4:5], v[36:37], v[52:53]
	v_fmac_f64_e32 v[2:3], 0, v[52:53]
	v_fmac_f64_e32 v[28:29], 0x80000000, v[54:55]
	v_fmac_f64_e32 v[8:9], v[48:49], v[54:55]
	v_fmac_f64_e32 v[10:11], 0x80000000, v[54:55]
	v_fmac_f64_e32 v[6:7], v[46:47], v[54:55]
	v_fmac_f64_e32 v[4:5], 0x80000000, v[54:55]
	v_fmac_f64_e32 v[2:3], v[36:37], v[54:55]
	s_waitcnt vmcnt(1)
	v_fmac_f64_e32 v[28:29], v[50:51], v[56:57]
	v_fmac_f64_e32 v[8:9], 0, v[56:57]
	v_fmac_f64_e32 v[10:11], v[40:41], v[56:57]
	v_fmac_f64_e32 v[6:7], 0, v[56:57]
	v_fmac_f64_e32 v[4:5], v[38:39], v[56:57]
	v_fmac_f64_e32 v[2:3], 0, v[56:57]
	v_fmac_f64_e32 v[28:29], 0x80000000, v[58:59]
	v_fmac_f64_e32 v[8:9], v[50:51], v[58:59]
	v_fmac_f64_e32 v[10:11], 0x80000000, v[58:59]
	v_fmac_f64_e32 v[6:7], v[40:41], v[58:59]
	v_fmac_f64_e32 v[4:5], 0x80000000, v[58:59]
	v_fmac_f64_e32 v[2:3], v[38:39], v[58:59]
	;; [unrolled: 13-line block ×3, first 2 shown]
	s_andn2_b64 exec, exec, s[14:15]
	s_cbranch_execnz .LBB149_20
; %bb.21:
	s_or_b64 exec, exec, s[14:15]
.LBB149_22:
	s_or_b64 exec, exec, s[10:11]
	s_andn2_b64 vcc, exec, s[6:7]
	s_cbranch_vccz .LBB149_24
	s_branch .LBB149_29
.LBB149_23:
                                        ; implicit-def: $vgpr8_vgpr9
                                        ; implicit-def: $vgpr28_vgpr29
                                        ; implicit-def: $vgpr6_vgpr7
                                        ; implicit-def: $vgpr10_vgpr11
                                        ; implicit-def: $vgpr2_vgpr3
                                        ; implicit-def: $vgpr4_vgpr5
.LBB149_24:
	v_mov_b64_e32 v[8:9], 0
	v_mov_b64_e32 v[28:29], v[8:9]
	;; [unrolled: 1-line block ×6, first 2 shown]
	s_and_saveexec_b64 s[6:7], s[0:1]
	s_cbranch_execz .LBB149_28
; %bb.25:
	v_mov_b64_e32 v[8:9], 0
	v_lshl_add_u64 v[30:31], v[22:23], 3, s[8:9]
	s_mov_b64 s[0:1], 0
	v_mov_b32_e32 v1, s13
	s_mov_b64 s[8:9], 0x1200
	s_mov_b64 s[10:11], 0x200
	v_mov_b64_e32 v[28:29], v[8:9]
	v_mov_b64_e32 v[6:7], v[8:9]
	;; [unrolled: 1-line block ×5, first 2 shown]
.LBB149_26:                             ; =>This Inner Loop Header: Depth=1
	global_load_dwordx2 v[48:49], v[30:31], off
	global_load_dwordx4 v[32:35], v[26:27], off offset:48
	global_load_dwordx4 v[36:39], v[26:27], off offset:32
	;; [unrolled: 1-line block ×3, first 2 shown]
	global_load_dwordx4 v[44:47], v[26:27], off
	global_load_dwordx2 v[60:61], v[26:27], off offset:64
	v_lshl_add_u64 v[22:23], v[22:23], 0, 64
	v_lshl_add_u64 v[26:27], v[26:27], 0, s[8:9]
	;; [unrolled: 1-line block ×3, first 2 shown]
	s_waitcnt vmcnt(5)
	v_subrev_co_u32_e32 v48, vcc, s16, v48
	s_waitcnt lgkmcnt(0)
	v_mad_u64_u32 v[62:63], s[12:13], v48, 48, s[4:5]
	v_subb_co_u32_e32 v49, vcc, v49, v1, vcc
	v_mov_b32_e32 v48, v63
	v_mad_u64_u32 v[48:49], s[12:13], v49, 48, v[48:49]
	v_mov_b32_e32 v63, v48
	global_load_dwordx4 v[48:51], v[62:63], off
	global_load_dwordx4 v[52:55], v[62:63], off offset:16
	global_load_dwordx4 v[56:59], v[62:63], off offset:32
	v_cmp_ge_i64_e32 vcc, v[22:23], v[24:25]
	s_or_b64 s[0:1], vcc, s[0:1]
	s_waitcnt vmcnt(2)
	v_fmac_f64_e32 v[28:29], v[44:45], v[48:49]
	v_fmac_f64_e32 v[8:9], 0, v[48:49]
	v_fmac_f64_e32 v[10:11], v[46:47], v[48:49]
	v_fmac_f64_e32 v[6:7], 0, v[48:49]
	v_fmac_f64_e32 v[4:5], v[40:41], v[48:49]
	v_fmac_f64_e32 v[2:3], 0, v[48:49]
	v_fmac_f64_e32 v[28:29], 0x80000000, v[50:51]
	v_fmac_f64_e32 v[8:9], v[44:45], v[50:51]
	v_fmac_f64_e32 v[10:11], 0x80000000, v[50:51]
	v_fmac_f64_e32 v[6:7], v[46:47], v[50:51]
	v_fmac_f64_e32 v[4:5], 0x80000000, v[50:51]
	v_fmac_f64_e32 v[2:3], v[40:41], v[50:51]
	s_waitcnt vmcnt(1)
	v_fmac_f64_e32 v[28:29], v[42:43], v[52:53]
	v_fmac_f64_e32 v[8:9], 0, v[52:53]
	v_fmac_f64_e32 v[10:11], v[36:37], v[52:53]
	v_fmac_f64_e32 v[6:7], 0, v[52:53]
	v_fmac_f64_e32 v[4:5], v[38:39], v[52:53]
	v_fmac_f64_e32 v[2:3], 0, v[52:53]
	v_fmac_f64_e32 v[28:29], 0x80000000, v[54:55]
	v_fmac_f64_e32 v[8:9], v[42:43], v[54:55]
	v_fmac_f64_e32 v[10:11], 0x80000000, v[54:55]
	v_fmac_f64_e32 v[6:7], v[36:37], v[54:55]
	v_fmac_f64_e32 v[4:5], 0x80000000, v[54:55]
	v_fmac_f64_e32 v[2:3], v[38:39], v[54:55]
	;; [unrolled: 13-line block ×3, first 2 shown]
	s_andn2_b64 exec, exec, s[0:1]
	s_cbranch_execnz .LBB149_26
; %bb.27:
	s_or_b64 exec, exec, s[0:1]
.LBB149_28:
	s_or_b64 exec, exec, s[6:7]
.LBB149_29:
	v_mov_b32_dpp v22, v28 row_shr:1 row_mask:0xf bank_mask:0xf
	v_mov_b32_dpp v23, v29 row_shr:1 row_mask:0xf bank_mask:0xf
	v_add_f64 v[22:23], v[28:29], v[22:23]
	v_mov_b32_dpp v26, v8 row_shr:1 row_mask:0xf bank_mask:0xf
	v_mov_b32_dpp v27, v9 row_shr:1 row_mask:0xf bank_mask:0xf
	;; [unrolled: 1-line block ×10, first 2 shown]
	v_add_f64 v[8:9], v[8:9], v[26:27]
	v_add_f64 v[10:11], v[10:11], v[28:29]
	v_add_f64 v[6:7], v[6:7], v[30:31]
	v_add_f64 v[4:5], v[4:5], v[32:33]
	v_add_f64 v[2:3], v[2:3], v[34:35]
	v_mov_b32_dpp v24, v22 row_shr:2 row_mask:0xf bank_mask:0xf
	v_mov_b32_dpp v25, v23 row_shr:2 row_mask:0xf bank_mask:0xf
	v_mov_b32_dpp v26, v8 row_shr:2 row_mask:0xf bank_mask:0xf
	v_mov_b32_dpp v27, v9 row_shr:2 row_mask:0xf bank_mask:0xf
	v_mov_b32_dpp v28, v10 row_shr:2 row_mask:0xf bank_mask:0xf
	v_mov_b32_dpp v29, v11 row_shr:2 row_mask:0xf bank_mask:0xf
	v_mov_b32_dpp v30, v6 row_shr:2 row_mask:0xf bank_mask:0xf
	v_mov_b32_dpp v31, v7 row_shr:2 row_mask:0xf bank_mask:0xf
	v_mov_b32_dpp v32, v4 row_shr:2 row_mask:0xf bank_mask:0xf
	v_mov_b32_dpp v33, v5 row_shr:2 row_mask:0xf bank_mask:0xf
	v_mov_b32_dpp v34, v2 row_shr:2 row_mask:0xf bank_mask:0xf
	v_mov_b32_dpp v35, v3 row_shr:2 row_mask:0xf bank_mask:0xf
	v_add_f64 v[22:23], v[22:23], v[24:25]
	v_add_f64 v[8:9], v[8:9], v[26:27]
	v_add_f64 v[10:11], v[10:11], v[28:29]
	v_add_f64 v[6:7], v[6:7], v[30:31]
	v_add_f64 v[4:5], v[4:5], v[32:33]
	v_add_f64 v[2:3], v[2:3], v[34:35]
	v_mov_b32_dpp v24, v22 row_shr:4 row_mask:0xf bank_mask:0xe
	v_mov_b32_dpp v25, v23 row_shr:4 row_mask:0xf bank_mask:0xe
	v_mov_b32_dpp v26, v8 row_shr:4 row_mask:0xf bank_mask:0xe
	v_mov_b32_dpp v27, v9 row_shr:4 row_mask:0xf bank_mask:0xe
	v_mov_b32_dpp v28, v10 row_shr:4 row_mask:0xf bank_mask:0xe
	v_mov_b32_dpp v29, v11 row_shr:4 row_mask:0xf bank_mask:0xe
	v_mov_b32_dpp v30, v6 row_shr:4 row_mask:0xf bank_mask:0xe
	v_mov_b32_dpp v31, v7 row_shr:4 row_mask:0xf bank_mask:0xe
	v_mov_b32_dpp v32, v4 row_shr:4 row_mask:0xf bank_mask:0xe
	v_mov_b32_dpp v33, v5 row_shr:4 row_mask:0xf bank_mask:0xe
	v_mov_b32_dpp v34, v2 row_shr:4 row_mask:0xf bank_mask:0xe
	v_mov_b32_dpp v35, v3 row_shr:4 row_mask:0xf bank_mask:0xe
	v_add_f64 v[22:23], v[22:23], v[24:25]
	;; [unrolled: 18-line block ×3, first 2 shown]
	v_add_f64 v[8:9], v[8:9], v[26:27]
	v_add_f64 v[10:11], v[10:11], v[28:29]
	;; [unrolled: 1-line block ×5, first 2 shown]
	v_mov_b32_dpp v24, v22 row_bcast:15 row_mask:0xa bank_mask:0xf
	v_mov_b32_dpp v25, v23 row_bcast:15 row_mask:0xa bank_mask:0xf
	;; [unrolled: 1-line block ×12, first 2 shown]
	v_add_f64 v[22:23], v[22:23], v[24:25]
	v_add_f64 v[8:9], v[8:9], v[26:27]
	;; [unrolled: 1-line block ×6, first 2 shown]
	v_mov_b32_dpp v24, v22 row_bcast:31 row_mask:0xc bank_mask:0xf
	v_mov_b32_dpp v25, v23 row_bcast:31 row_mask:0xc bank_mask:0xf
	;; [unrolled: 1-line block ×12, first 2 shown]
	v_cmp_eq_u32_e32 vcc, 63, v0
	s_and_b64 exec, exec, vcc
	s_cbranch_execz .LBB149_12
; %bb.30:
	s_load_dwordx2 s[2:3], s[2:3], 0x68
	v_add_f64 v[0:1], v[8:9], v[26:27]
	v_add_f64 v[6:7], v[6:7], v[30:31]
	v_add_f64 v[2:3], v[2:3], v[34:35]
	v_add_f64 v[22:23], v[22:23], v[24:25]
	v_add_f64 v[24:25], v[10:11], v[28:29]
	v_add_f64 v[26:27], v[4:5], v[32:33]
	v_cmp_eq_f64_e32 vcc, 0, v[12:13]
	v_cmp_eq_f64_e64 s[0:1], 0, v[14:15]
	v_mul_f64 v[8:9], v[0:1], -v[18:19]
	v_mul_f64 v[10:11], v[16:17], v[0:1]
	v_mul_f64 v[4:5], v[6:7], -v[18:19]
	v_mul_f64 v[6:7], v[16:17], v[6:7]
	;; [unrolled: 2-line block ×3, first 2 shown]
	s_and_b64 s[0:1], vcc, s[0:1]
	v_fmac_f64_e32 v[8:9], v[16:17], v[22:23]
	v_fmac_f64_e32 v[10:11], v[18:19], v[22:23]
	v_fmac_f64_e32 v[4:5], v[16:17], v[24:25]
	v_fmac_f64_e32 v[6:7], v[18:19], v[24:25]
	v_fmac_f64_e32 v[0:1], v[16:17], v[26:27]
	v_fmac_f64_e32 v[2:3], v[18:19], v[26:27]
	s_waitcnt lgkmcnt(0)
	s_and_saveexec_b64 s[4:5], s[0:1]
	s_xor_b64 s[0:1], exec, s[4:5]
	s_cbranch_execz .LBB149_32
; %bb.31:
	v_mad_u64_u32 v[12:13], s[4:5], v20, 48, s[2:3]
	v_mov_b32_e32 v14, v13
	v_mad_u64_u32 v[14:15], s[4:5], v21, 48, v[14:15]
	v_mov_b32_e32 v13, v14
	global_store_dwordx4 v[12:13], v[8:11], off
	global_store_dwordx4 v[12:13], v[4:7], off offset:16
	global_store_dwordx4 v[12:13], v[0:3], off offset:32
                                        ; implicit-def: $vgpr12_vgpr13
                                        ; implicit-def: $vgpr14_vgpr15
                                        ; implicit-def: $vgpr20_vgpr21
                                        ; implicit-def: $vgpr8_vgpr9
                                        ; implicit-def: $vgpr4_vgpr5
                                        ; implicit-def: $vgpr0_vgpr1
.LBB149_32:
	s_andn2_saveexec_b64 s[0:1], s[0:1]
	s_cbranch_execz .LBB149_12
; %bb.33:
	v_mad_u64_u32 v[28:29], s[0:1], v20, 48, s[2:3]
	v_mov_b32_e32 v16, v29
	v_mad_u64_u32 v[16:17], s[0:1], v21, 48, v[16:17]
	v_mov_b32_e32 v29, v16
	global_load_dwordx4 v[16:19], v[28:29], off
	global_load_dwordx4 v[20:23], v[28:29], off offset:16
	global_load_dwordx4 v[24:27], v[28:29], off offset:32
	s_waitcnt vmcnt(2)
	v_fmac_f64_e32 v[8:9], v[12:13], v[16:17]
	v_fmac_f64_e32 v[10:11], v[14:15], v[16:17]
	s_waitcnt vmcnt(1)
	v_fmac_f64_e32 v[4:5], v[12:13], v[20:21]
	v_fmac_f64_e32 v[6:7], v[14:15], v[20:21]
	;; [unrolled: 3-line block ×3, first 2 shown]
	v_fma_f64 v[8:9], -v[14:15], v[18:19], v[8:9]
	v_fmac_f64_e32 v[10:11], v[12:13], v[18:19]
	v_fma_f64 v[4:5], -v[14:15], v[22:23], v[4:5]
	v_fmac_f64_e32 v[6:7], v[12:13], v[22:23]
	;; [unrolled: 2-line block ×3, first 2 shown]
	global_store_dwordx4 v[28:29], v[8:11], off
	global_store_dwordx4 v[28:29], v[4:7], off offset:16
	global_store_dwordx4 v[28:29], v[0:3], off offset:32
	s_endpgm
	.section	.rodata,"a",@progbits
	.p2align	6, 0x0
	.amdhsa_kernel _ZN9rocsparseL18bsrxmvn_3x3_kernelILj256ELj64E21rocsparse_complex_numIdElldS2_S2_EEvT3_20rocsparse_direction_NS_24const_host_device_scalarIT1_EES3_PKS3_PKT2_SC_S9_PKT4_PKT5_S7_PT6_21rocsparse_index_base_b
		.amdhsa_group_segment_fixed_size 4096
		.amdhsa_private_segment_fixed_size 0
		.amdhsa_kernarg_size 120
		.amdhsa_user_sgpr_count 4
		.amdhsa_user_sgpr_dispatch_ptr 1
		.amdhsa_user_sgpr_queue_ptr 0
		.amdhsa_user_sgpr_kernarg_segment_ptr 1
		.amdhsa_user_sgpr_dispatch_id 0
		.amdhsa_user_sgpr_kernarg_preload_length 0
		.amdhsa_user_sgpr_kernarg_preload_offset 0
		.amdhsa_user_sgpr_private_segment_size 0
		.amdhsa_uses_dynamic_stack 0
		.amdhsa_enable_private_segment 0
		.amdhsa_system_sgpr_workgroup_id_x 1
		.amdhsa_system_sgpr_workgroup_id_y 0
		.amdhsa_system_sgpr_workgroup_id_z 0
		.amdhsa_system_sgpr_workgroup_info 0
		.amdhsa_system_vgpr_workitem_id 2
		.amdhsa_next_free_vgpr 68
		.amdhsa_next_free_sgpr 24
		.amdhsa_accum_offset 68
		.amdhsa_reserve_vcc 1
		.amdhsa_float_round_mode_32 0
		.amdhsa_float_round_mode_16_64 0
		.amdhsa_float_denorm_mode_32 3
		.amdhsa_float_denorm_mode_16_64 3
		.amdhsa_dx10_clamp 1
		.amdhsa_ieee_mode 1
		.amdhsa_fp16_overflow 0
		.amdhsa_tg_split 0
		.amdhsa_exception_fp_ieee_invalid_op 0
		.amdhsa_exception_fp_denorm_src 0
		.amdhsa_exception_fp_ieee_div_zero 0
		.amdhsa_exception_fp_ieee_overflow 0
		.amdhsa_exception_fp_ieee_underflow 0
		.amdhsa_exception_fp_ieee_inexact 0
		.amdhsa_exception_int_div_zero 0
	.end_amdhsa_kernel
	.section	.text._ZN9rocsparseL18bsrxmvn_3x3_kernelILj256ELj64E21rocsparse_complex_numIdElldS2_S2_EEvT3_20rocsparse_direction_NS_24const_host_device_scalarIT1_EES3_PKS3_PKT2_SC_S9_PKT4_PKT5_S7_PT6_21rocsparse_index_base_b,"axG",@progbits,_ZN9rocsparseL18bsrxmvn_3x3_kernelILj256ELj64E21rocsparse_complex_numIdElldS2_S2_EEvT3_20rocsparse_direction_NS_24const_host_device_scalarIT1_EES3_PKS3_PKT2_SC_S9_PKT4_PKT5_S7_PT6_21rocsparse_index_base_b,comdat
.Lfunc_end149:
	.size	_ZN9rocsparseL18bsrxmvn_3x3_kernelILj256ELj64E21rocsparse_complex_numIdElldS2_S2_EEvT3_20rocsparse_direction_NS_24const_host_device_scalarIT1_EES3_PKS3_PKT2_SC_S9_PKT4_PKT5_S7_PT6_21rocsparse_index_base_b, .Lfunc_end149-_ZN9rocsparseL18bsrxmvn_3x3_kernelILj256ELj64E21rocsparse_complex_numIdElldS2_S2_EEvT3_20rocsparse_direction_NS_24const_host_device_scalarIT1_EES3_PKS3_PKT2_SC_S9_PKT4_PKT5_S7_PT6_21rocsparse_index_base_b
                                        ; -- End function
	.section	.AMDGPU.csdata,"",@progbits
; Kernel info:
; codeLenInByte = 2760
; NumSgprs: 30
; NumVgprs: 68
; NumAgprs: 0
; TotalNumVgprs: 68
; ScratchSize: 0
; MemoryBound: 0
; FloatMode: 240
; IeeeMode: 1
; LDSByteSize: 4096 bytes/workgroup (compile time only)
; SGPRBlocks: 3
; VGPRBlocks: 8
; NumSGPRsForWavesPerEU: 30
; NumVGPRsForWavesPerEU: 68
; AccumOffset: 68
; Occupancy: 7
; WaveLimiterHint : 1
; COMPUTE_PGM_RSRC2:SCRATCH_EN: 0
; COMPUTE_PGM_RSRC2:USER_SGPR: 4
; COMPUTE_PGM_RSRC2:TRAP_HANDLER: 0
; COMPUTE_PGM_RSRC2:TGID_X_EN: 1
; COMPUTE_PGM_RSRC2:TGID_Y_EN: 0
; COMPUTE_PGM_RSRC2:TGID_Z_EN: 0
; COMPUTE_PGM_RSRC2:TIDIG_COMP_CNT: 2
; COMPUTE_PGM_RSRC3_GFX90A:ACCUM_OFFSET: 16
; COMPUTE_PGM_RSRC3_GFX90A:TG_SPLIT: 0
	.section	.text._ZN9rocsparseL18bsrxmvn_3x3_kernelILj256ELj4EdiifddEEvT3_20rocsparse_direction_NS_24const_host_device_scalarIT1_EES1_PKS1_PKT2_SA_S7_PKT4_PKT5_S5_PT6_21rocsparse_index_base_b,"axG",@progbits,_ZN9rocsparseL18bsrxmvn_3x3_kernelILj256ELj4EdiifddEEvT3_20rocsparse_direction_NS_24const_host_device_scalarIT1_EES1_PKS1_PKT2_SA_S7_PKT4_PKT5_S5_PT6_21rocsparse_index_base_b,comdat
	.globl	_ZN9rocsparseL18bsrxmvn_3x3_kernelILj256ELj4EdiifddEEvT3_20rocsparse_direction_NS_24const_host_device_scalarIT1_EES1_PKS1_PKT2_SA_S7_PKT4_PKT5_S5_PT6_21rocsparse_index_base_b ; -- Begin function _ZN9rocsparseL18bsrxmvn_3x3_kernelILj256ELj4EdiifddEEvT3_20rocsparse_direction_NS_24const_host_device_scalarIT1_EES1_PKS1_PKT2_SA_S7_PKT4_PKT5_S5_PT6_21rocsparse_index_base_b
	.p2align	8
	.type	_ZN9rocsparseL18bsrxmvn_3x3_kernelILj256ELj4EdiifddEEvT3_20rocsparse_direction_NS_24const_host_device_scalarIT1_EES1_PKS1_PKT2_SA_S7_PKT4_PKT5_S5_PT6_21rocsparse_index_base_b,@function
_ZN9rocsparseL18bsrxmvn_3x3_kernelILj256ELj4EdiifddEEvT3_20rocsparse_direction_NS_24const_host_device_scalarIT1_EES1_PKS1_PKT2_SA_S7_PKT4_PKT5_S5_PT6_21rocsparse_index_base_b: ; @_ZN9rocsparseL18bsrxmvn_3x3_kernelILj256ELj4EdiifddEEvT3_20rocsparse_direction_NS_24const_host_device_scalarIT1_EES1_PKS1_PKT2_SA_S7_PKT4_PKT5_S5_PT6_21rocsparse_index_base_b
; %bb.0:
	s_load_dwordx2 s[12:13], s[0:1], 0x58
	s_load_dwordx2 s[8:9], s[0:1], 0x8
	;; [unrolled: 1-line block ×3, first 2 shown]
	s_waitcnt lgkmcnt(0)
	s_bitcmp1_b32 s13, 0
	s_cselect_b64 s[10:11], -1, 0
	s_xor_b64 s[6:7], s[10:11], -1
	s_and_b64 vcc, exec, s[10:11]
	v_mov_b64_e32 v[6:7], s[8:9]
	s_cbranch_vccnz .LBB150_2
; %bb.1:
	v_mov_b64_e32 v[2:3], s[8:9]
	flat_load_dwordx2 v[6:7], v[2:3]
.LBB150_2:
	s_andn2_b64 vcc, exec, s[6:7]
	v_mov_b64_e32 v[4:5], s[4:5]
	s_cbranch_vccnz .LBB150_4
; %bb.3:
	v_mov_b64_e32 v[2:3], s[4:5]
	flat_load_dwordx2 v[4:5], v[2:3]
.LBB150_4:
	s_waitcnt vmcnt(0) lgkmcnt(0)
	v_cmp_neq_f64_e32 vcc, 0, v[6:7]
	v_cmp_neq_f64_e64 s[4:5], 1.0, v[4:5]
	s_mov_b64 s[6:7], 0
	s_or_b64 s[4:5], vcc, s[4:5]
	s_and_saveexec_b64 s[8:9], s[4:5]
	s_cbranch_execz .LBB150_10
; %bb.5:
	s_load_dwordx2 s[4:5], s[0:1], 0x18
	s_load_dwordx2 s[14:15], s[0:1], 0x0
	v_lshrrev_b32_e32 v1, 2, v0
	v_lshl_or_b32 v2, s2, 6, v1
	s_mov_b64 s[2:3], 0
	s_waitcnt lgkmcnt(0)
	s_cmp_lg_u64 s[4:5], 0
	s_cbranch_scc0 .LBB150_11
; %bb.6:
	s_load_dword s6, s[0:1], 0x10
                                        ; implicit-def: $vgpr1
	s_waitcnt lgkmcnt(0)
	v_cmp_gt_i32_e32 vcc, s6, v2
	s_and_saveexec_b64 s[6:7], vcc
	s_xor_b64 s[6:7], exec, s[6:7]
	s_cbranch_execz .LBB150_8
; %bb.7:
	v_ashrrev_i32_e32 v3, 31, v2
	v_lshl_add_u64 v[8:9], v[2:3], 2, s[4:5]
	global_load_dword v1, v[8:9], off
	s_mov_b64 s[2:3], exec
	s_waitcnt vmcnt(0)
	v_subrev_u32_e32 v1, s12, v1
.LBB150_8:
	s_or_b64 exec, exec, s[6:7]
	s_mov_b64 s[6:7], s[2:3]
	s_branch .LBB150_12
.LBB150_9:
	v_cmp_gt_i32_e32 vcc, s14, v2
	s_andn2_b64 s[2:3], s[6:7], exec
	s_and_b64 s[4:5], vcc, exec
	s_or_b64 s[6:7], s[2:3], s[4:5]
	s_and_b64 exec, exec, s[6:7]
	s_cbranch_execnz .LBB150_13
.LBB150_10:
	s_endpgm
.LBB150_11:
                                        ; implicit-def: $vgpr1
	s_cbranch_execnz .LBB150_9
.LBB150_12:
	v_mov_b32_e32 v2, v1
	s_and_b64 exec, exec, s[6:7]
	s_cbranch_execz .LBB150_10
.LBB150_13:
	s_load_dwordx8 s[4:11], s[0:1], 0x20
	v_ashrrev_i32_e32 v3, 31, v2
	v_lshlrev_b64 v[8:9], 2, v[2:3]
	v_and_b32_e32 v3, 3, v0
	s_waitcnt lgkmcnt(0)
	v_lshl_add_u64 v[10:11], s[4:5], 0, v[8:9]
	s_cmp_eq_u64 s[6:7], 0
	global_load_dword v1, v[10:11], off
	v_lshl_add_u64 v[10:11], v[10:11], 0, 4
	v_lshl_add_u64 v[8:9], s[6:7], 0, v[8:9]
	s_cselect_b64 vcc, -1, 0
	v_cndmask_b32_e32 v9, v9, v11, vcc
	v_cndmask_b32_e32 v8, v8, v10, vcc
	global_load_dword v9, v[8:9], off
	s_load_dwordx2 s[4:5], s[0:1], 0x40
	s_cmp_eq_u32 s15, 1
	s_waitcnt vmcnt(1)
	v_subrev_u32_e32 v0, s12, v1
	v_add_u32_e32 v8, v0, v3
	v_mad_i64_i32 v[10:11], s[2:3], v8, 36, s[10:11]
	s_waitcnt vmcnt(0)
	v_subrev_u32_e32 v20, s12, v9
	v_cmp_lt_i32_e64 s[2:3], v8, v20
	s_cbranch_scc1 .LBB150_19
; %bb.14:
	v_mov_b64_e32 v[0:1], 0
	s_mov_b64 s[6:7], 0
	v_mov_b64_e32 v[12:13], v[0:1]
	v_mov_b64_e32 v[14:15], v[0:1]
	s_and_saveexec_b64 s[10:11], s[2:3]
	s_cbranch_execz .LBB150_18
; %bb.15:
	v_mov_b64_e32 v[0:1], 0
	s_mov_b64 s[14:15], 0
	s_mov_b64 s[16:17], 0x90
	v_mov_b64_e32 v[16:17], v[10:11]
	v_mov_b32_e32 v18, v8
	v_mov_b64_e32 v[12:13], v[0:1]
	v_mov_b64_e32 v[14:15], v[0:1]
.LBB150_16:                             ; =>This Inner Loop Header: Depth=1
	v_ashrrev_i32_e32 v19, 31, v18
	v_lshl_add_u64 v[30:31], v[18:19], 2, s[8:9]
	global_load_dword v9, v[30:31], off
	global_load_dwordx4 v[22:25], v[16:17], off
	global_load_dwordx4 v[26:29], v[16:17], off offset:16
	v_add_u32_e32 v18, 4, v18
	v_cmp_ge_i32_e32 vcc, v18, v20
	s_or_b64 s[14:15], vcc, s[14:15]
	s_waitcnt vmcnt(2)
	v_subrev_u32_e32 v9, s12, v9
	v_lshl_add_u32 v30, v9, 1, v9
	v_ashrrev_i32_e32 v31, 31, v30
	s_waitcnt lgkmcnt(0)
	v_lshl_add_u64 v[34:35], v[30:31], 3, s[4:5]
	global_load_dwordx2 v[36:37], v[34:35], off offset:16
	global_load_dwordx4 v[30:33], v[34:35], off
	global_load_dword v9, v[16:17], off offset:32
	s_waitcnt vmcnt(4)
	v_cvt_f64_f32_e32 v[34:35], v22
	v_cvt_f64_f32_e32 v[38:39], v24
	;; [unrolled: 1-line block ×3, first 2 shown]
	s_waitcnt vmcnt(3)
	v_cvt_f64_f32_e32 v[42:43], v28
	v_cvt_f64_f32_e32 v[22:23], v23
	;; [unrolled: 1-line block ×5, first 2 shown]
	v_lshl_add_u64 v[16:17], v[16:17], 0, s[16:17]
	s_waitcnt vmcnt(1)
	v_fmac_f64_e32 v[14:15], v[34:35], v[30:31]
	v_fmac_f64_e32 v[12:13], v[24:25], v[30:31]
	;; [unrolled: 1-line block ×3, first 2 shown]
	s_waitcnt vmcnt(0)
	v_cvt_f64_f32_e32 v[44:45], v9
	v_fmac_f64_e32 v[14:15], v[22:23], v[32:33]
	v_fmac_f64_e32 v[12:13], v[40:41], v[32:33]
	v_fmac_f64_e32 v[0:1], v[28:29], v[32:33]
	v_fmac_f64_e32 v[14:15], v[38:39], v[36:37]
	v_fmac_f64_e32 v[12:13], v[26:27], v[36:37]
	v_fmac_f64_e32 v[0:1], v[44:45], v[36:37]
	s_andn2_b64 exec, exec, s[14:15]
	s_cbranch_execnz .LBB150_16
; %bb.17:
	s_or_b64 exec, exec, s[14:15]
.LBB150_18:
	s_or_b64 exec, exec, s[10:11]
	s_andn2_b64 vcc, exec, s[6:7]
	s_cbranch_vccz .LBB150_20
	s_branch .LBB150_25
.LBB150_19:
                                        ; implicit-def: $vgpr0_vgpr1
                                        ; implicit-def: $vgpr12_vgpr13
                                        ; implicit-def: $vgpr14_vgpr15
.LBB150_20:
	v_mov_b64_e32 v[0:1], 0
	v_mov_b64_e32 v[12:13], v[0:1]
	;; [unrolled: 1-line block ×3, first 2 shown]
	s_and_saveexec_b64 s[6:7], s[2:3]
	s_cbranch_execz .LBB150_24
; %bb.21:
	v_mov_b64_e32 v[0:1], 0
	s_mov_b64 s[2:3], 0
	s_mov_b64 s[10:11], 0x90
	v_mov_b64_e32 v[12:13], v[0:1]
	v_mov_b64_e32 v[14:15], v[0:1]
.LBB150_22:                             ; =>This Inner Loop Header: Depth=1
	v_ashrrev_i32_e32 v9, 31, v8
	v_lshl_add_u64 v[26:27], v[8:9], 2, s[8:9]
	global_load_dword v9, v[26:27], off
	global_load_dwordx4 v[16:19], v[10:11], off
	global_load_dwordx4 v[22:25], v[10:11], off offset:16
	v_add_u32_e32 v8, 4, v8
	v_cmp_ge_i32_e32 vcc, v8, v20
	s_or_b64 s[2:3], vcc, s[2:3]
	s_waitcnt vmcnt(2)
	v_subrev_u32_e32 v9, s12, v9
	v_lshl_add_u32 v26, v9, 1, v9
	v_ashrrev_i32_e32 v27, 31, v26
	s_waitcnt lgkmcnt(0)
	v_lshl_add_u64 v[30:31], v[26:27], 3, s[4:5]
	global_load_dwordx2 v[32:33], v[30:31], off offset:16
	global_load_dwordx4 v[26:29], v[30:31], off
	global_load_dword v9, v[10:11], off offset:32
	s_waitcnt vmcnt(4)
	v_cvt_f64_f32_e32 v[30:31], v16
	v_cvt_f64_f32_e32 v[16:17], v17
	;; [unrolled: 1-line block ×4, first 2 shown]
	s_waitcnt vmcnt(3)
	v_cvt_f64_f32_e32 v[36:37], v22
	v_cvt_f64_f32_e32 v[22:23], v23
	;; [unrolled: 1-line block ×4, first 2 shown]
	v_lshl_add_u64 v[10:11], v[10:11], 0, s[10:11]
	s_waitcnt vmcnt(1)
	v_fmac_f64_e32 v[14:15], v[30:31], v[26:27]
	v_fmac_f64_e32 v[12:13], v[16:17], v[26:27]
	;; [unrolled: 1-line block ×3, first 2 shown]
	s_waitcnt vmcnt(0)
	v_cvt_f64_f32_e32 v[40:41], v9
	v_fmac_f64_e32 v[14:15], v[18:19], v[28:29]
	v_fmac_f64_e32 v[12:13], v[36:37], v[28:29]
	;; [unrolled: 1-line block ×6, first 2 shown]
	s_andn2_b64 exec, exec, s[2:3]
	s_cbranch_execnz .LBB150_22
; %bb.23:
	s_or_b64 exec, exec, s[2:3]
.LBB150_24:
	s_or_b64 exec, exec, s[6:7]
.LBB150_25:
	v_mov_b32_dpp v8, v14 row_shr:1 row_mask:0xf bank_mask:0xf
	v_mov_b32_dpp v9, v15 row_shr:1 row_mask:0xf bank_mask:0xf
	v_add_f64 v[8:9], v[14:15], v[8:9]
	v_mov_b32_dpp v14, v12 row_shr:1 row_mask:0xf bank_mask:0xf
	v_mov_b32_dpp v15, v13 row_shr:1 row_mask:0xf bank_mask:0xf
	;; [unrolled: 1-line block ×4, first 2 shown]
	v_add_f64 v[12:13], v[12:13], v[14:15]
	v_add_f64 v[0:1], v[0:1], v[16:17]
	v_mov_b32_dpp v10, v8 row_shr:2 row_mask:0xf bank_mask:0xf
	v_mov_b32_dpp v11, v9 row_shr:2 row_mask:0xf bank_mask:0xf
	;; [unrolled: 1-line block ×6, first 2 shown]
	v_cmp_eq_u32_e32 vcc, 3, v3
	s_and_b64 exec, exec, vcc
	s_cbranch_execz .LBB150_10
; %bb.26:
	s_load_dwordx2 s[0:1], s[0:1], 0x50
	v_add_f64 v[8:9], v[8:9], v[10:11]
	v_add_f64 v[10:11], v[12:13], v[14:15]
	v_add_f64 v[12:13], v[0:1], v[16:17]
	v_mul_f64 v[0:1], v[6:7], v[8:9]
	v_lshl_add_u32 v8, v2, 1, v2
	v_cmp_eq_f64_e32 vcc, 0, v[4:5]
	v_mul_f64 v[2:3], v[6:7], v[10:11]
	v_mul_f64 v[6:7], v[6:7], v[12:13]
	v_ashrrev_i32_e32 v9, 31, v8
	s_and_saveexec_b64 s[2:3], vcc
	s_xor_b64 s[2:3], exec, s[2:3]
	s_cbranch_execz .LBB150_28
; %bb.27:
	s_waitcnt lgkmcnt(0)
	v_lshl_add_u64 v[4:5], v[8:9], 3, s[0:1]
	global_store_dwordx4 v[4:5], v[0:3], off
	global_store_dwordx2 v[4:5], v[6:7], off offset:16
                                        ; implicit-def: $vgpr8
                                        ; implicit-def: $vgpr4_vgpr5
                                        ; implicit-def: $vgpr0_vgpr1
                                        ; implicit-def: $vgpr6_vgpr7
.LBB150_28:
	s_andn2_saveexec_b64 s[2:3], s[2:3]
	s_cbranch_execz .LBB150_10
; %bb.29:
	s_waitcnt lgkmcnt(0)
	v_lshl_add_u64 v[12:13], v[8:9], 3, s[0:1]
	global_load_dwordx4 v[8:11], v[12:13], off
	global_load_dwordx2 v[14:15], v[12:13], off offset:16
	s_waitcnt vmcnt(1)
	v_fmac_f64_e32 v[0:1], v[4:5], v[8:9]
	v_fmac_f64_e32 v[2:3], v[4:5], v[10:11]
	s_waitcnt vmcnt(0)
	v_fmac_f64_e32 v[6:7], v[4:5], v[14:15]
	global_store_dwordx4 v[12:13], v[0:3], off
	global_store_dwordx2 v[12:13], v[6:7], off offset:16
	s_endpgm
	.section	.rodata,"a",@progbits
	.p2align	6, 0x0
	.amdhsa_kernel _ZN9rocsparseL18bsrxmvn_3x3_kernelILj256ELj4EdiifddEEvT3_20rocsparse_direction_NS_24const_host_device_scalarIT1_EES1_PKS1_PKT2_SA_S7_PKT4_PKT5_S5_PT6_21rocsparse_index_base_b
		.amdhsa_group_segment_fixed_size 0
		.amdhsa_private_segment_fixed_size 0
		.amdhsa_kernarg_size 96
		.amdhsa_user_sgpr_count 2
		.amdhsa_user_sgpr_dispatch_ptr 0
		.amdhsa_user_sgpr_queue_ptr 0
		.amdhsa_user_sgpr_kernarg_segment_ptr 1
		.amdhsa_user_sgpr_dispatch_id 0
		.amdhsa_user_sgpr_kernarg_preload_length 0
		.amdhsa_user_sgpr_kernarg_preload_offset 0
		.amdhsa_user_sgpr_private_segment_size 0
		.amdhsa_uses_dynamic_stack 0
		.amdhsa_enable_private_segment 0
		.amdhsa_system_sgpr_workgroup_id_x 1
		.amdhsa_system_sgpr_workgroup_id_y 0
		.amdhsa_system_sgpr_workgroup_id_z 0
		.amdhsa_system_sgpr_workgroup_info 0
		.amdhsa_system_vgpr_workitem_id 0
		.amdhsa_next_free_vgpr 46
		.amdhsa_next_free_sgpr 18
		.amdhsa_accum_offset 48
		.amdhsa_reserve_vcc 1
		.amdhsa_float_round_mode_32 0
		.amdhsa_float_round_mode_16_64 0
		.amdhsa_float_denorm_mode_32 3
		.amdhsa_float_denorm_mode_16_64 3
		.amdhsa_dx10_clamp 1
		.amdhsa_ieee_mode 1
		.amdhsa_fp16_overflow 0
		.amdhsa_tg_split 0
		.amdhsa_exception_fp_ieee_invalid_op 0
		.amdhsa_exception_fp_denorm_src 0
		.amdhsa_exception_fp_ieee_div_zero 0
		.amdhsa_exception_fp_ieee_overflow 0
		.amdhsa_exception_fp_ieee_underflow 0
		.amdhsa_exception_fp_ieee_inexact 0
		.amdhsa_exception_int_div_zero 0
	.end_amdhsa_kernel
	.section	.text._ZN9rocsparseL18bsrxmvn_3x3_kernelILj256ELj4EdiifddEEvT3_20rocsparse_direction_NS_24const_host_device_scalarIT1_EES1_PKS1_PKT2_SA_S7_PKT4_PKT5_S5_PT6_21rocsparse_index_base_b,"axG",@progbits,_ZN9rocsparseL18bsrxmvn_3x3_kernelILj256ELj4EdiifddEEvT3_20rocsparse_direction_NS_24const_host_device_scalarIT1_EES1_PKS1_PKT2_SA_S7_PKT4_PKT5_S5_PT6_21rocsparse_index_base_b,comdat
.Lfunc_end150:
	.size	_ZN9rocsparseL18bsrxmvn_3x3_kernelILj256ELj4EdiifddEEvT3_20rocsparse_direction_NS_24const_host_device_scalarIT1_EES1_PKS1_PKT2_SA_S7_PKT4_PKT5_S5_PT6_21rocsparse_index_base_b, .Lfunc_end150-_ZN9rocsparseL18bsrxmvn_3x3_kernelILj256ELj4EdiifddEEvT3_20rocsparse_direction_NS_24const_host_device_scalarIT1_EES1_PKS1_PKT2_SA_S7_PKT4_PKT5_S5_PT6_21rocsparse_index_base_b
                                        ; -- End function
	.section	.AMDGPU.csdata,"",@progbits
; Kernel info:
; codeLenInByte = 1280
; NumSgprs: 24
; NumVgprs: 46
; NumAgprs: 0
; TotalNumVgprs: 46
; ScratchSize: 0
; MemoryBound: 0
; FloatMode: 240
; IeeeMode: 1
; LDSByteSize: 0 bytes/workgroup (compile time only)
; SGPRBlocks: 2
; VGPRBlocks: 5
; NumSGPRsForWavesPerEU: 24
; NumVGPRsForWavesPerEU: 46
; AccumOffset: 48
; Occupancy: 8
; WaveLimiterHint : 1
; COMPUTE_PGM_RSRC2:SCRATCH_EN: 0
; COMPUTE_PGM_RSRC2:USER_SGPR: 2
; COMPUTE_PGM_RSRC2:TRAP_HANDLER: 0
; COMPUTE_PGM_RSRC2:TGID_X_EN: 1
; COMPUTE_PGM_RSRC2:TGID_Y_EN: 0
; COMPUTE_PGM_RSRC2:TGID_Z_EN: 0
; COMPUTE_PGM_RSRC2:TIDIG_COMP_CNT: 0
; COMPUTE_PGM_RSRC3_GFX90A:ACCUM_OFFSET: 11
; COMPUTE_PGM_RSRC3_GFX90A:TG_SPLIT: 0
	.section	.text._ZN9rocsparseL18bsrxmvn_3x3_kernelILj256ELj8EdiifddEEvT3_20rocsparse_direction_NS_24const_host_device_scalarIT1_EES1_PKS1_PKT2_SA_S7_PKT4_PKT5_S5_PT6_21rocsparse_index_base_b,"axG",@progbits,_ZN9rocsparseL18bsrxmvn_3x3_kernelILj256ELj8EdiifddEEvT3_20rocsparse_direction_NS_24const_host_device_scalarIT1_EES1_PKS1_PKT2_SA_S7_PKT4_PKT5_S5_PT6_21rocsparse_index_base_b,comdat
	.globl	_ZN9rocsparseL18bsrxmvn_3x3_kernelILj256ELj8EdiifddEEvT3_20rocsparse_direction_NS_24const_host_device_scalarIT1_EES1_PKS1_PKT2_SA_S7_PKT4_PKT5_S5_PT6_21rocsparse_index_base_b ; -- Begin function _ZN9rocsparseL18bsrxmvn_3x3_kernelILj256ELj8EdiifddEEvT3_20rocsparse_direction_NS_24const_host_device_scalarIT1_EES1_PKS1_PKT2_SA_S7_PKT4_PKT5_S5_PT6_21rocsparse_index_base_b
	.p2align	8
	.type	_ZN9rocsparseL18bsrxmvn_3x3_kernelILj256ELj8EdiifddEEvT3_20rocsparse_direction_NS_24const_host_device_scalarIT1_EES1_PKS1_PKT2_SA_S7_PKT4_PKT5_S5_PT6_21rocsparse_index_base_b,@function
_ZN9rocsparseL18bsrxmvn_3x3_kernelILj256ELj8EdiifddEEvT3_20rocsparse_direction_NS_24const_host_device_scalarIT1_EES1_PKS1_PKT2_SA_S7_PKT4_PKT5_S5_PT6_21rocsparse_index_base_b: ; @_ZN9rocsparseL18bsrxmvn_3x3_kernelILj256ELj8EdiifddEEvT3_20rocsparse_direction_NS_24const_host_device_scalarIT1_EES1_PKS1_PKT2_SA_S7_PKT4_PKT5_S5_PT6_21rocsparse_index_base_b
; %bb.0:
	s_load_dwordx2 s[12:13], s[0:1], 0x58
	s_load_dwordx2 s[8:9], s[0:1], 0x8
	;; [unrolled: 1-line block ×3, first 2 shown]
	s_waitcnt lgkmcnt(0)
	s_bitcmp1_b32 s13, 0
	s_cselect_b64 s[10:11], -1, 0
	s_xor_b64 s[6:7], s[10:11], -1
	s_and_b64 vcc, exec, s[10:11]
	v_mov_b64_e32 v[6:7], s[8:9]
	s_cbranch_vccnz .LBB151_2
; %bb.1:
	v_mov_b64_e32 v[2:3], s[8:9]
	flat_load_dwordx2 v[6:7], v[2:3]
.LBB151_2:
	s_andn2_b64 vcc, exec, s[6:7]
	v_mov_b64_e32 v[4:5], s[4:5]
	s_cbranch_vccnz .LBB151_4
; %bb.3:
	v_mov_b64_e32 v[2:3], s[4:5]
	flat_load_dwordx2 v[4:5], v[2:3]
.LBB151_4:
	s_waitcnt vmcnt(0) lgkmcnt(0)
	v_cmp_neq_f64_e32 vcc, 0, v[6:7]
	v_cmp_neq_f64_e64 s[4:5], 1.0, v[4:5]
	s_mov_b64 s[6:7], 0
	s_or_b64 s[4:5], vcc, s[4:5]
	s_and_saveexec_b64 s[8:9], s[4:5]
	s_cbranch_execz .LBB151_10
; %bb.5:
	s_load_dwordx2 s[4:5], s[0:1], 0x18
	s_load_dwordx2 s[14:15], s[0:1], 0x0
	v_lshrrev_b32_e32 v1, 3, v0
	v_lshl_or_b32 v2, s2, 5, v1
	s_mov_b64 s[2:3], 0
	s_waitcnt lgkmcnt(0)
	s_cmp_lg_u64 s[4:5], 0
	s_cbranch_scc0 .LBB151_11
; %bb.6:
	s_load_dword s6, s[0:1], 0x10
                                        ; implicit-def: $vgpr1
	s_waitcnt lgkmcnt(0)
	v_cmp_gt_i32_e32 vcc, s6, v2
	s_and_saveexec_b64 s[6:7], vcc
	s_xor_b64 s[6:7], exec, s[6:7]
	s_cbranch_execz .LBB151_8
; %bb.7:
	v_ashrrev_i32_e32 v3, 31, v2
	v_lshl_add_u64 v[8:9], v[2:3], 2, s[4:5]
	global_load_dword v1, v[8:9], off
	s_mov_b64 s[2:3], exec
	s_waitcnt vmcnt(0)
	v_subrev_u32_e32 v1, s12, v1
.LBB151_8:
	s_or_b64 exec, exec, s[6:7]
	s_mov_b64 s[6:7], s[2:3]
	s_branch .LBB151_12
.LBB151_9:
	v_cmp_gt_i32_e32 vcc, s14, v2
	s_andn2_b64 s[2:3], s[6:7], exec
	s_and_b64 s[4:5], vcc, exec
	s_or_b64 s[6:7], s[2:3], s[4:5]
	s_and_b64 exec, exec, s[6:7]
	s_cbranch_execnz .LBB151_13
.LBB151_10:
	s_endpgm
.LBB151_11:
                                        ; implicit-def: $vgpr1
	s_cbranch_execnz .LBB151_9
.LBB151_12:
	v_mov_b32_e32 v2, v1
	s_and_b64 exec, exec, s[6:7]
	s_cbranch_execz .LBB151_10
.LBB151_13:
	s_load_dwordx8 s[4:11], s[0:1], 0x20
	v_ashrrev_i32_e32 v3, 31, v2
	v_lshlrev_b64 v[8:9], 2, v[2:3]
	v_and_b32_e32 v3, 7, v0
	s_waitcnt lgkmcnt(0)
	v_lshl_add_u64 v[10:11], s[4:5], 0, v[8:9]
	s_cmp_eq_u64 s[6:7], 0
	global_load_dword v1, v[10:11], off
	v_lshl_add_u64 v[10:11], v[10:11], 0, 4
	v_lshl_add_u64 v[8:9], s[6:7], 0, v[8:9]
	s_cselect_b64 vcc, -1, 0
	v_cndmask_b32_e32 v9, v9, v11, vcc
	v_cndmask_b32_e32 v8, v8, v10, vcc
	global_load_dword v8, v[8:9], off
	s_load_dwordx2 s[4:5], s[0:1], 0x40
	s_cmp_eq_u32 s15, 1
	s_waitcnt vmcnt(1)
	v_subrev_u32_e32 v0, s12, v1
	v_add_u32_e32 v10, v0, v3
	v_mad_i64_i32 v[12:13], s[2:3], v10, 36, s[10:11]
	s_waitcnt vmcnt(0)
	v_subrev_u32_e32 v20, s12, v8
	v_cmp_lt_i32_e64 s[2:3], v10, v20
	s_cbranch_scc1 .LBB151_19
; %bb.14:
	v_mov_b64_e32 v[0:1], 0
	s_mov_b64 s[6:7], 0
	v_mov_b64_e32 v[8:9], v[0:1]
	v_mov_b64_e32 v[14:15], v[0:1]
	s_and_saveexec_b64 s[10:11], s[2:3]
	s_cbranch_execz .LBB151_18
; %bb.15:
	v_mov_b64_e32 v[0:1], 0
	s_mov_b64 s[14:15], 0
	s_mov_b64 s[16:17], 0x120
	v_mov_b64_e32 v[16:17], v[12:13]
	v_mov_b32_e32 v18, v10
	v_mov_b64_e32 v[8:9], v[0:1]
	v_mov_b64_e32 v[14:15], v[0:1]
.LBB151_16:                             ; =>This Inner Loop Header: Depth=1
	v_ashrrev_i32_e32 v19, 31, v18
	v_lshl_add_u64 v[30:31], v[18:19], 2, s[8:9]
	global_load_dword v11, v[30:31], off
	global_load_dwordx4 v[22:25], v[16:17], off
	global_load_dwordx4 v[26:29], v[16:17], off offset:16
	v_add_u32_e32 v18, 8, v18
	v_cmp_ge_i32_e32 vcc, v18, v20
	s_or_b64 s[14:15], vcc, s[14:15]
	s_waitcnt vmcnt(2)
	v_subrev_u32_e32 v11, s12, v11
	v_lshl_add_u32 v30, v11, 1, v11
	v_ashrrev_i32_e32 v31, 31, v30
	s_waitcnt lgkmcnt(0)
	v_lshl_add_u64 v[34:35], v[30:31], 3, s[4:5]
	global_load_dwordx2 v[36:37], v[34:35], off offset:16
	global_load_dwordx4 v[30:33], v[34:35], off
	global_load_dword v11, v[16:17], off offset:32
	s_waitcnt vmcnt(4)
	v_cvt_f64_f32_e32 v[34:35], v22
	v_cvt_f64_f32_e32 v[38:39], v24
	;; [unrolled: 1-line block ×3, first 2 shown]
	s_waitcnt vmcnt(3)
	v_cvt_f64_f32_e32 v[42:43], v28
	v_cvt_f64_f32_e32 v[22:23], v23
	;; [unrolled: 1-line block ×5, first 2 shown]
	v_lshl_add_u64 v[16:17], v[16:17], 0, s[16:17]
	s_waitcnt vmcnt(1)
	v_fmac_f64_e32 v[14:15], v[34:35], v[30:31]
	v_fmac_f64_e32 v[8:9], v[24:25], v[30:31]
	;; [unrolled: 1-line block ×3, first 2 shown]
	s_waitcnt vmcnt(0)
	v_cvt_f64_f32_e32 v[44:45], v11
	v_fmac_f64_e32 v[14:15], v[22:23], v[32:33]
	v_fmac_f64_e32 v[8:9], v[40:41], v[32:33]
	;; [unrolled: 1-line block ×6, first 2 shown]
	s_andn2_b64 exec, exec, s[14:15]
	s_cbranch_execnz .LBB151_16
; %bb.17:
	s_or_b64 exec, exec, s[14:15]
.LBB151_18:
	s_or_b64 exec, exec, s[10:11]
	s_andn2_b64 vcc, exec, s[6:7]
	s_cbranch_vccz .LBB151_20
	s_branch .LBB151_25
.LBB151_19:
                                        ; implicit-def: $vgpr0_vgpr1
                                        ; implicit-def: $vgpr8_vgpr9
                                        ; implicit-def: $vgpr14_vgpr15
.LBB151_20:
	v_mov_b64_e32 v[0:1], 0
	v_mov_b64_e32 v[8:9], v[0:1]
	;; [unrolled: 1-line block ×3, first 2 shown]
	s_and_saveexec_b64 s[6:7], s[2:3]
	s_cbranch_execz .LBB151_24
; %bb.21:
	v_mov_b64_e32 v[0:1], 0
	s_mov_b64 s[2:3], 0
	s_mov_b64 s[10:11], 0x120
	v_mov_b64_e32 v[8:9], v[0:1]
	v_mov_b64_e32 v[14:15], v[0:1]
.LBB151_22:                             ; =>This Inner Loop Header: Depth=1
	v_ashrrev_i32_e32 v11, 31, v10
	v_lshl_add_u64 v[26:27], v[10:11], 2, s[8:9]
	global_load_dword v11, v[26:27], off
	global_load_dwordx4 v[16:19], v[12:13], off
	global_load_dwordx4 v[22:25], v[12:13], off offset:16
	v_add_u32_e32 v10, 8, v10
	v_cmp_ge_i32_e32 vcc, v10, v20
	s_or_b64 s[2:3], vcc, s[2:3]
	s_waitcnt vmcnt(2)
	v_subrev_u32_e32 v11, s12, v11
	v_lshl_add_u32 v26, v11, 1, v11
	v_ashrrev_i32_e32 v27, 31, v26
	s_waitcnt lgkmcnt(0)
	v_lshl_add_u64 v[30:31], v[26:27], 3, s[4:5]
	global_load_dwordx2 v[32:33], v[30:31], off offset:16
	global_load_dwordx4 v[26:29], v[30:31], off
	global_load_dword v11, v[12:13], off offset:32
	s_waitcnt vmcnt(4)
	v_cvt_f64_f32_e32 v[30:31], v16
	v_cvt_f64_f32_e32 v[16:17], v17
	;; [unrolled: 1-line block ×4, first 2 shown]
	s_waitcnt vmcnt(3)
	v_cvt_f64_f32_e32 v[36:37], v22
	v_cvt_f64_f32_e32 v[22:23], v23
	;; [unrolled: 1-line block ×4, first 2 shown]
	v_lshl_add_u64 v[12:13], v[12:13], 0, s[10:11]
	s_waitcnt vmcnt(1)
	v_fmac_f64_e32 v[14:15], v[30:31], v[26:27]
	v_fmac_f64_e32 v[8:9], v[16:17], v[26:27]
	;; [unrolled: 1-line block ×3, first 2 shown]
	s_waitcnt vmcnt(0)
	v_cvt_f64_f32_e32 v[40:41], v11
	v_fmac_f64_e32 v[14:15], v[18:19], v[28:29]
	v_fmac_f64_e32 v[8:9], v[36:37], v[28:29]
	;; [unrolled: 1-line block ×6, first 2 shown]
	s_andn2_b64 exec, exec, s[2:3]
	s_cbranch_execnz .LBB151_22
; %bb.23:
	s_or_b64 exec, exec, s[2:3]
.LBB151_24:
	s_or_b64 exec, exec, s[6:7]
.LBB151_25:
	v_mov_b32_dpp v10, v14 row_shr:1 row_mask:0xf bank_mask:0xf
	v_mov_b32_dpp v11, v15 row_shr:1 row_mask:0xf bank_mask:0xf
	v_add_f64 v[10:11], v[14:15], v[10:11]
	v_mov_b32_dpp v14, v8 row_shr:1 row_mask:0xf bank_mask:0xf
	v_mov_b32_dpp v15, v9 row_shr:1 row_mask:0xf bank_mask:0xf
	;; [unrolled: 1-line block ×4, first 2 shown]
	v_add_f64 v[8:9], v[8:9], v[14:15]
	v_add_f64 v[0:1], v[0:1], v[16:17]
	v_mov_b32_dpp v12, v10 row_shr:2 row_mask:0xf bank_mask:0xf
	v_mov_b32_dpp v13, v11 row_shr:2 row_mask:0xf bank_mask:0xf
	;; [unrolled: 1-line block ×6, first 2 shown]
	v_add_f64 v[10:11], v[10:11], v[12:13]
	v_add_f64 v[8:9], v[8:9], v[14:15]
	v_add_f64 v[0:1], v[0:1], v[16:17]
	v_mov_b32_dpp v12, v10 row_shr:4 row_mask:0xf bank_mask:0xe
	v_mov_b32_dpp v13, v11 row_shr:4 row_mask:0xf bank_mask:0xe
	;; [unrolled: 1-line block ×6, first 2 shown]
	v_cmp_eq_u32_e32 vcc, 7, v3
	s_and_b64 exec, exec, vcc
	s_cbranch_execz .LBB151_10
; %bb.26:
	s_load_dwordx2 s[0:1], s[0:1], 0x50
	v_add_f64 v[10:11], v[10:11], v[12:13]
	v_add_f64 v[12:13], v[8:9], v[14:15]
	;; [unrolled: 1-line block ×3, first 2 shown]
	v_lshl_add_u32 v8, v2, 1, v2
	v_cmp_eq_f64_e32 vcc, 0, v[4:5]
	v_mul_f64 v[0:1], v[6:7], v[10:11]
	v_mul_f64 v[2:3], v[6:7], v[12:13]
	;; [unrolled: 1-line block ×3, first 2 shown]
	v_ashrrev_i32_e32 v9, 31, v8
	s_and_saveexec_b64 s[2:3], vcc
	s_xor_b64 s[2:3], exec, s[2:3]
	s_cbranch_execz .LBB151_28
; %bb.27:
	s_waitcnt lgkmcnt(0)
	v_lshl_add_u64 v[4:5], v[8:9], 3, s[0:1]
	global_store_dwordx4 v[4:5], v[0:3], off
	global_store_dwordx2 v[4:5], v[6:7], off offset:16
                                        ; implicit-def: $vgpr8
                                        ; implicit-def: $vgpr4_vgpr5
                                        ; implicit-def: $vgpr0_vgpr1
                                        ; implicit-def: $vgpr6_vgpr7
.LBB151_28:
	s_andn2_saveexec_b64 s[2:3], s[2:3]
	s_cbranch_execz .LBB151_10
; %bb.29:
	s_waitcnt lgkmcnt(0)
	v_lshl_add_u64 v[12:13], v[8:9], 3, s[0:1]
	global_load_dwordx4 v[8:11], v[12:13], off
	global_load_dwordx2 v[14:15], v[12:13], off offset:16
	s_waitcnt vmcnt(1)
	v_fmac_f64_e32 v[0:1], v[4:5], v[8:9]
	v_fmac_f64_e32 v[2:3], v[4:5], v[10:11]
	s_waitcnt vmcnt(0)
	v_fmac_f64_e32 v[6:7], v[4:5], v[14:15]
	global_store_dwordx4 v[12:13], v[0:3], off
	global_store_dwordx2 v[12:13], v[6:7], off offset:16
	s_endpgm
	.section	.rodata,"a",@progbits
	.p2align	6, 0x0
	.amdhsa_kernel _ZN9rocsparseL18bsrxmvn_3x3_kernelILj256ELj8EdiifddEEvT3_20rocsparse_direction_NS_24const_host_device_scalarIT1_EES1_PKS1_PKT2_SA_S7_PKT4_PKT5_S5_PT6_21rocsparse_index_base_b
		.amdhsa_group_segment_fixed_size 0
		.amdhsa_private_segment_fixed_size 0
		.amdhsa_kernarg_size 96
		.amdhsa_user_sgpr_count 2
		.amdhsa_user_sgpr_dispatch_ptr 0
		.amdhsa_user_sgpr_queue_ptr 0
		.amdhsa_user_sgpr_kernarg_segment_ptr 1
		.amdhsa_user_sgpr_dispatch_id 0
		.amdhsa_user_sgpr_kernarg_preload_length 0
		.amdhsa_user_sgpr_kernarg_preload_offset 0
		.amdhsa_user_sgpr_private_segment_size 0
		.amdhsa_uses_dynamic_stack 0
		.amdhsa_enable_private_segment 0
		.amdhsa_system_sgpr_workgroup_id_x 1
		.amdhsa_system_sgpr_workgroup_id_y 0
		.amdhsa_system_sgpr_workgroup_id_z 0
		.amdhsa_system_sgpr_workgroup_info 0
		.amdhsa_system_vgpr_workitem_id 0
		.amdhsa_next_free_vgpr 46
		.amdhsa_next_free_sgpr 18
		.amdhsa_accum_offset 48
		.amdhsa_reserve_vcc 1
		.amdhsa_float_round_mode_32 0
		.amdhsa_float_round_mode_16_64 0
		.amdhsa_float_denorm_mode_32 3
		.amdhsa_float_denorm_mode_16_64 3
		.amdhsa_dx10_clamp 1
		.amdhsa_ieee_mode 1
		.amdhsa_fp16_overflow 0
		.amdhsa_tg_split 0
		.amdhsa_exception_fp_ieee_invalid_op 0
		.amdhsa_exception_fp_denorm_src 0
		.amdhsa_exception_fp_ieee_div_zero 0
		.amdhsa_exception_fp_ieee_overflow 0
		.amdhsa_exception_fp_ieee_underflow 0
		.amdhsa_exception_fp_ieee_inexact 0
		.amdhsa_exception_int_div_zero 0
	.end_amdhsa_kernel
	.section	.text._ZN9rocsparseL18bsrxmvn_3x3_kernelILj256ELj8EdiifddEEvT3_20rocsparse_direction_NS_24const_host_device_scalarIT1_EES1_PKS1_PKT2_SA_S7_PKT4_PKT5_S5_PT6_21rocsparse_index_base_b,"axG",@progbits,_ZN9rocsparseL18bsrxmvn_3x3_kernelILj256ELj8EdiifddEEvT3_20rocsparse_direction_NS_24const_host_device_scalarIT1_EES1_PKS1_PKT2_SA_S7_PKT4_PKT5_S5_PT6_21rocsparse_index_base_b,comdat
.Lfunc_end151:
	.size	_ZN9rocsparseL18bsrxmvn_3x3_kernelILj256ELj8EdiifddEEvT3_20rocsparse_direction_NS_24const_host_device_scalarIT1_EES1_PKS1_PKT2_SA_S7_PKT4_PKT5_S5_PT6_21rocsparse_index_base_b, .Lfunc_end151-_ZN9rocsparseL18bsrxmvn_3x3_kernelILj256ELj8EdiifddEEvT3_20rocsparse_direction_NS_24const_host_device_scalarIT1_EES1_PKS1_PKT2_SA_S7_PKT4_PKT5_S5_PT6_21rocsparse_index_base_b
                                        ; -- End function
	.section	.AMDGPU.csdata,"",@progbits
; Kernel info:
; codeLenInByte = 1352
; NumSgprs: 24
; NumVgprs: 46
; NumAgprs: 0
; TotalNumVgprs: 46
; ScratchSize: 0
; MemoryBound: 0
; FloatMode: 240
; IeeeMode: 1
; LDSByteSize: 0 bytes/workgroup (compile time only)
; SGPRBlocks: 2
; VGPRBlocks: 5
; NumSGPRsForWavesPerEU: 24
; NumVGPRsForWavesPerEU: 46
; AccumOffset: 48
; Occupancy: 8
; WaveLimiterHint : 1
; COMPUTE_PGM_RSRC2:SCRATCH_EN: 0
; COMPUTE_PGM_RSRC2:USER_SGPR: 2
; COMPUTE_PGM_RSRC2:TRAP_HANDLER: 0
; COMPUTE_PGM_RSRC2:TGID_X_EN: 1
; COMPUTE_PGM_RSRC2:TGID_Y_EN: 0
; COMPUTE_PGM_RSRC2:TGID_Z_EN: 0
; COMPUTE_PGM_RSRC2:TIDIG_COMP_CNT: 0
; COMPUTE_PGM_RSRC3_GFX90A:ACCUM_OFFSET: 11
; COMPUTE_PGM_RSRC3_GFX90A:TG_SPLIT: 0
	.section	.text._ZN9rocsparseL18bsrxmvn_3x3_kernelILj256ELj16EdiifddEEvT3_20rocsparse_direction_NS_24const_host_device_scalarIT1_EES1_PKS1_PKT2_SA_S7_PKT4_PKT5_S5_PT6_21rocsparse_index_base_b,"axG",@progbits,_ZN9rocsparseL18bsrxmvn_3x3_kernelILj256ELj16EdiifddEEvT3_20rocsparse_direction_NS_24const_host_device_scalarIT1_EES1_PKS1_PKT2_SA_S7_PKT4_PKT5_S5_PT6_21rocsparse_index_base_b,comdat
	.globl	_ZN9rocsparseL18bsrxmvn_3x3_kernelILj256ELj16EdiifddEEvT3_20rocsparse_direction_NS_24const_host_device_scalarIT1_EES1_PKS1_PKT2_SA_S7_PKT4_PKT5_S5_PT6_21rocsparse_index_base_b ; -- Begin function _ZN9rocsparseL18bsrxmvn_3x3_kernelILj256ELj16EdiifddEEvT3_20rocsparse_direction_NS_24const_host_device_scalarIT1_EES1_PKS1_PKT2_SA_S7_PKT4_PKT5_S5_PT6_21rocsparse_index_base_b
	.p2align	8
	.type	_ZN9rocsparseL18bsrxmvn_3x3_kernelILj256ELj16EdiifddEEvT3_20rocsparse_direction_NS_24const_host_device_scalarIT1_EES1_PKS1_PKT2_SA_S7_PKT4_PKT5_S5_PT6_21rocsparse_index_base_b,@function
_ZN9rocsparseL18bsrxmvn_3x3_kernelILj256ELj16EdiifddEEvT3_20rocsparse_direction_NS_24const_host_device_scalarIT1_EES1_PKS1_PKT2_SA_S7_PKT4_PKT5_S5_PT6_21rocsparse_index_base_b: ; @_ZN9rocsparseL18bsrxmvn_3x3_kernelILj256ELj16EdiifddEEvT3_20rocsparse_direction_NS_24const_host_device_scalarIT1_EES1_PKS1_PKT2_SA_S7_PKT4_PKT5_S5_PT6_21rocsparse_index_base_b
; %bb.0:
	s_load_dwordx2 s[12:13], s[0:1], 0x58
	s_load_dwordx2 s[8:9], s[0:1], 0x8
	;; [unrolled: 1-line block ×3, first 2 shown]
	s_waitcnt lgkmcnt(0)
	s_bitcmp1_b32 s13, 0
	s_cselect_b64 s[10:11], -1, 0
	s_xor_b64 s[6:7], s[10:11], -1
	s_and_b64 vcc, exec, s[10:11]
	v_mov_b64_e32 v[6:7], s[8:9]
	s_cbranch_vccnz .LBB152_2
; %bb.1:
	v_mov_b64_e32 v[2:3], s[8:9]
	flat_load_dwordx2 v[6:7], v[2:3]
.LBB152_2:
	s_andn2_b64 vcc, exec, s[6:7]
	v_mov_b64_e32 v[4:5], s[4:5]
	s_cbranch_vccnz .LBB152_4
; %bb.3:
	v_mov_b64_e32 v[2:3], s[4:5]
	flat_load_dwordx2 v[4:5], v[2:3]
.LBB152_4:
	s_waitcnt vmcnt(0) lgkmcnt(0)
	v_cmp_neq_f64_e32 vcc, 0, v[6:7]
	v_cmp_neq_f64_e64 s[4:5], 1.0, v[4:5]
	s_mov_b64 s[6:7], 0
	s_or_b64 s[4:5], vcc, s[4:5]
	s_and_saveexec_b64 s[8:9], s[4:5]
	s_cbranch_execz .LBB152_10
; %bb.5:
	s_load_dwordx2 s[4:5], s[0:1], 0x18
	s_load_dwordx2 s[14:15], s[0:1], 0x0
	v_lshrrev_b32_e32 v1, 4, v0
	v_lshl_or_b32 v2, s2, 4, v1
	s_mov_b64 s[2:3], 0
	s_waitcnt lgkmcnt(0)
	s_cmp_lg_u64 s[4:5], 0
	s_cbranch_scc0 .LBB152_11
; %bb.6:
	s_load_dword s6, s[0:1], 0x10
                                        ; implicit-def: $vgpr1
	s_waitcnt lgkmcnt(0)
	v_cmp_gt_i32_e32 vcc, s6, v2
	s_and_saveexec_b64 s[6:7], vcc
	s_xor_b64 s[6:7], exec, s[6:7]
	s_cbranch_execz .LBB152_8
; %bb.7:
	v_ashrrev_i32_e32 v3, 31, v2
	v_lshl_add_u64 v[8:9], v[2:3], 2, s[4:5]
	global_load_dword v1, v[8:9], off
	s_mov_b64 s[2:3], exec
	s_waitcnt vmcnt(0)
	v_subrev_u32_e32 v1, s12, v1
.LBB152_8:
	s_or_b64 exec, exec, s[6:7]
	s_mov_b64 s[6:7], s[2:3]
	s_branch .LBB152_12
.LBB152_9:
	v_cmp_gt_i32_e32 vcc, s14, v2
	s_andn2_b64 s[2:3], s[6:7], exec
	s_and_b64 s[4:5], vcc, exec
	s_or_b64 s[6:7], s[2:3], s[4:5]
	s_and_b64 exec, exec, s[6:7]
	s_cbranch_execnz .LBB152_13
.LBB152_10:
	s_endpgm
.LBB152_11:
                                        ; implicit-def: $vgpr1
	s_cbranch_execnz .LBB152_9
.LBB152_12:
	v_mov_b32_e32 v2, v1
	s_and_b64 exec, exec, s[6:7]
	s_cbranch_execz .LBB152_10
.LBB152_13:
	s_load_dwordx8 s[4:11], s[0:1], 0x20
	v_ashrrev_i32_e32 v3, 31, v2
	v_lshlrev_b64 v[8:9], 2, v[2:3]
	v_and_b32_e32 v3, 15, v0
	s_waitcnt lgkmcnt(0)
	v_lshl_add_u64 v[10:11], s[4:5], 0, v[8:9]
	s_cmp_eq_u64 s[6:7], 0
	global_load_dword v1, v[10:11], off
	v_lshl_add_u64 v[10:11], v[10:11], 0, 4
	v_lshl_add_u64 v[8:9], s[6:7], 0, v[8:9]
	s_cselect_b64 vcc, -1, 0
	v_cndmask_b32_e32 v9, v9, v11, vcc
	v_cndmask_b32_e32 v8, v8, v10, vcc
	global_load_dword v8, v[8:9], off
	s_load_dwordx2 s[4:5], s[0:1], 0x40
	s_cmp_eq_u32 s15, 1
	s_waitcnt vmcnt(1)
	v_subrev_u32_e32 v0, s12, v1
	v_add_u32_e32 v10, v0, v3
	v_mad_i64_i32 v[12:13], s[2:3], v10, 36, s[10:11]
	s_waitcnt vmcnt(0)
	v_subrev_u32_e32 v20, s12, v8
	v_cmp_lt_i32_e64 s[2:3], v10, v20
	s_cbranch_scc1 .LBB152_19
; %bb.14:
	v_mov_b64_e32 v[0:1], 0
	s_mov_b64 s[6:7], 0
	v_mov_b64_e32 v[8:9], v[0:1]
	v_mov_b64_e32 v[14:15], v[0:1]
	s_and_saveexec_b64 s[10:11], s[2:3]
	s_cbranch_execz .LBB152_18
; %bb.15:
	v_mov_b64_e32 v[0:1], 0
	s_mov_b64 s[14:15], 0
	s_mov_b64 s[16:17], 0x240
	v_mov_b64_e32 v[16:17], v[12:13]
	v_mov_b32_e32 v18, v10
	v_mov_b64_e32 v[8:9], v[0:1]
	v_mov_b64_e32 v[14:15], v[0:1]
.LBB152_16:                             ; =>This Inner Loop Header: Depth=1
	v_ashrrev_i32_e32 v19, 31, v18
	v_lshl_add_u64 v[30:31], v[18:19], 2, s[8:9]
	global_load_dword v11, v[30:31], off
	global_load_dwordx4 v[22:25], v[16:17], off
	global_load_dwordx4 v[26:29], v[16:17], off offset:16
	v_add_u32_e32 v18, 16, v18
	v_cmp_ge_i32_e32 vcc, v18, v20
	s_or_b64 s[14:15], vcc, s[14:15]
	s_waitcnt vmcnt(2)
	v_subrev_u32_e32 v11, s12, v11
	v_lshl_add_u32 v30, v11, 1, v11
	v_ashrrev_i32_e32 v31, 31, v30
	s_waitcnt lgkmcnt(0)
	v_lshl_add_u64 v[34:35], v[30:31], 3, s[4:5]
	global_load_dwordx2 v[36:37], v[34:35], off offset:16
	global_load_dwordx4 v[30:33], v[34:35], off
	global_load_dword v11, v[16:17], off offset:32
	s_waitcnt vmcnt(4)
	v_cvt_f64_f32_e32 v[34:35], v22
	v_cvt_f64_f32_e32 v[38:39], v24
	;; [unrolled: 1-line block ×3, first 2 shown]
	s_waitcnt vmcnt(3)
	v_cvt_f64_f32_e32 v[42:43], v28
	v_cvt_f64_f32_e32 v[22:23], v23
	;; [unrolled: 1-line block ×5, first 2 shown]
	v_lshl_add_u64 v[16:17], v[16:17], 0, s[16:17]
	s_waitcnt vmcnt(1)
	v_fmac_f64_e32 v[14:15], v[34:35], v[30:31]
	v_fmac_f64_e32 v[8:9], v[24:25], v[30:31]
	;; [unrolled: 1-line block ×3, first 2 shown]
	s_waitcnt vmcnt(0)
	v_cvt_f64_f32_e32 v[44:45], v11
	v_fmac_f64_e32 v[14:15], v[22:23], v[32:33]
	v_fmac_f64_e32 v[8:9], v[40:41], v[32:33]
	;; [unrolled: 1-line block ×6, first 2 shown]
	s_andn2_b64 exec, exec, s[14:15]
	s_cbranch_execnz .LBB152_16
; %bb.17:
	s_or_b64 exec, exec, s[14:15]
.LBB152_18:
	s_or_b64 exec, exec, s[10:11]
	s_andn2_b64 vcc, exec, s[6:7]
	s_cbranch_vccz .LBB152_20
	s_branch .LBB152_25
.LBB152_19:
                                        ; implicit-def: $vgpr0_vgpr1
                                        ; implicit-def: $vgpr8_vgpr9
                                        ; implicit-def: $vgpr14_vgpr15
.LBB152_20:
	v_mov_b64_e32 v[0:1], 0
	v_mov_b64_e32 v[8:9], v[0:1]
	;; [unrolled: 1-line block ×3, first 2 shown]
	s_and_saveexec_b64 s[6:7], s[2:3]
	s_cbranch_execz .LBB152_24
; %bb.21:
	v_mov_b64_e32 v[0:1], 0
	s_mov_b64 s[2:3], 0
	s_mov_b64 s[10:11], 0x240
	v_mov_b64_e32 v[8:9], v[0:1]
	v_mov_b64_e32 v[14:15], v[0:1]
.LBB152_22:                             ; =>This Inner Loop Header: Depth=1
	v_ashrrev_i32_e32 v11, 31, v10
	v_lshl_add_u64 v[26:27], v[10:11], 2, s[8:9]
	global_load_dword v11, v[26:27], off
	global_load_dwordx4 v[16:19], v[12:13], off
	global_load_dwordx4 v[22:25], v[12:13], off offset:16
	v_add_u32_e32 v10, 16, v10
	v_cmp_ge_i32_e32 vcc, v10, v20
	s_or_b64 s[2:3], vcc, s[2:3]
	s_waitcnt vmcnt(2)
	v_subrev_u32_e32 v11, s12, v11
	v_lshl_add_u32 v26, v11, 1, v11
	v_ashrrev_i32_e32 v27, 31, v26
	s_waitcnt lgkmcnt(0)
	v_lshl_add_u64 v[30:31], v[26:27], 3, s[4:5]
	global_load_dwordx2 v[32:33], v[30:31], off offset:16
	global_load_dwordx4 v[26:29], v[30:31], off
	global_load_dword v11, v[12:13], off offset:32
	s_waitcnt vmcnt(4)
	v_cvt_f64_f32_e32 v[30:31], v16
	v_cvt_f64_f32_e32 v[16:17], v17
	;; [unrolled: 1-line block ×4, first 2 shown]
	s_waitcnt vmcnt(3)
	v_cvt_f64_f32_e32 v[36:37], v22
	v_cvt_f64_f32_e32 v[22:23], v23
	;; [unrolled: 1-line block ×4, first 2 shown]
	v_lshl_add_u64 v[12:13], v[12:13], 0, s[10:11]
	s_waitcnt vmcnt(1)
	v_fmac_f64_e32 v[14:15], v[30:31], v[26:27]
	v_fmac_f64_e32 v[8:9], v[16:17], v[26:27]
	;; [unrolled: 1-line block ×3, first 2 shown]
	s_waitcnt vmcnt(0)
	v_cvt_f64_f32_e32 v[40:41], v11
	v_fmac_f64_e32 v[14:15], v[18:19], v[28:29]
	v_fmac_f64_e32 v[8:9], v[36:37], v[28:29]
	;; [unrolled: 1-line block ×6, first 2 shown]
	s_andn2_b64 exec, exec, s[2:3]
	s_cbranch_execnz .LBB152_22
; %bb.23:
	s_or_b64 exec, exec, s[2:3]
.LBB152_24:
	s_or_b64 exec, exec, s[6:7]
.LBB152_25:
	v_mov_b32_dpp v10, v14 row_shr:1 row_mask:0xf bank_mask:0xf
	v_mov_b32_dpp v11, v15 row_shr:1 row_mask:0xf bank_mask:0xf
	v_add_f64 v[10:11], v[14:15], v[10:11]
	v_mov_b32_dpp v14, v8 row_shr:1 row_mask:0xf bank_mask:0xf
	v_mov_b32_dpp v15, v9 row_shr:1 row_mask:0xf bank_mask:0xf
	;; [unrolled: 1-line block ×4, first 2 shown]
	v_add_f64 v[8:9], v[8:9], v[14:15]
	v_add_f64 v[0:1], v[0:1], v[16:17]
	v_mov_b32_dpp v12, v10 row_shr:2 row_mask:0xf bank_mask:0xf
	v_mov_b32_dpp v13, v11 row_shr:2 row_mask:0xf bank_mask:0xf
	;; [unrolled: 1-line block ×6, first 2 shown]
	v_add_f64 v[10:11], v[10:11], v[12:13]
	v_add_f64 v[8:9], v[8:9], v[14:15]
	;; [unrolled: 1-line block ×3, first 2 shown]
	v_mov_b32_dpp v12, v10 row_shr:4 row_mask:0xf bank_mask:0xe
	v_mov_b32_dpp v13, v11 row_shr:4 row_mask:0xf bank_mask:0xe
	;; [unrolled: 1-line block ×6, first 2 shown]
	v_add_f64 v[10:11], v[10:11], v[12:13]
	v_add_f64 v[8:9], v[8:9], v[14:15]
	;; [unrolled: 1-line block ×3, first 2 shown]
	v_mov_b32_dpp v12, v10 row_shr:8 row_mask:0xf bank_mask:0xc
	v_mov_b32_dpp v13, v11 row_shr:8 row_mask:0xf bank_mask:0xc
	;; [unrolled: 1-line block ×6, first 2 shown]
	v_cmp_eq_u32_e32 vcc, 15, v3
	s_and_b64 exec, exec, vcc
	s_cbranch_execz .LBB152_10
; %bb.26:
	s_load_dwordx2 s[0:1], s[0:1], 0x50
	v_add_f64 v[10:11], v[10:11], v[12:13]
	v_add_f64 v[12:13], v[8:9], v[14:15]
	;; [unrolled: 1-line block ×3, first 2 shown]
	v_lshl_add_u32 v8, v2, 1, v2
	v_cmp_eq_f64_e32 vcc, 0, v[4:5]
	v_mul_f64 v[0:1], v[6:7], v[10:11]
	v_mul_f64 v[2:3], v[6:7], v[12:13]
	;; [unrolled: 1-line block ×3, first 2 shown]
	v_ashrrev_i32_e32 v9, 31, v8
	s_and_saveexec_b64 s[2:3], vcc
	s_xor_b64 s[2:3], exec, s[2:3]
	s_cbranch_execz .LBB152_28
; %bb.27:
	s_waitcnt lgkmcnt(0)
	v_lshl_add_u64 v[4:5], v[8:9], 3, s[0:1]
	global_store_dwordx4 v[4:5], v[0:3], off
	global_store_dwordx2 v[4:5], v[6:7], off offset:16
                                        ; implicit-def: $vgpr8
                                        ; implicit-def: $vgpr4_vgpr5
                                        ; implicit-def: $vgpr0_vgpr1
                                        ; implicit-def: $vgpr6_vgpr7
.LBB152_28:
	s_andn2_saveexec_b64 s[2:3], s[2:3]
	s_cbranch_execz .LBB152_10
; %bb.29:
	s_waitcnt lgkmcnt(0)
	v_lshl_add_u64 v[12:13], v[8:9], 3, s[0:1]
	global_load_dwordx4 v[8:11], v[12:13], off
	global_load_dwordx2 v[14:15], v[12:13], off offset:16
	s_waitcnt vmcnt(1)
	v_fmac_f64_e32 v[0:1], v[4:5], v[8:9]
	v_fmac_f64_e32 v[2:3], v[4:5], v[10:11]
	s_waitcnt vmcnt(0)
	v_fmac_f64_e32 v[6:7], v[4:5], v[14:15]
	global_store_dwordx4 v[12:13], v[0:3], off
	global_store_dwordx2 v[12:13], v[6:7], off offset:16
	s_endpgm
	.section	.rodata,"a",@progbits
	.p2align	6, 0x0
	.amdhsa_kernel _ZN9rocsparseL18bsrxmvn_3x3_kernelILj256ELj16EdiifddEEvT3_20rocsparse_direction_NS_24const_host_device_scalarIT1_EES1_PKS1_PKT2_SA_S7_PKT4_PKT5_S5_PT6_21rocsparse_index_base_b
		.amdhsa_group_segment_fixed_size 0
		.amdhsa_private_segment_fixed_size 0
		.amdhsa_kernarg_size 96
		.amdhsa_user_sgpr_count 2
		.amdhsa_user_sgpr_dispatch_ptr 0
		.amdhsa_user_sgpr_queue_ptr 0
		.amdhsa_user_sgpr_kernarg_segment_ptr 1
		.amdhsa_user_sgpr_dispatch_id 0
		.amdhsa_user_sgpr_kernarg_preload_length 0
		.amdhsa_user_sgpr_kernarg_preload_offset 0
		.amdhsa_user_sgpr_private_segment_size 0
		.amdhsa_uses_dynamic_stack 0
		.amdhsa_enable_private_segment 0
		.amdhsa_system_sgpr_workgroup_id_x 1
		.amdhsa_system_sgpr_workgroup_id_y 0
		.amdhsa_system_sgpr_workgroup_id_z 0
		.amdhsa_system_sgpr_workgroup_info 0
		.amdhsa_system_vgpr_workitem_id 0
		.amdhsa_next_free_vgpr 46
		.amdhsa_next_free_sgpr 18
		.amdhsa_accum_offset 48
		.amdhsa_reserve_vcc 1
		.amdhsa_float_round_mode_32 0
		.amdhsa_float_round_mode_16_64 0
		.amdhsa_float_denorm_mode_32 3
		.amdhsa_float_denorm_mode_16_64 3
		.amdhsa_dx10_clamp 1
		.amdhsa_ieee_mode 1
		.amdhsa_fp16_overflow 0
		.amdhsa_tg_split 0
		.amdhsa_exception_fp_ieee_invalid_op 0
		.amdhsa_exception_fp_denorm_src 0
		.amdhsa_exception_fp_ieee_div_zero 0
		.amdhsa_exception_fp_ieee_overflow 0
		.amdhsa_exception_fp_ieee_underflow 0
		.amdhsa_exception_fp_ieee_inexact 0
		.amdhsa_exception_int_div_zero 0
	.end_amdhsa_kernel
	.section	.text._ZN9rocsparseL18bsrxmvn_3x3_kernelILj256ELj16EdiifddEEvT3_20rocsparse_direction_NS_24const_host_device_scalarIT1_EES1_PKS1_PKT2_SA_S7_PKT4_PKT5_S5_PT6_21rocsparse_index_base_b,"axG",@progbits,_ZN9rocsparseL18bsrxmvn_3x3_kernelILj256ELj16EdiifddEEvT3_20rocsparse_direction_NS_24const_host_device_scalarIT1_EES1_PKS1_PKT2_SA_S7_PKT4_PKT5_S5_PT6_21rocsparse_index_base_b,comdat
.Lfunc_end152:
	.size	_ZN9rocsparseL18bsrxmvn_3x3_kernelILj256ELj16EdiifddEEvT3_20rocsparse_direction_NS_24const_host_device_scalarIT1_EES1_PKS1_PKT2_SA_S7_PKT4_PKT5_S5_PT6_21rocsparse_index_base_b, .Lfunc_end152-_ZN9rocsparseL18bsrxmvn_3x3_kernelILj256ELj16EdiifddEEvT3_20rocsparse_direction_NS_24const_host_device_scalarIT1_EES1_PKS1_PKT2_SA_S7_PKT4_PKT5_S5_PT6_21rocsparse_index_base_b
                                        ; -- End function
	.section	.AMDGPU.csdata,"",@progbits
; Kernel info:
; codeLenInByte = 1424
; NumSgprs: 24
; NumVgprs: 46
; NumAgprs: 0
; TotalNumVgprs: 46
; ScratchSize: 0
; MemoryBound: 0
; FloatMode: 240
; IeeeMode: 1
; LDSByteSize: 0 bytes/workgroup (compile time only)
; SGPRBlocks: 2
; VGPRBlocks: 5
; NumSGPRsForWavesPerEU: 24
; NumVGPRsForWavesPerEU: 46
; AccumOffset: 48
; Occupancy: 8
; WaveLimiterHint : 1
; COMPUTE_PGM_RSRC2:SCRATCH_EN: 0
; COMPUTE_PGM_RSRC2:USER_SGPR: 2
; COMPUTE_PGM_RSRC2:TRAP_HANDLER: 0
; COMPUTE_PGM_RSRC2:TGID_X_EN: 1
; COMPUTE_PGM_RSRC2:TGID_Y_EN: 0
; COMPUTE_PGM_RSRC2:TGID_Z_EN: 0
; COMPUTE_PGM_RSRC2:TIDIG_COMP_CNT: 0
; COMPUTE_PGM_RSRC3_GFX90A:ACCUM_OFFSET: 11
; COMPUTE_PGM_RSRC3_GFX90A:TG_SPLIT: 0
	.section	.text._ZN9rocsparseL18bsrxmvn_3x3_kernelILj256ELj32EdiifddEEvT3_20rocsparse_direction_NS_24const_host_device_scalarIT1_EES1_PKS1_PKT2_SA_S7_PKT4_PKT5_S5_PT6_21rocsparse_index_base_b,"axG",@progbits,_ZN9rocsparseL18bsrxmvn_3x3_kernelILj256ELj32EdiifddEEvT3_20rocsparse_direction_NS_24const_host_device_scalarIT1_EES1_PKS1_PKT2_SA_S7_PKT4_PKT5_S5_PT6_21rocsparse_index_base_b,comdat
	.globl	_ZN9rocsparseL18bsrxmvn_3x3_kernelILj256ELj32EdiifddEEvT3_20rocsparse_direction_NS_24const_host_device_scalarIT1_EES1_PKS1_PKT2_SA_S7_PKT4_PKT5_S5_PT6_21rocsparse_index_base_b ; -- Begin function _ZN9rocsparseL18bsrxmvn_3x3_kernelILj256ELj32EdiifddEEvT3_20rocsparse_direction_NS_24const_host_device_scalarIT1_EES1_PKS1_PKT2_SA_S7_PKT4_PKT5_S5_PT6_21rocsparse_index_base_b
	.p2align	8
	.type	_ZN9rocsparseL18bsrxmvn_3x3_kernelILj256ELj32EdiifddEEvT3_20rocsparse_direction_NS_24const_host_device_scalarIT1_EES1_PKS1_PKT2_SA_S7_PKT4_PKT5_S5_PT6_21rocsparse_index_base_b,@function
_ZN9rocsparseL18bsrxmvn_3x3_kernelILj256ELj32EdiifddEEvT3_20rocsparse_direction_NS_24const_host_device_scalarIT1_EES1_PKS1_PKT2_SA_S7_PKT4_PKT5_S5_PT6_21rocsparse_index_base_b: ; @_ZN9rocsparseL18bsrxmvn_3x3_kernelILj256ELj32EdiifddEEvT3_20rocsparse_direction_NS_24const_host_device_scalarIT1_EES1_PKS1_PKT2_SA_S7_PKT4_PKT5_S5_PT6_21rocsparse_index_base_b
; %bb.0:
	s_load_dwordx2 s[12:13], s[0:1], 0x58
	s_load_dwordx2 s[8:9], s[0:1], 0x8
	;; [unrolled: 1-line block ×3, first 2 shown]
	s_waitcnt lgkmcnt(0)
	s_bitcmp1_b32 s13, 0
	s_cselect_b64 s[10:11], -1, 0
	s_xor_b64 s[6:7], s[10:11], -1
	s_and_b64 vcc, exec, s[10:11]
	v_mov_b64_e32 v[6:7], s[8:9]
	s_cbranch_vccnz .LBB153_2
; %bb.1:
	v_mov_b64_e32 v[2:3], s[8:9]
	flat_load_dwordx2 v[6:7], v[2:3]
.LBB153_2:
	s_andn2_b64 vcc, exec, s[6:7]
	v_mov_b64_e32 v[4:5], s[4:5]
	s_cbranch_vccnz .LBB153_4
; %bb.3:
	v_mov_b64_e32 v[2:3], s[4:5]
	flat_load_dwordx2 v[4:5], v[2:3]
.LBB153_4:
	s_waitcnt vmcnt(0) lgkmcnt(0)
	v_cmp_neq_f64_e32 vcc, 0, v[6:7]
	v_cmp_neq_f64_e64 s[4:5], 1.0, v[4:5]
	s_mov_b64 s[6:7], 0
	s_or_b64 s[4:5], vcc, s[4:5]
	s_and_saveexec_b64 s[8:9], s[4:5]
	s_cbranch_execz .LBB153_10
; %bb.5:
	s_load_dwordx2 s[4:5], s[0:1], 0x18
	s_load_dwordx2 s[14:15], s[0:1], 0x0
	v_lshrrev_b32_e32 v1, 5, v0
	v_lshl_or_b32 v2, s2, 3, v1
	s_mov_b64 s[2:3], 0
	s_waitcnt lgkmcnt(0)
	s_cmp_lg_u64 s[4:5], 0
	s_cbranch_scc0 .LBB153_11
; %bb.6:
	s_load_dword s6, s[0:1], 0x10
                                        ; implicit-def: $vgpr1
	s_waitcnt lgkmcnt(0)
	v_cmp_gt_i32_e32 vcc, s6, v2
	s_and_saveexec_b64 s[6:7], vcc
	s_xor_b64 s[6:7], exec, s[6:7]
	s_cbranch_execz .LBB153_8
; %bb.7:
	v_ashrrev_i32_e32 v3, 31, v2
	v_lshl_add_u64 v[8:9], v[2:3], 2, s[4:5]
	global_load_dword v1, v[8:9], off
	s_mov_b64 s[2:3], exec
	s_waitcnt vmcnt(0)
	v_subrev_u32_e32 v1, s12, v1
.LBB153_8:
	s_or_b64 exec, exec, s[6:7]
	s_mov_b64 s[6:7], s[2:3]
	s_branch .LBB153_12
.LBB153_9:
	v_cmp_gt_i32_e32 vcc, s14, v2
	s_andn2_b64 s[2:3], s[6:7], exec
	s_and_b64 s[4:5], vcc, exec
	s_or_b64 s[6:7], s[2:3], s[4:5]
	s_and_b64 exec, exec, s[6:7]
	s_cbranch_execnz .LBB153_13
.LBB153_10:
	s_endpgm
.LBB153_11:
                                        ; implicit-def: $vgpr1
	s_cbranch_execnz .LBB153_9
.LBB153_12:
	v_mov_b32_e32 v2, v1
	s_and_b64 exec, exec, s[6:7]
	s_cbranch_execz .LBB153_10
.LBB153_13:
	s_load_dwordx8 s[4:11], s[0:1], 0x20
	v_ashrrev_i32_e32 v3, 31, v2
	v_lshlrev_b64 v[8:9], 2, v[2:3]
	v_and_b32_e32 v3, 31, v0
	s_waitcnt lgkmcnt(0)
	v_lshl_add_u64 v[10:11], s[4:5], 0, v[8:9]
	s_cmp_eq_u64 s[6:7], 0
	global_load_dword v1, v[10:11], off
	v_lshl_add_u64 v[10:11], v[10:11], 0, 4
	v_lshl_add_u64 v[8:9], s[6:7], 0, v[8:9]
	s_cselect_b64 vcc, -1, 0
	v_cndmask_b32_e32 v9, v9, v11, vcc
	v_cndmask_b32_e32 v8, v8, v10, vcc
	global_load_dword v8, v[8:9], off
	s_load_dwordx2 s[4:5], s[0:1], 0x40
	s_cmp_eq_u32 s15, 1
	s_waitcnt vmcnt(1)
	v_subrev_u32_e32 v0, s12, v1
	v_add_u32_e32 v10, v0, v3
	v_mad_i64_i32 v[12:13], s[2:3], v10, 36, s[10:11]
	s_waitcnt vmcnt(0)
	v_subrev_u32_e32 v20, s12, v8
	v_cmp_lt_i32_e64 s[2:3], v10, v20
	s_cbranch_scc1 .LBB153_19
; %bb.14:
	v_mov_b64_e32 v[0:1], 0
	s_mov_b64 s[6:7], 0
	v_mov_b64_e32 v[8:9], v[0:1]
	v_mov_b64_e32 v[14:15], v[0:1]
	s_and_saveexec_b64 s[10:11], s[2:3]
	s_cbranch_execz .LBB153_18
; %bb.15:
	v_mov_b64_e32 v[0:1], 0
	s_mov_b64 s[14:15], 0
	s_mov_b64 s[16:17], 0x480
	v_mov_b64_e32 v[16:17], v[12:13]
	v_mov_b32_e32 v18, v10
	v_mov_b64_e32 v[8:9], v[0:1]
	v_mov_b64_e32 v[14:15], v[0:1]
.LBB153_16:                             ; =>This Inner Loop Header: Depth=1
	v_ashrrev_i32_e32 v19, 31, v18
	v_lshl_add_u64 v[30:31], v[18:19], 2, s[8:9]
	global_load_dword v11, v[30:31], off
	global_load_dwordx4 v[22:25], v[16:17], off
	global_load_dwordx4 v[26:29], v[16:17], off offset:16
	v_add_u32_e32 v18, 32, v18
	v_cmp_ge_i32_e32 vcc, v18, v20
	s_or_b64 s[14:15], vcc, s[14:15]
	s_waitcnt vmcnt(2)
	v_subrev_u32_e32 v11, s12, v11
	v_lshl_add_u32 v30, v11, 1, v11
	v_ashrrev_i32_e32 v31, 31, v30
	s_waitcnt lgkmcnt(0)
	v_lshl_add_u64 v[34:35], v[30:31], 3, s[4:5]
	global_load_dwordx2 v[36:37], v[34:35], off offset:16
	global_load_dwordx4 v[30:33], v[34:35], off
	global_load_dword v11, v[16:17], off offset:32
	s_waitcnt vmcnt(4)
	v_cvt_f64_f32_e32 v[34:35], v22
	v_cvt_f64_f32_e32 v[38:39], v24
	;; [unrolled: 1-line block ×3, first 2 shown]
	s_waitcnt vmcnt(3)
	v_cvt_f64_f32_e32 v[42:43], v28
	v_cvt_f64_f32_e32 v[22:23], v23
	;; [unrolled: 1-line block ×5, first 2 shown]
	v_lshl_add_u64 v[16:17], v[16:17], 0, s[16:17]
	s_waitcnt vmcnt(1)
	v_fmac_f64_e32 v[14:15], v[34:35], v[30:31]
	v_fmac_f64_e32 v[8:9], v[24:25], v[30:31]
	;; [unrolled: 1-line block ×3, first 2 shown]
	s_waitcnt vmcnt(0)
	v_cvt_f64_f32_e32 v[44:45], v11
	v_fmac_f64_e32 v[14:15], v[22:23], v[32:33]
	v_fmac_f64_e32 v[8:9], v[40:41], v[32:33]
	;; [unrolled: 1-line block ×6, first 2 shown]
	s_andn2_b64 exec, exec, s[14:15]
	s_cbranch_execnz .LBB153_16
; %bb.17:
	s_or_b64 exec, exec, s[14:15]
.LBB153_18:
	s_or_b64 exec, exec, s[10:11]
	s_andn2_b64 vcc, exec, s[6:7]
	s_cbranch_vccz .LBB153_20
	s_branch .LBB153_25
.LBB153_19:
                                        ; implicit-def: $vgpr0_vgpr1
                                        ; implicit-def: $vgpr8_vgpr9
                                        ; implicit-def: $vgpr14_vgpr15
.LBB153_20:
	v_mov_b64_e32 v[0:1], 0
	v_mov_b64_e32 v[8:9], v[0:1]
	v_mov_b64_e32 v[14:15], v[0:1]
	s_and_saveexec_b64 s[6:7], s[2:3]
	s_cbranch_execz .LBB153_24
; %bb.21:
	v_mov_b64_e32 v[0:1], 0
	s_mov_b64 s[2:3], 0
	s_mov_b64 s[10:11], 0x480
	v_mov_b64_e32 v[8:9], v[0:1]
	v_mov_b64_e32 v[14:15], v[0:1]
.LBB153_22:                             ; =>This Inner Loop Header: Depth=1
	v_ashrrev_i32_e32 v11, 31, v10
	v_lshl_add_u64 v[26:27], v[10:11], 2, s[8:9]
	global_load_dword v11, v[26:27], off
	global_load_dwordx4 v[16:19], v[12:13], off
	global_load_dwordx4 v[22:25], v[12:13], off offset:16
	v_add_u32_e32 v10, 32, v10
	v_cmp_ge_i32_e32 vcc, v10, v20
	s_or_b64 s[2:3], vcc, s[2:3]
	s_waitcnt vmcnt(2)
	v_subrev_u32_e32 v11, s12, v11
	v_lshl_add_u32 v26, v11, 1, v11
	v_ashrrev_i32_e32 v27, 31, v26
	s_waitcnt lgkmcnt(0)
	v_lshl_add_u64 v[30:31], v[26:27], 3, s[4:5]
	global_load_dwordx2 v[32:33], v[30:31], off offset:16
	global_load_dwordx4 v[26:29], v[30:31], off
	global_load_dword v11, v[12:13], off offset:32
	s_waitcnt vmcnt(4)
	v_cvt_f64_f32_e32 v[30:31], v16
	v_cvt_f64_f32_e32 v[16:17], v17
	;; [unrolled: 1-line block ×4, first 2 shown]
	s_waitcnt vmcnt(3)
	v_cvt_f64_f32_e32 v[36:37], v22
	v_cvt_f64_f32_e32 v[22:23], v23
	v_cvt_f64_f32_e32 v[38:39], v24
	v_cvt_f64_f32_e32 v[24:25], v25
	v_lshl_add_u64 v[12:13], v[12:13], 0, s[10:11]
	s_waitcnt vmcnt(1)
	v_fmac_f64_e32 v[14:15], v[30:31], v[26:27]
	v_fmac_f64_e32 v[8:9], v[16:17], v[26:27]
	;; [unrolled: 1-line block ×3, first 2 shown]
	s_waitcnt vmcnt(0)
	v_cvt_f64_f32_e32 v[40:41], v11
	v_fmac_f64_e32 v[14:15], v[18:19], v[28:29]
	v_fmac_f64_e32 v[8:9], v[36:37], v[28:29]
	;; [unrolled: 1-line block ×6, first 2 shown]
	s_andn2_b64 exec, exec, s[2:3]
	s_cbranch_execnz .LBB153_22
; %bb.23:
	s_or_b64 exec, exec, s[2:3]
.LBB153_24:
	s_or_b64 exec, exec, s[6:7]
.LBB153_25:
	v_mov_b32_dpp v10, v14 row_shr:1 row_mask:0xf bank_mask:0xf
	v_mov_b32_dpp v11, v15 row_shr:1 row_mask:0xf bank_mask:0xf
	v_add_f64 v[10:11], v[14:15], v[10:11]
	v_mov_b32_dpp v14, v8 row_shr:1 row_mask:0xf bank_mask:0xf
	v_mov_b32_dpp v15, v9 row_shr:1 row_mask:0xf bank_mask:0xf
	v_mov_b32_dpp v16, v0 row_shr:1 row_mask:0xf bank_mask:0xf
	v_mov_b32_dpp v17, v1 row_shr:1 row_mask:0xf bank_mask:0xf
	v_add_f64 v[8:9], v[8:9], v[14:15]
	v_add_f64 v[0:1], v[0:1], v[16:17]
	v_mov_b32_dpp v12, v10 row_shr:2 row_mask:0xf bank_mask:0xf
	v_mov_b32_dpp v13, v11 row_shr:2 row_mask:0xf bank_mask:0xf
	v_mov_b32_dpp v14, v8 row_shr:2 row_mask:0xf bank_mask:0xf
	v_mov_b32_dpp v15, v9 row_shr:2 row_mask:0xf bank_mask:0xf
	v_mov_b32_dpp v16, v0 row_shr:2 row_mask:0xf bank_mask:0xf
	v_mov_b32_dpp v17, v1 row_shr:2 row_mask:0xf bank_mask:0xf
	v_add_f64 v[10:11], v[10:11], v[12:13]
	v_add_f64 v[8:9], v[8:9], v[14:15]
	v_add_f64 v[0:1], v[0:1], v[16:17]
	v_mov_b32_dpp v12, v10 row_shr:4 row_mask:0xf bank_mask:0xe
	v_mov_b32_dpp v13, v11 row_shr:4 row_mask:0xf bank_mask:0xe
	v_mov_b32_dpp v14, v8 row_shr:4 row_mask:0xf bank_mask:0xe
	v_mov_b32_dpp v15, v9 row_shr:4 row_mask:0xf bank_mask:0xe
	v_mov_b32_dpp v16, v0 row_shr:4 row_mask:0xf bank_mask:0xe
	v_mov_b32_dpp v17, v1 row_shr:4 row_mask:0xf bank_mask:0xe
	v_add_f64 v[10:11], v[10:11], v[12:13]
	;; [unrolled: 9-line block ×3, first 2 shown]
	v_add_f64 v[8:9], v[8:9], v[14:15]
	v_add_f64 v[0:1], v[0:1], v[16:17]
	v_mov_b32_dpp v12, v10 row_bcast:15 row_mask:0xa bank_mask:0xf
	v_mov_b32_dpp v13, v11 row_bcast:15 row_mask:0xa bank_mask:0xf
	;; [unrolled: 1-line block ×6, first 2 shown]
	v_cmp_eq_u32_e32 vcc, 31, v3
	s_and_b64 exec, exec, vcc
	s_cbranch_execz .LBB153_10
; %bb.26:
	s_load_dwordx2 s[0:1], s[0:1], 0x50
	v_add_f64 v[10:11], v[10:11], v[12:13]
	v_add_f64 v[12:13], v[8:9], v[14:15]
	;; [unrolled: 1-line block ×3, first 2 shown]
	v_lshl_add_u32 v8, v2, 1, v2
	v_cmp_eq_f64_e32 vcc, 0, v[4:5]
	v_mul_f64 v[0:1], v[6:7], v[10:11]
	v_mul_f64 v[2:3], v[6:7], v[12:13]
	;; [unrolled: 1-line block ×3, first 2 shown]
	v_ashrrev_i32_e32 v9, 31, v8
	s_and_saveexec_b64 s[2:3], vcc
	s_xor_b64 s[2:3], exec, s[2:3]
	s_cbranch_execz .LBB153_28
; %bb.27:
	s_waitcnt lgkmcnt(0)
	v_lshl_add_u64 v[4:5], v[8:9], 3, s[0:1]
	global_store_dwordx4 v[4:5], v[0:3], off
	global_store_dwordx2 v[4:5], v[6:7], off offset:16
                                        ; implicit-def: $vgpr8
                                        ; implicit-def: $vgpr4_vgpr5
                                        ; implicit-def: $vgpr0_vgpr1
                                        ; implicit-def: $vgpr6_vgpr7
.LBB153_28:
	s_andn2_saveexec_b64 s[2:3], s[2:3]
	s_cbranch_execz .LBB153_10
; %bb.29:
	s_waitcnt lgkmcnt(0)
	v_lshl_add_u64 v[12:13], v[8:9], 3, s[0:1]
	global_load_dwordx4 v[8:11], v[12:13], off
	global_load_dwordx2 v[14:15], v[12:13], off offset:16
	s_waitcnt vmcnt(1)
	v_fmac_f64_e32 v[0:1], v[4:5], v[8:9]
	v_fmac_f64_e32 v[2:3], v[4:5], v[10:11]
	s_waitcnt vmcnt(0)
	v_fmac_f64_e32 v[6:7], v[4:5], v[14:15]
	global_store_dwordx4 v[12:13], v[0:3], off
	global_store_dwordx2 v[12:13], v[6:7], off offset:16
	s_endpgm
	.section	.rodata,"a",@progbits
	.p2align	6, 0x0
	.amdhsa_kernel _ZN9rocsparseL18bsrxmvn_3x3_kernelILj256ELj32EdiifddEEvT3_20rocsparse_direction_NS_24const_host_device_scalarIT1_EES1_PKS1_PKT2_SA_S7_PKT4_PKT5_S5_PT6_21rocsparse_index_base_b
		.amdhsa_group_segment_fixed_size 0
		.amdhsa_private_segment_fixed_size 0
		.amdhsa_kernarg_size 96
		.amdhsa_user_sgpr_count 2
		.amdhsa_user_sgpr_dispatch_ptr 0
		.amdhsa_user_sgpr_queue_ptr 0
		.amdhsa_user_sgpr_kernarg_segment_ptr 1
		.amdhsa_user_sgpr_dispatch_id 0
		.amdhsa_user_sgpr_kernarg_preload_length 0
		.amdhsa_user_sgpr_kernarg_preload_offset 0
		.amdhsa_user_sgpr_private_segment_size 0
		.amdhsa_uses_dynamic_stack 0
		.amdhsa_enable_private_segment 0
		.amdhsa_system_sgpr_workgroup_id_x 1
		.amdhsa_system_sgpr_workgroup_id_y 0
		.amdhsa_system_sgpr_workgroup_id_z 0
		.amdhsa_system_sgpr_workgroup_info 0
		.amdhsa_system_vgpr_workitem_id 0
		.amdhsa_next_free_vgpr 46
		.amdhsa_next_free_sgpr 18
		.amdhsa_accum_offset 48
		.amdhsa_reserve_vcc 1
		.amdhsa_float_round_mode_32 0
		.amdhsa_float_round_mode_16_64 0
		.amdhsa_float_denorm_mode_32 3
		.amdhsa_float_denorm_mode_16_64 3
		.amdhsa_dx10_clamp 1
		.amdhsa_ieee_mode 1
		.amdhsa_fp16_overflow 0
		.amdhsa_tg_split 0
		.amdhsa_exception_fp_ieee_invalid_op 0
		.amdhsa_exception_fp_denorm_src 0
		.amdhsa_exception_fp_ieee_div_zero 0
		.amdhsa_exception_fp_ieee_overflow 0
		.amdhsa_exception_fp_ieee_underflow 0
		.amdhsa_exception_fp_ieee_inexact 0
		.amdhsa_exception_int_div_zero 0
	.end_amdhsa_kernel
	.section	.text._ZN9rocsparseL18bsrxmvn_3x3_kernelILj256ELj32EdiifddEEvT3_20rocsparse_direction_NS_24const_host_device_scalarIT1_EES1_PKS1_PKT2_SA_S7_PKT4_PKT5_S5_PT6_21rocsparse_index_base_b,"axG",@progbits,_ZN9rocsparseL18bsrxmvn_3x3_kernelILj256ELj32EdiifddEEvT3_20rocsparse_direction_NS_24const_host_device_scalarIT1_EES1_PKS1_PKT2_SA_S7_PKT4_PKT5_S5_PT6_21rocsparse_index_base_b,comdat
.Lfunc_end153:
	.size	_ZN9rocsparseL18bsrxmvn_3x3_kernelILj256ELj32EdiifddEEvT3_20rocsparse_direction_NS_24const_host_device_scalarIT1_EES1_PKS1_PKT2_SA_S7_PKT4_PKT5_S5_PT6_21rocsparse_index_base_b, .Lfunc_end153-_ZN9rocsparseL18bsrxmvn_3x3_kernelILj256ELj32EdiifddEEvT3_20rocsparse_direction_NS_24const_host_device_scalarIT1_EES1_PKS1_PKT2_SA_S7_PKT4_PKT5_S5_PT6_21rocsparse_index_base_b
                                        ; -- End function
	.section	.AMDGPU.csdata,"",@progbits
; Kernel info:
; codeLenInByte = 1496
; NumSgprs: 24
; NumVgprs: 46
; NumAgprs: 0
; TotalNumVgprs: 46
; ScratchSize: 0
; MemoryBound: 0
; FloatMode: 240
; IeeeMode: 1
; LDSByteSize: 0 bytes/workgroup (compile time only)
; SGPRBlocks: 2
; VGPRBlocks: 5
; NumSGPRsForWavesPerEU: 24
; NumVGPRsForWavesPerEU: 46
; AccumOffset: 48
; Occupancy: 8
; WaveLimiterHint : 1
; COMPUTE_PGM_RSRC2:SCRATCH_EN: 0
; COMPUTE_PGM_RSRC2:USER_SGPR: 2
; COMPUTE_PGM_RSRC2:TRAP_HANDLER: 0
; COMPUTE_PGM_RSRC2:TGID_X_EN: 1
; COMPUTE_PGM_RSRC2:TGID_Y_EN: 0
; COMPUTE_PGM_RSRC2:TGID_Z_EN: 0
; COMPUTE_PGM_RSRC2:TIDIG_COMP_CNT: 0
; COMPUTE_PGM_RSRC3_GFX90A:ACCUM_OFFSET: 11
; COMPUTE_PGM_RSRC3_GFX90A:TG_SPLIT: 0
	.section	.text._ZN9rocsparseL18bsrxmvn_3x3_kernelILj256ELj64EdiifddEEvT3_20rocsparse_direction_NS_24const_host_device_scalarIT1_EES1_PKS1_PKT2_SA_S7_PKT4_PKT5_S5_PT6_21rocsparse_index_base_b,"axG",@progbits,_ZN9rocsparseL18bsrxmvn_3x3_kernelILj256ELj64EdiifddEEvT3_20rocsparse_direction_NS_24const_host_device_scalarIT1_EES1_PKS1_PKT2_SA_S7_PKT4_PKT5_S5_PT6_21rocsparse_index_base_b,comdat
	.globl	_ZN9rocsparseL18bsrxmvn_3x3_kernelILj256ELj64EdiifddEEvT3_20rocsparse_direction_NS_24const_host_device_scalarIT1_EES1_PKS1_PKT2_SA_S7_PKT4_PKT5_S5_PT6_21rocsparse_index_base_b ; -- Begin function _ZN9rocsparseL18bsrxmvn_3x3_kernelILj256ELj64EdiifddEEvT3_20rocsparse_direction_NS_24const_host_device_scalarIT1_EES1_PKS1_PKT2_SA_S7_PKT4_PKT5_S5_PT6_21rocsparse_index_base_b
	.p2align	8
	.type	_ZN9rocsparseL18bsrxmvn_3x3_kernelILj256ELj64EdiifddEEvT3_20rocsparse_direction_NS_24const_host_device_scalarIT1_EES1_PKS1_PKT2_SA_S7_PKT4_PKT5_S5_PT6_21rocsparse_index_base_b,@function
_ZN9rocsparseL18bsrxmvn_3x3_kernelILj256ELj64EdiifddEEvT3_20rocsparse_direction_NS_24const_host_device_scalarIT1_EES1_PKS1_PKT2_SA_S7_PKT4_PKT5_S5_PT6_21rocsparse_index_base_b: ; @_ZN9rocsparseL18bsrxmvn_3x3_kernelILj256ELj64EdiifddEEvT3_20rocsparse_direction_NS_24const_host_device_scalarIT1_EES1_PKS1_PKT2_SA_S7_PKT4_PKT5_S5_PT6_21rocsparse_index_base_b
; %bb.0:
	s_load_dwordx2 s[12:13], s[0:1], 0x58
	s_load_dwordx2 s[8:9], s[0:1], 0x8
	;; [unrolled: 1-line block ×3, first 2 shown]
	s_waitcnt lgkmcnt(0)
	s_bitcmp1_b32 s13, 0
	s_cselect_b64 s[10:11], -1, 0
	s_xor_b64 s[6:7], s[10:11], -1
	s_and_b64 vcc, exec, s[10:11]
	v_mov_b64_e32 v[6:7], s[8:9]
	s_cbranch_vccnz .LBB154_2
; %bb.1:
	v_mov_b64_e32 v[2:3], s[8:9]
	flat_load_dwordx2 v[6:7], v[2:3]
.LBB154_2:
	s_andn2_b64 vcc, exec, s[6:7]
	v_mov_b64_e32 v[4:5], s[4:5]
	s_cbranch_vccnz .LBB154_4
; %bb.3:
	v_mov_b64_e32 v[2:3], s[4:5]
	flat_load_dwordx2 v[4:5], v[2:3]
.LBB154_4:
	s_waitcnt vmcnt(0) lgkmcnt(0)
	v_cmp_neq_f64_e32 vcc, 0, v[6:7]
	v_cmp_neq_f64_e64 s[4:5], 1.0, v[4:5]
	s_mov_b64 s[6:7], 0
	s_or_b64 s[4:5], vcc, s[4:5]
	s_and_saveexec_b64 s[8:9], s[4:5]
	s_cbranch_execz .LBB154_10
; %bb.5:
	s_load_dwordx2 s[4:5], s[0:1], 0x18
	s_load_dwordx2 s[14:15], s[0:1], 0x0
	v_lshrrev_b32_e32 v1, 6, v0
	v_lshl_or_b32 v2, s2, 2, v1
	s_mov_b64 s[2:3], 0
	s_waitcnt lgkmcnt(0)
	s_cmp_lg_u64 s[4:5], 0
	s_cbranch_scc0 .LBB154_11
; %bb.6:
	s_load_dword s6, s[0:1], 0x10
                                        ; implicit-def: $vgpr1
	s_waitcnt lgkmcnt(0)
	v_cmp_gt_i32_e32 vcc, s6, v2
	s_and_saveexec_b64 s[6:7], vcc
	s_xor_b64 s[6:7], exec, s[6:7]
	s_cbranch_execz .LBB154_8
; %bb.7:
	v_ashrrev_i32_e32 v3, 31, v2
	v_lshl_add_u64 v[8:9], v[2:3], 2, s[4:5]
	global_load_dword v1, v[8:9], off
	s_mov_b64 s[2:3], exec
	s_waitcnt vmcnt(0)
	v_subrev_u32_e32 v1, s12, v1
.LBB154_8:
	s_or_b64 exec, exec, s[6:7]
	s_mov_b64 s[6:7], s[2:3]
	s_branch .LBB154_12
.LBB154_9:
	v_cmp_gt_i32_e32 vcc, s14, v2
	s_andn2_b64 s[2:3], s[6:7], exec
	s_and_b64 s[4:5], vcc, exec
	s_or_b64 s[6:7], s[2:3], s[4:5]
	s_and_b64 exec, exec, s[6:7]
	s_cbranch_execnz .LBB154_13
.LBB154_10:
	s_endpgm
.LBB154_11:
                                        ; implicit-def: $vgpr1
	s_cbranch_execnz .LBB154_9
.LBB154_12:
	v_mov_b32_e32 v2, v1
	s_and_b64 exec, exec, s[6:7]
	s_cbranch_execz .LBB154_10
.LBB154_13:
	s_load_dwordx8 s[4:11], s[0:1], 0x20
	v_ashrrev_i32_e32 v3, 31, v2
	v_lshlrev_b64 v[8:9], 2, v[2:3]
	v_and_b32_e32 v3, 63, v0
	s_waitcnt lgkmcnt(0)
	v_lshl_add_u64 v[10:11], s[4:5], 0, v[8:9]
	s_cmp_eq_u64 s[6:7], 0
	global_load_dword v1, v[10:11], off
	v_lshl_add_u64 v[10:11], v[10:11], 0, 4
	v_lshl_add_u64 v[8:9], s[6:7], 0, v[8:9]
	s_cselect_b64 vcc, -1, 0
	v_cndmask_b32_e32 v9, v9, v11, vcc
	v_cndmask_b32_e32 v8, v8, v10, vcc
	global_load_dword v8, v[8:9], off
	s_load_dwordx2 s[4:5], s[0:1], 0x40
	s_cmp_eq_u32 s15, 1
	s_waitcnt vmcnt(1)
	v_subrev_u32_e32 v0, s12, v1
	v_add_u32_e32 v10, v0, v3
	v_mad_i64_i32 v[12:13], s[2:3], v10, 36, s[10:11]
	s_waitcnt vmcnt(0)
	v_subrev_u32_e32 v20, s12, v8
	v_cmp_lt_i32_e64 s[2:3], v10, v20
	s_cbranch_scc1 .LBB154_19
; %bb.14:
	v_mov_b64_e32 v[0:1], 0
	s_mov_b64 s[6:7], 0
	v_mov_b64_e32 v[8:9], v[0:1]
	v_mov_b64_e32 v[14:15], v[0:1]
	s_and_saveexec_b64 s[10:11], s[2:3]
	s_cbranch_execz .LBB154_18
; %bb.15:
	v_mov_b64_e32 v[0:1], 0
	s_mov_b64 s[14:15], 0
	s_mov_b64 s[16:17], 0x900
	v_mov_b64_e32 v[16:17], v[12:13]
	v_mov_b32_e32 v18, v10
	v_mov_b64_e32 v[8:9], v[0:1]
	v_mov_b64_e32 v[14:15], v[0:1]
.LBB154_16:                             ; =>This Inner Loop Header: Depth=1
	v_ashrrev_i32_e32 v19, 31, v18
	v_lshl_add_u64 v[30:31], v[18:19], 2, s[8:9]
	global_load_dword v11, v[30:31], off
	global_load_dwordx4 v[22:25], v[16:17], off
	global_load_dwordx4 v[26:29], v[16:17], off offset:16
	v_add_u32_e32 v18, 64, v18
	v_cmp_ge_i32_e32 vcc, v18, v20
	s_or_b64 s[14:15], vcc, s[14:15]
	s_waitcnt vmcnt(2)
	v_subrev_u32_e32 v11, s12, v11
	v_lshl_add_u32 v30, v11, 1, v11
	v_ashrrev_i32_e32 v31, 31, v30
	s_waitcnt lgkmcnt(0)
	v_lshl_add_u64 v[34:35], v[30:31], 3, s[4:5]
	global_load_dwordx2 v[36:37], v[34:35], off offset:16
	global_load_dwordx4 v[30:33], v[34:35], off
	global_load_dword v11, v[16:17], off offset:32
	s_waitcnt vmcnt(4)
	v_cvt_f64_f32_e32 v[34:35], v22
	v_cvt_f64_f32_e32 v[38:39], v24
	v_cvt_f64_f32_e32 v[24:25], v25
	s_waitcnt vmcnt(3)
	v_cvt_f64_f32_e32 v[42:43], v28
	v_cvt_f64_f32_e32 v[22:23], v23
	;; [unrolled: 1-line block ×5, first 2 shown]
	v_lshl_add_u64 v[16:17], v[16:17], 0, s[16:17]
	s_waitcnt vmcnt(1)
	v_fmac_f64_e32 v[14:15], v[34:35], v[30:31]
	v_fmac_f64_e32 v[8:9], v[24:25], v[30:31]
	v_fmac_f64_e32 v[0:1], v[42:43], v[30:31]
	s_waitcnt vmcnt(0)
	v_cvt_f64_f32_e32 v[44:45], v11
	v_fmac_f64_e32 v[14:15], v[22:23], v[32:33]
	v_fmac_f64_e32 v[8:9], v[40:41], v[32:33]
	;; [unrolled: 1-line block ×6, first 2 shown]
	s_andn2_b64 exec, exec, s[14:15]
	s_cbranch_execnz .LBB154_16
; %bb.17:
	s_or_b64 exec, exec, s[14:15]
.LBB154_18:
	s_or_b64 exec, exec, s[10:11]
	s_andn2_b64 vcc, exec, s[6:7]
	s_cbranch_vccz .LBB154_20
	s_branch .LBB154_25
.LBB154_19:
                                        ; implicit-def: $vgpr0_vgpr1
                                        ; implicit-def: $vgpr8_vgpr9
                                        ; implicit-def: $vgpr14_vgpr15
.LBB154_20:
	v_mov_b64_e32 v[0:1], 0
	v_mov_b64_e32 v[8:9], v[0:1]
	;; [unrolled: 1-line block ×3, first 2 shown]
	s_and_saveexec_b64 s[6:7], s[2:3]
	s_cbranch_execz .LBB154_24
; %bb.21:
	v_mov_b64_e32 v[0:1], 0
	s_mov_b64 s[2:3], 0
	s_mov_b64 s[10:11], 0x900
	v_mov_b64_e32 v[8:9], v[0:1]
	v_mov_b64_e32 v[14:15], v[0:1]
.LBB154_22:                             ; =>This Inner Loop Header: Depth=1
	v_ashrrev_i32_e32 v11, 31, v10
	v_lshl_add_u64 v[26:27], v[10:11], 2, s[8:9]
	global_load_dword v11, v[26:27], off
	global_load_dwordx4 v[16:19], v[12:13], off
	global_load_dwordx4 v[22:25], v[12:13], off offset:16
	v_add_u32_e32 v10, 64, v10
	v_cmp_ge_i32_e32 vcc, v10, v20
	s_or_b64 s[2:3], vcc, s[2:3]
	s_waitcnt vmcnt(2)
	v_subrev_u32_e32 v11, s12, v11
	v_lshl_add_u32 v26, v11, 1, v11
	v_ashrrev_i32_e32 v27, 31, v26
	s_waitcnt lgkmcnt(0)
	v_lshl_add_u64 v[30:31], v[26:27], 3, s[4:5]
	global_load_dwordx2 v[32:33], v[30:31], off offset:16
	global_load_dwordx4 v[26:29], v[30:31], off
	global_load_dword v11, v[12:13], off offset:32
	s_waitcnt vmcnt(4)
	v_cvt_f64_f32_e32 v[30:31], v16
	v_cvt_f64_f32_e32 v[16:17], v17
	;; [unrolled: 1-line block ×4, first 2 shown]
	s_waitcnt vmcnt(3)
	v_cvt_f64_f32_e32 v[36:37], v22
	v_cvt_f64_f32_e32 v[22:23], v23
	v_cvt_f64_f32_e32 v[38:39], v24
	v_cvt_f64_f32_e32 v[24:25], v25
	v_lshl_add_u64 v[12:13], v[12:13], 0, s[10:11]
	s_waitcnt vmcnt(1)
	v_fmac_f64_e32 v[14:15], v[30:31], v[26:27]
	v_fmac_f64_e32 v[8:9], v[16:17], v[26:27]
	;; [unrolled: 1-line block ×3, first 2 shown]
	s_waitcnt vmcnt(0)
	v_cvt_f64_f32_e32 v[40:41], v11
	v_fmac_f64_e32 v[14:15], v[18:19], v[28:29]
	v_fmac_f64_e32 v[8:9], v[36:37], v[28:29]
	;; [unrolled: 1-line block ×6, first 2 shown]
	s_andn2_b64 exec, exec, s[2:3]
	s_cbranch_execnz .LBB154_22
; %bb.23:
	s_or_b64 exec, exec, s[2:3]
.LBB154_24:
	s_or_b64 exec, exec, s[6:7]
.LBB154_25:
	v_mov_b32_dpp v10, v14 row_shr:1 row_mask:0xf bank_mask:0xf
	v_mov_b32_dpp v11, v15 row_shr:1 row_mask:0xf bank_mask:0xf
	v_add_f64 v[10:11], v[14:15], v[10:11]
	v_mov_b32_dpp v14, v8 row_shr:1 row_mask:0xf bank_mask:0xf
	v_mov_b32_dpp v15, v9 row_shr:1 row_mask:0xf bank_mask:0xf
	v_mov_b32_dpp v16, v0 row_shr:1 row_mask:0xf bank_mask:0xf
	v_mov_b32_dpp v17, v1 row_shr:1 row_mask:0xf bank_mask:0xf
	v_add_f64 v[8:9], v[8:9], v[14:15]
	v_add_f64 v[0:1], v[0:1], v[16:17]
	v_mov_b32_dpp v12, v10 row_shr:2 row_mask:0xf bank_mask:0xf
	v_mov_b32_dpp v13, v11 row_shr:2 row_mask:0xf bank_mask:0xf
	v_mov_b32_dpp v14, v8 row_shr:2 row_mask:0xf bank_mask:0xf
	v_mov_b32_dpp v15, v9 row_shr:2 row_mask:0xf bank_mask:0xf
	v_mov_b32_dpp v16, v0 row_shr:2 row_mask:0xf bank_mask:0xf
	v_mov_b32_dpp v17, v1 row_shr:2 row_mask:0xf bank_mask:0xf
	v_add_f64 v[10:11], v[10:11], v[12:13]
	v_add_f64 v[8:9], v[8:9], v[14:15]
	v_add_f64 v[0:1], v[0:1], v[16:17]
	v_mov_b32_dpp v12, v10 row_shr:4 row_mask:0xf bank_mask:0xe
	v_mov_b32_dpp v13, v11 row_shr:4 row_mask:0xf bank_mask:0xe
	v_mov_b32_dpp v14, v8 row_shr:4 row_mask:0xf bank_mask:0xe
	v_mov_b32_dpp v15, v9 row_shr:4 row_mask:0xf bank_mask:0xe
	v_mov_b32_dpp v16, v0 row_shr:4 row_mask:0xf bank_mask:0xe
	v_mov_b32_dpp v17, v1 row_shr:4 row_mask:0xf bank_mask:0xe
	v_add_f64 v[10:11], v[10:11], v[12:13]
	;; [unrolled: 9-line block ×3, first 2 shown]
	v_add_f64 v[8:9], v[8:9], v[14:15]
	v_add_f64 v[0:1], v[0:1], v[16:17]
	v_mov_b32_dpp v12, v10 row_bcast:15 row_mask:0xa bank_mask:0xf
	v_mov_b32_dpp v13, v11 row_bcast:15 row_mask:0xa bank_mask:0xf
	;; [unrolled: 1-line block ×6, first 2 shown]
	v_add_f64 v[10:11], v[10:11], v[12:13]
	v_add_f64 v[8:9], v[8:9], v[14:15]
	;; [unrolled: 1-line block ×3, first 2 shown]
	v_mov_b32_dpp v12, v10 row_bcast:31 row_mask:0xc bank_mask:0xf
	v_mov_b32_dpp v13, v11 row_bcast:31 row_mask:0xc bank_mask:0xf
	;; [unrolled: 1-line block ×6, first 2 shown]
	v_cmp_eq_u32_e32 vcc, 63, v3
	s_and_b64 exec, exec, vcc
	s_cbranch_execz .LBB154_10
; %bb.26:
	s_load_dwordx2 s[0:1], s[0:1], 0x50
	v_add_f64 v[10:11], v[10:11], v[12:13]
	v_add_f64 v[12:13], v[8:9], v[14:15]
	v_add_f64 v[14:15], v[0:1], v[16:17]
	v_lshl_add_u32 v8, v2, 1, v2
	v_cmp_eq_f64_e32 vcc, 0, v[4:5]
	v_mul_f64 v[0:1], v[6:7], v[10:11]
	v_mul_f64 v[2:3], v[6:7], v[12:13]
	v_mul_f64 v[6:7], v[6:7], v[14:15]
	v_ashrrev_i32_e32 v9, 31, v8
	s_and_saveexec_b64 s[2:3], vcc
	s_xor_b64 s[2:3], exec, s[2:3]
	s_cbranch_execz .LBB154_28
; %bb.27:
	s_waitcnt lgkmcnt(0)
	v_lshl_add_u64 v[4:5], v[8:9], 3, s[0:1]
	global_store_dwordx4 v[4:5], v[0:3], off
	global_store_dwordx2 v[4:5], v[6:7], off offset:16
                                        ; implicit-def: $vgpr8
                                        ; implicit-def: $vgpr4_vgpr5
                                        ; implicit-def: $vgpr0_vgpr1
                                        ; implicit-def: $vgpr6_vgpr7
.LBB154_28:
	s_andn2_saveexec_b64 s[2:3], s[2:3]
	s_cbranch_execz .LBB154_10
; %bb.29:
	s_waitcnt lgkmcnt(0)
	v_lshl_add_u64 v[12:13], v[8:9], 3, s[0:1]
	global_load_dwordx4 v[8:11], v[12:13], off
	global_load_dwordx2 v[14:15], v[12:13], off offset:16
	s_waitcnt vmcnt(1)
	v_fmac_f64_e32 v[0:1], v[4:5], v[8:9]
	v_fmac_f64_e32 v[2:3], v[4:5], v[10:11]
	s_waitcnt vmcnt(0)
	v_fmac_f64_e32 v[6:7], v[4:5], v[14:15]
	global_store_dwordx4 v[12:13], v[0:3], off
	global_store_dwordx2 v[12:13], v[6:7], off offset:16
	s_endpgm
	.section	.rodata,"a",@progbits
	.p2align	6, 0x0
	.amdhsa_kernel _ZN9rocsparseL18bsrxmvn_3x3_kernelILj256ELj64EdiifddEEvT3_20rocsparse_direction_NS_24const_host_device_scalarIT1_EES1_PKS1_PKT2_SA_S7_PKT4_PKT5_S5_PT6_21rocsparse_index_base_b
		.amdhsa_group_segment_fixed_size 0
		.amdhsa_private_segment_fixed_size 0
		.amdhsa_kernarg_size 96
		.amdhsa_user_sgpr_count 2
		.amdhsa_user_sgpr_dispatch_ptr 0
		.amdhsa_user_sgpr_queue_ptr 0
		.amdhsa_user_sgpr_kernarg_segment_ptr 1
		.amdhsa_user_sgpr_dispatch_id 0
		.amdhsa_user_sgpr_kernarg_preload_length 0
		.amdhsa_user_sgpr_kernarg_preload_offset 0
		.amdhsa_user_sgpr_private_segment_size 0
		.amdhsa_uses_dynamic_stack 0
		.amdhsa_enable_private_segment 0
		.amdhsa_system_sgpr_workgroup_id_x 1
		.amdhsa_system_sgpr_workgroup_id_y 0
		.amdhsa_system_sgpr_workgroup_id_z 0
		.amdhsa_system_sgpr_workgroup_info 0
		.amdhsa_system_vgpr_workitem_id 0
		.amdhsa_next_free_vgpr 46
		.amdhsa_next_free_sgpr 18
		.amdhsa_accum_offset 48
		.amdhsa_reserve_vcc 1
		.amdhsa_float_round_mode_32 0
		.amdhsa_float_round_mode_16_64 0
		.amdhsa_float_denorm_mode_32 3
		.amdhsa_float_denorm_mode_16_64 3
		.amdhsa_dx10_clamp 1
		.amdhsa_ieee_mode 1
		.amdhsa_fp16_overflow 0
		.amdhsa_tg_split 0
		.amdhsa_exception_fp_ieee_invalid_op 0
		.amdhsa_exception_fp_denorm_src 0
		.amdhsa_exception_fp_ieee_div_zero 0
		.amdhsa_exception_fp_ieee_overflow 0
		.amdhsa_exception_fp_ieee_underflow 0
		.amdhsa_exception_fp_ieee_inexact 0
		.amdhsa_exception_int_div_zero 0
	.end_amdhsa_kernel
	.section	.text._ZN9rocsparseL18bsrxmvn_3x3_kernelILj256ELj64EdiifddEEvT3_20rocsparse_direction_NS_24const_host_device_scalarIT1_EES1_PKS1_PKT2_SA_S7_PKT4_PKT5_S5_PT6_21rocsparse_index_base_b,"axG",@progbits,_ZN9rocsparseL18bsrxmvn_3x3_kernelILj256ELj64EdiifddEEvT3_20rocsparse_direction_NS_24const_host_device_scalarIT1_EES1_PKS1_PKT2_SA_S7_PKT4_PKT5_S5_PT6_21rocsparse_index_base_b,comdat
.Lfunc_end154:
	.size	_ZN9rocsparseL18bsrxmvn_3x3_kernelILj256ELj64EdiifddEEvT3_20rocsparse_direction_NS_24const_host_device_scalarIT1_EES1_PKS1_PKT2_SA_S7_PKT4_PKT5_S5_PT6_21rocsparse_index_base_b, .Lfunc_end154-_ZN9rocsparseL18bsrxmvn_3x3_kernelILj256ELj64EdiifddEEvT3_20rocsparse_direction_NS_24const_host_device_scalarIT1_EES1_PKS1_PKT2_SA_S7_PKT4_PKT5_S5_PT6_21rocsparse_index_base_b
                                        ; -- End function
	.section	.AMDGPU.csdata,"",@progbits
; Kernel info:
; codeLenInByte = 1568
; NumSgprs: 24
; NumVgprs: 46
; NumAgprs: 0
; TotalNumVgprs: 46
; ScratchSize: 0
; MemoryBound: 0
; FloatMode: 240
; IeeeMode: 1
; LDSByteSize: 0 bytes/workgroup (compile time only)
; SGPRBlocks: 2
; VGPRBlocks: 5
; NumSGPRsForWavesPerEU: 24
; NumVGPRsForWavesPerEU: 46
; AccumOffset: 48
; Occupancy: 8
; WaveLimiterHint : 1
; COMPUTE_PGM_RSRC2:SCRATCH_EN: 0
; COMPUTE_PGM_RSRC2:USER_SGPR: 2
; COMPUTE_PGM_RSRC2:TRAP_HANDLER: 0
; COMPUTE_PGM_RSRC2:TGID_X_EN: 1
; COMPUTE_PGM_RSRC2:TGID_Y_EN: 0
; COMPUTE_PGM_RSRC2:TGID_Z_EN: 0
; COMPUTE_PGM_RSRC2:TIDIG_COMP_CNT: 0
; COMPUTE_PGM_RSRC3_GFX90A:ACCUM_OFFSET: 11
; COMPUTE_PGM_RSRC3_GFX90A:TG_SPLIT: 0
	.section	.text._ZN9rocsparseL18bsrxmvn_3x3_kernelILj256ELj4EdlifddEEvT3_20rocsparse_direction_NS_24const_host_device_scalarIT1_EES1_PKS1_PKT2_SA_S7_PKT4_PKT5_S5_PT6_21rocsparse_index_base_b,"axG",@progbits,_ZN9rocsparseL18bsrxmvn_3x3_kernelILj256ELj4EdlifddEEvT3_20rocsparse_direction_NS_24const_host_device_scalarIT1_EES1_PKS1_PKT2_SA_S7_PKT4_PKT5_S5_PT6_21rocsparse_index_base_b,comdat
	.globl	_ZN9rocsparseL18bsrxmvn_3x3_kernelILj256ELj4EdlifddEEvT3_20rocsparse_direction_NS_24const_host_device_scalarIT1_EES1_PKS1_PKT2_SA_S7_PKT4_PKT5_S5_PT6_21rocsparse_index_base_b ; -- Begin function _ZN9rocsparseL18bsrxmvn_3x3_kernelILj256ELj4EdlifddEEvT3_20rocsparse_direction_NS_24const_host_device_scalarIT1_EES1_PKS1_PKT2_SA_S7_PKT4_PKT5_S5_PT6_21rocsparse_index_base_b
	.p2align	8
	.type	_ZN9rocsparseL18bsrxmvn_3x3_kernelILj256ELj4EdlifddEEvT3_20rocsparse_direction_NS_24const_host_device_scalarIT1_EES1_PKS1_PKT2_SA_S7_PKT4_PKT5_S5_PT6_21rocsparse_index_base_b,@function
_ZN9rocsparseL18bsrxmvn_3x3_kernelILj256ELj4EdlifddEEvT3_20rocsparse_direction_NS_24const_host_device_scalarIT1_EES1_PKS1_PKT2_SA_S7_PKT4_PKT5_S5_PT6_21rocsparse_index_base_b: ; @_ZN9rocsparseL18bsrxmvn_3x3_kernelILj256ELj4EdlifddEEvT3_20rocsparse_direction_NS_24const_host_device_scalarIT1_EES1_PKS1_PKT2_SA_S7_PKT4_PKT5_S5_PT6_21rocsparse_index_base_b
; %bb.0:
	s_load_dwordx2 s[12:13], s[0:1], 0x58
	s_load_dwordx2 s[8:9], s[0:1], 0x8
	;; [unrolled: 1-line block ×3, first 2 shown]
	s_waitcnt lgkmcnt(0)
	s_bitcmp1_b32 s13, 0
	s_cselect_b64 s[10:11], -1, 0
	s_xor_b64 s[6:7], s[10:11], -1
	s_and_b64 vcc, exec, s[10:11]
	v_mov_b64_e32 v[6:7], s[8:9]
	s_cbranch_vccnz .LBB155_2
; %bb.1:
	v_mov_b64_e32 v[2:3], s[8:9]
	flat_load_dwordx2 v[6:7], v[2:3]
.LBB155_2:
	s_andn2_b64 vcc, exec, s[6:7]
	v_mov_b64_e32 v[4:5], s[4:5]
	s_cbranch_vccnz .LBB155_4
; %bb.3:
	v_mov_b64_e32 v[2:3], s[4:5]
	flat_load_dwordx2 v[4:5], v[2:3]
.LBB155_4:
	s_waitcnt vmcnt(0) lgkmcnt(0)
	v_cmp_neq_f64_e32 vcc, 0, v[6:7]
	v_cmp_neq_f64_e64 s[4:5], 1.0, v[4:5]
	s_mov_b64 s[6:7], 0
	s_or_b64 s[4:5], vcc, s[4:5]
	s_and_saveexec_b64 s[8:9], s[4:5]
	s_cbranch_execz .LBB155_10
; %bb.5:
	s_load_dwordx2 s[4:5], s[0:1], 0x18
	s_load_dwordx2 s[14:15], s[0:1], 0x0
	v_lshrrev_b32_e32 v1, 2, v0
	v_lshl_or_b32 v2, s2, 6, v1
	s_mov_b64 s[2:3], 0
	s_waitcnt lgkmcnt(0)
	s_cmp_lg_u64 s[4:5], 0
	s_cbranch_scc0 .LBB155_11
; %bb.6:
	s_load_dword s6, s[0:1], 0x10
                                        ; implicit-def: $vgpr1
	s_waitcnt lgkmcnt(0)
	v_cmp_gt_i32_e32 vcc, s6, v2
	s_and_saveexec_b64 s[6:7], vcc
	s_xor_b64 s[6:7], exec, s[6:7]
	s_cbranch_execz .LBB155_8
; %bb.7:
	v_ashrrev_i32_e32 v3, 31, v2
	v_lshl_add_u64 v[8:9], v[2:3], 2, s[4:5]
	global_load_dword v1, v[8:9], off
	s_mov_b64 s[2:3], exec
	s_waitcnt vmcnt(0)
	v_subrev_u32_e32 v1, s12, v1
.LBB155_8:
	s_or_b64 exec, exec, s[6:7]
	s_mov_b64 s[6:7], s[2:3]
	s_branch .LBB155_12
.LBB155_9:
	v_cmp_gt_i32_e32 vcc, s14, v2
	s_andn2_b64 s[2:3], s[6:7], exec
	s_and_b64 s[4:5], vcc, exec
	s_or_b64 s[6:7], s[2:3], s[4:5]
	s_and_b64 exec, exec, s[6:7]
	s_cbranch_execnz .LBB155_13
.LBB155_10:
	s_endpgm
.LBB155_11:
                                        ; implicit-def: $vgpr1
	s_cbranch_execnz .LBB155_9
.LBB155_12:
	v_mov_b32_e32 v2, v1
	s_and_b64 exec, exec, s[6:7]
	s_cbranch_execz .LBB155_10
.LBB155_13:
	s_load_dwordx8 s[4:11], s[0:1], 0x20
	v_ashrrev_i32_e32 v3, 31, v2
	v_lshlrev_b64 v[8:9], 3, v[2:3]
	v_and_b32_e32 v0, 3, v0
	v_mov_b32_e32 v1, 0
	s_waitcnt lgkmcnt(0)
	v_lshl_add_u64 v[10:11], s[4:5], 0, v[8:9]
	global_load_dwordx2 v[12:13], v[10:11], off
	s_cmp_eq_u64 s[6:7], 0
	v_lshl_add_u64 v[8:9], s[6:7], 0, v[8:9]
	v_lshl_add_u64 v[10:11], v[10:11], 0, 8
	s_cselect_b64 vcc, -1, 0
	v_cndmask_b32_e32 v9, v9, v11, vcc
	v_cndmask_b32_e32 v8, v8, v10, vcc
	global_load_dwordx2 v[8:9], v[8:9], off
	s_load_dwordx2 s[4:5], s[0:1], 0x40
	s_cmp_eq_u32 s15, 1
	s_waitcnt vmcnt(1)
	v_subrev_co_u32_e32 v10, vcc, s12, v12
	s_nop 1
	v_subbrev_co_u32_e32 v11, vcc, 0, v13, vcc
	v_lshl_add_u64 v[10:11], v[10:11], 0, v[0:1]
	v_mad_u64_u32 v[14:15], s[2:3], v10, 36, s[10:11]
	s_waitcnt vmcnt(0)
	v_subrev_co_u32_e32 v12, vcc, s12, v8
	v_mov_b32_e32 v8, v15
	s_nop 0
	v_subbrev_co_u32_e32 v13, vcc, 0, v9, vcc
	v_mad_u64_u32 v[8:9], s[2:3], v11, 36, v[8:9]
	v_mov_b32_e32 v15, v8
	v_cmp_lt_i64_e64 s[2:3], v[10:11], v[12:13]
	s_cbranch_scc1 .LBB155_19
; %bb.14:
	v_mov_b64_e32 v[8:9], 0
	s_mov_b64 s[6:7], 0
	v_mov_b64_e32 v[16:17], v[8:9]
	v_mov_b64_e32 v[18:19], v[8:9]
	s_and_saveexec_b64 s[10:11], s[2:3]
	s_cbranch_execz .LBB155_18
; %bb.15:
	v_mov_b64_e32 v[8:9], 0
	v_lshl_add_u64 v[20:21], v[10:11], 2, s[8:9]
	s_mov_b64 s[14:15], 0
	s_mov_b64 s[16:17], 0x90
	v_mov_b64_e32 v[22:23], v[14:15]
	v_mov_b64_e32 v[24:25], v[10:11]
	v_mov_b64_e32 v[16:17], v[8:9]
	v_mov_b64_e32 v[18:19], v[8:9]
.LBB155_16:                             ; =>This Inner Loop Header: Depth=1
	global_load_dword v1, v[20:21], off
	global_load_dwordx4 v[26:29], v[22:23], off
	global_load_dwordx4 v[30:33], v[22:23], off offset:16
	v_lshl_add_u64 v[24:25], v[24:25], 0, 4
	v_cmp_ge_i64_e32 vcc, v[24:25], v[12:13]
	v_lshl_add_u64 v[20:21], v[20:21], 0, 16
	s_or_b64 s[14:15], vcc, s[14:15]
	s_waitcnt vmcnt(2)
	v_subrev_u32_e32 v1, s12, v1
	v_lshl_add_u32 v34, v1, 1, v1
	v_ashrrev_i32_e32 v35, 31, v34
	s_waitcnt lgkmcnt(0)
	v_lshl_add_u64 v[38:39], v[34:35], 3, s[4:5]
	global_load_dwordx2 v[40:41], v[38:39], off offset:16
	global_load_dwordx4 v[34:37], v[38:39], off
	global_load_dword v1, v[22:23], off offset:32
	s_waitcnt vmcnt(4)
	v_cvt_f64_f32_e32 v[38:39], v26
	v_cvt_f64_f32_e32 v[42:43], v28
	;; [unrolled: 1-line block ×3, first 2 shown]
	s_waitcnt vmcnt(3)
	v_cvt_f64_f32_e32 v[46:47], v32
	v_cvt_f64_f32_e32 v[26:27], v27
	;; [unrolled: 1-line block ×5, first 2 shown]
	v_lshl_add_u64 v[22:23], v[22:23], 0, s[16:17]
	s_waitcnt vmcnt(1)
	v_fmac_f64_e32 v[18:19], v[38:39], v[34:35]
	v_fmac_f64_e32 v[16:17], v[28:29], v[34:35]
	;; [unrolled: 1-line block ×3, first 2 shown]
	s_waitcnt vmcnt(0)
	v_cvt_f64_f32_e32 v[48:49], v1
	v_fmac_f64_e32 v[18:19], v[26:27], v[36:37]
	v_fmac_f64_e32 v[16:17], v[44:45], v[36:37]
	;; [unrolled: 1-line block ×6, first 2 shown]
	s_andn2_b64 exec, exec, s[14:15]
	s_cbranch_execnz .LBB155_16
; %bb.17:
	s_or_b64 exec, exec, s[14:15]
.LBB155_18:
	s_or_b64 exec, exec, s[10:11]
	s_andn2_b64 vcc, exec, s[6:7]
	s_cbranch_vccz .LBB155_20
	s_branch .LBB155_25
.LBB155_19:
                                        ; implicit-def: $vgpr8_vgpr9
                                        ; implicit-def: $vgpr16_vgpr17
                                        ; implicit-def: $vgpr18_vgpr19
.LBB155_20:
	v_mov_b64_e32 v[8:9], 0
	v_mov_b64_e32 v[16:17], v[8:9]
	;; [unrolled: 1-line block ×3, first 2 shown]
	s_and_saveexec_b64 s[6:7], s[2:3]
	s_cbranch_execz .LBB155_24
; %bb.21:
	v_mov_b64_e32 v[8:9], 0
	v_lshl_add_u64 v[20:21], v[10:11], 2, s[8:9]
	s_mov_b64 s[2:3], 0
	s_mov_b64 s[8:9], 0x90
	v_mov_b64_e32 v[16:17], v[8:9]
	v_mov_b64_e32 v[18:19], v[8:9]
.LBB155_22:                             ; =>This Inner Loop Header: Depth=1
	global_load_dword v1, v[20:21], off
	global_load_dwordx4 v[22:25], v[14:15], off
	global_load_dwordx4 v[26:29], v[14:15], off offset:16
	v_lshl_add_u64 v[10:11], v[10:11], 0, 4
	v_cmp_ge_i64_e32 vcc, v[10:11], v[12:13]
	v_lshl_add_u64 v[20:21], v[20:21], 0, 16
	s_or_b64 s[2:3], vcc, s[2:3]
	s_waitcnt vmcnt(2)
	v_subrev_u32_e32 v1, s12, v1
	v_lshl_add_u32 v30, v1, 1, v1
	v_ashrrev_i32_e32 v31, 31, v30
	s_waitcnt lgkmcnt(0)
	v_lshl_add_u64 v[34:35], v[30:31], 3, s[4:5]
	global_load_dwordx2 v[36:37], v[34:35], off offset:16
	global_load_dwordx4 v[30:33], v[34:35], off
	global_load_dword v1, v[14:15], off offset:32
	s_waitcnt vmcnt(4)
	v_cvt_f64_f32_e32 v[34:35], v22
	v_cvt_f64_f32_e32 v[22:23], v23
	;; [unrolled: 1-line block ×4, first 2 shown]
	s_waitcnt vmcnt(3)
	v_cvt_f64_f32_e32 v[40:41], v26
	v_cvt_f64_f32_e32 v[26:27], v27
	;; [unrolled: 1-line block ×4, first 2 shown]
	v_lshl_add_u64 v[14:15], v[14:15], 0, s[8:9]
	s_waitcnt vmcnt(1)
	v_fmac_f64_e32 v[18:19], v[34:35], v[30:31]
	v_fmac_f64_e32 v[16:17], v[22:23], v[30:31]
	;; [unrolled: 1-line block ×3, first 2 shown]
	s_waitcnt vmcnt(0)
	v_cvt_f64_f32_e32 v[44:45], v1
	v_fmac_f64_e32 v[18:19], v[24:25], v[32:33]
	v_fmac_f64_e32 v[16:17], v[40:41], v[32:33]
	;; [unrolled: 1-line block ×6, first 2 shown]
	s_andn2_b64 exec, exec, s[2:3]
	s_cbranch_execnz .LBB155_22
; %bb.23:
	s_or_b64 exec, exec, s[2:3]
.LBB155_24:
	s_or_b64 exec, exec, s[6:7]
.LBB155_25:
	v_mov_b32_dpp v10, v18 row_shr:1 row_mask:0xf bank_mask:0xf
	v_mov_b32_dpp v11, v19 row_shr:1 row_mask:0xf bank_mask:0xf
	v_add_f64 v[10:11], v[18:19], v[10:11]
	v_mov_b32_dpp v14, v16 row_shr:1 row_mask:0xf bank_mask:0xf
	v_mov_b32_dpp v15, v17 row_shr:1 row_mask:0xf bank_mask:0xf
	;; [unrolled: 1-line block ×4, first 2 shown]
	v_add_f64 v[14:15], v[16:17], v[14:15]
	v_add_f64 v[8:9], v[8:9], v[18:19]
	v_mov_b32_dpp v12, v10 row_shr:2 row_mask:0xf bank_mask:0xf
	v_mov_b32_dpp v13, v11 row_shr:2 row_mask:0xf bank_mask:0xf
	;; [unrolled: 1-line block ×6, first 2 shown]
	v_cmp_eq_u32_e32 vcc, 3, v0
	s_and_b64 exec, exec, vcc
	s_cbranch_execz .LBB155_10
; %bb.26:
	s_load_dwordx2 s[0:1], s[0:1], 0x50
	v_add_f64 v[0:1], v[10:11], v[12:13]
	v_add_f64 v[10:11], v[14:15], v[16:17]
	;; [unrolled: 1-line block ×3, first 2 shown]
	v_lshl_add_u32 v8, v2, 1, v2
	v_cmp_eq_f64_e32 vcc, 0, v[4:5]
	v_mul_f64 v[0:1], v[6:7], v[0:1]
	v_mul_f64 v[2:3], v[6:7], v[10:11]
	;; [unrolled: 1-line block ×3, first 2 shown]
	v_ashrrev_i32_e32 v9, 31, v8
	s_and_saveexec_b64 s[2:3], vcc
	s_xor_b64 s[2:3], exec, s[2:3]
	s_cbranch_execz .LBB155_28
; %bb.27:
	s_waitcnt lgkmcnt(0)
	v_lshl_add_u64 v[4:5], v[8:9], 3, s[0:1]
	global_store_dwordx4 v[4:5], v[0:3], off
	global_store_dwordx2 v[4:5], v[6:7], off offset:16
                                        ; implicit-def: $vgpr8
                                        ; implicit-def: $vgpr4_vgpr5
                                        ; implicit-def: $vgpr0_vgpr1
                                        ; implicit-def: $vgpr6_vgpr7
.LBB155_28:
	s_andn2_saveexec_b64 s[2:3], s[2:3]
	s_cbranch_execz .LBB155_10
; %bb.29:
	s_waitcnt lgkmcnt(0)
	v_lshl_add_u64 v[12:13], v[8:9], 3, s[0:1]
	global_load_dwordx4 v[8:11], v[12:13], off
	global_load_dwordx2 v[14:15], v[12:13], off offset:16
	s_waitcnt vmcnt(1)
	v_fmac_f64_e32 v[0:1], v[4:5], v[8:9]
	v_fmac_f64_e32 v[2:3], v[4:5], v[10:11]
	s_waitcnt vmcnt(0)
	v_fmac_f64_e32 v[6:7], v[4:5], v[14:15]
	global_store_dwordx4 v[12:13], v[0:3], off
	global_store_dwordx2 v[12:13], v[6:7], off offset:16
	s_endpgm
	.section	.rodata,"a",@progbits
	.p2align	6, 0x0
	.amdhsa_kernel _ZN9rocsparseL18bsrxmvn_3x3_kernelILj256ELj4EdlifddEEvT3_20rocsparse_direction_NS_24const_host_device_scalarIT1_EES1_PKS1_PKT2_SA_S7_PKT4_PKT5_S5_PT6_21rocsparse_index_base_b
		.amdhsa_group_segment_fixed_size 0
		.amdhsa_private_segment_fixed_size 0
		.amdhsa_kernarg_size 96
		.amdhsa_user_sgpr_count 2
		.amdhsa_user_sgpr_dispatch_ptr 0
		.amdhsa_user_sgpr_queue_ptr 0
		.amdhsa_user_sgpr_kernarg_segment_ptr 1
		.amdhsa_user_sgpr_dispatch_id 0
		.amdhsa_user_sgpr_kernarg_preload_length 0
		.amdhsa_user_sgpr_kernarg_preload_offset 0
		.amdhsa_user_sgpr_private_segment_size 0
		.amdhsa_uses_dynamic_stack 0
		.amdhsa_enable_private_segment 0
		.amdhsa_system_sgpr_workgroup_id_x 1
		.amdhsa_system_sgpr_workgroup_id_y 0
		.amdhsa_system_sgpr_workgroup_id_z 0
		.amdhsa_system_sgpr_workgroup_info 0
		.amdhsa_system_vgpr_workitem_id 0
		.amdhsa_next_free_vgpr 50
		.amdhsa_next_free_sgpr 18
		.amdhsa_accum_offset 52
		.amdhsa_reserve_vcc 1
		.amdhsa_float_round_mode_32 0
		.amdhsa_float_round_mode_16_64 0
		.amdhsa_float_denorm_mode_32 3
		.amdhsa_float_denorm_mode_16_64 3
		.amdhsa_dx10_clamp 1
		.amdhsa_ieee_mode 1
		.amdhsa_fp16_overflow 0
		.amdhsa_tg_split 0
		.amdhsa_exception_fp_ieee_invalid_op 0
		.amdhsa_exception_fp_denorm_src 0
		.amdhsa_exception_fp_ieee_div_zero 0
		.amdhsa_exception_fp_ieee_overflow 0
		.amdhsa_exception_fp_ieee_underflow 0
		.amdhsa_exception_fp_ieee_inexact 0
		.amdhsa_exception_int_div_zero 0
	.end_amdhsa_kernel
	.section	.text._ZN9rocsparseL18bsrxmvn_3x3_kernelILj256ELj4EdlifddEEvT3_20rocsparse_direction_NS_24const_host_device_scalarIT1_EES1_PKS1_PKT2_SA_S7_PKT4_PKT5_S5_PT6_21rocsparse_index_base_b,"axG",@progbits,_ZN9rocsparseL18bsrxmvn_3x3_kernelILj256ELj4EdlifddEEvT3_20rocsparse_direction_NS_24const_host_device_scalarIT1_EES1_PKS1_PKT2_SA_S7_PKT4_PKT5_S5_PT6_21rocsparse_index_base_b,comdat
.Lfunc_end155:
	.size	_ZN9rocsparseL18bsrxmvn_3x3_kernelILj256ELj4EdlifddEEvT3_20rocsparse_direction_NS_24const_host_device_scalarIT1_EES1_PKS1_PKT2_SA_S7_PKT4_PKT5_S5_PT6_21rocsparse_index_base_b, .Lfunc_end155-_ZN9rocsparseL18bsrxmvn_3x3_kernelILj256ELj4EdlifddEEvT3_20rocsparse_direction_NS_24const_host_device_scalarIT1_EES1_PKS1_PKT2_SA_S7_PKT4_PKT5_S5_PT6_21rocsparse_index_base_b
                                        ; -- End function
	.section	.AMDGPU.csdata,"",@progbits
; Kernel info:
; codeLenInByte = 1336
; NumSgprs: 24
; NumVgprs: 50
; NumAgprs: 0
; TotalNumVgprs: 50
; ScratchSize: 0
; MemoryBound: 0
; FloatMode: 240
; IeeeMode: 1
; LDSByteSize: 0 bytes/workgroup (compile time only)
; SGPRBlocks: 2
; VGPRBlocks: 6
; NumSGPRsForWavesPerEU: 24
; NumVGPRsForWavesPerEU: 50
; AccumOffset: 52
; Occupancy: 8
; WaveLimiterHint : 1
; COMPUTE_PGM_RSRC2:SCRATCH_EN: 0
; COMPUTE_PGM_RSRC2:USER_SGPR: 2
; COMPUTE_PGM_RSRC2:TRAP_HANDLER: 0
; COMPUTE_PGM_RSRC2:TGID_X_EN: 1
; COMPUTE_PGM_RSRC2:TGID_Y_EN: 0
; COMPUTE_PGM_RSRC2:TGID_Z_EN: 0
; COMPUTE_PGM_RSRC2:TIDIG_COMP_CNT: 0
; COMPUTE_PGM_RSRC3_GFX90A:ACCUM_OFFSET: 12
; COMPUTE_PGM_RSRC3_GFX90A:TG_SPLIT: 0
	.section	.text._ZN9rocsparseL18bsrxmvn_3x3_kernelILj256ELj8EdlifddEEvT3_20rocsparse_direction_NS_24const_host_device_scalarIT1_EES1_PKS1_PKT2_SA_S7_PKT4_PKT5_S5_PT6_21rocsparse_index_base_b,"axG",@progbits,_ZN9rocsparseL18bsrxmvn_3x3_kernelILj256ELj8EdlifddEEvT3_20rocsparse_direction_NS_24const_host_device_scalarIT1_EES1_PKS1_PKT2_SA_S7_PKT4_PKT5_S5_PT6_21rocsparse_index_base_b,comdat
	.globl	_ZN9rocsparseL18bsrxmvn_3x3_kernelILj256ELj8EdlifddEEvT3_20rocsparse_direction_NS_24const_host_device_scalarIT1_EES1_PKS1_PKT2_SA_S7_PKT4_PKT5_S5_PT6_21rocsparse_index_base_b ; -- Begin function _ZN9rocsparseL18bsrxmvn_3x3_kernelILj256ELj8EdlifddEEvT3_20rocsparse_direction_NS_24const_host_device_scalarIT1_EES1_PKS1_PKT2_SA_S7_PKT4_PKT5_S5_PT6_21rocsparse_index_base_b
	.p2align	8
	.type	_ZN9rocsparseL18bsrxmvn_3x3_kernelILj256ELj8EdlifddEEvT3_20rocsparse_direction_NS_24const_host_device_scalarIT1_EES1_PKS1_PKT2_SA_S7_PKT4_PKT5_S5_PT6_21rocsparse_index_base_b,@function
_ZN9rocsparseL18bsrxmvn_3x3_kernelILj256ELj8EdlifddEEvT3_20rocsparse_direction_NS_24const_host_device_scalarIT1_EES1_PKS1_PKT2_SA_S7_PKT4_PKT5_S5_PT6_21rocsparse_index_base_b: ; @_ZN9rocsparseL18bsrxmvn_3x3_kernelILj256ELj8EdlifddEEvT3_20rocsparse_direction_NS_24const_host_device_scalarIT1_EES1_PKS1_PKT2_SA_S7_PKT4_PKT5_S5_PT6_21rocsparse_index_base_b
; %bb.0:
	s_load_dwordx2 s[12:13], s[0:1], 0x58
	s_load_dwordx2 s[8:9], s[0:1], 0x8
	;; [unrolled: 1-line block ×3, first 2 shown]
	s_waitcnt lgkmcnt(0)
	s_bitcmp1_b32 s13, 0
	s_cselect_b64 s[10:11], -1, 0
	s_xor_b64 s[6:7], s[10:11], -1
	s_and_b64 vcc, exec, s[10:11]
	v_mov_b64_e32 v[6:7], s[8:9]
	s_cbranch_vccnz .LBB156_2
; %bb.1:
	v_mov_b64_e32 v[2:3], s[8:9]
	flat_load_dwordx2 v[6:7], v[2:3]
.LBB156_2:
	s_andn2_b64 vcc, exec, s[6:7]
	v_mov_b64_e32 v[4:5], s[4:5]
	s_cbranch_vccnz .LBB156_4
; %bb.3:
	v_mov_b64_e32 v[2:3], s[4:5]
	flat_load_dwordx2 v[4:5], v[2:3]
.LBB156_4:
	s_waitcnt vmcnt(0) lgkmcnt(0)
	v_cmp_neq_f64_e32 vcc, 0, v[6:7]
	v_cmp_neq_f64_e64 s[4:5], 1.0, v[4:5]
	s_mov_b64 s[6:7], 0
	s_or_b64 s[4:5], vcc, s[4:5]
	s_and_saveexec_b64 s[8:9], s[4:5]
	s_cbranch_execz .LBB156_10
; %bb.5:
	s_load_dwordx2 s[4:5], s[0:1], 0x18
	s_load_dwordx2 s[14:15], s[0:1], 0x0
	v_lshrrev_b32_e32 v1, 3, v0
	v_lshl_or_b32 v2, s2, 5, v1
	s_mov_b64 s[2:3], 0
	s_waitcnt lgkmcnt(0)
	s_cmp_lg_u64 s[4:5], 0
	s_cbranch_scc0 .LBB156_11
; %bb.6:
	s_load_dword s6, s[0:1], 0x10
                                        ; implicit-def: $vgpr1
	s_waitcnt lgkmcnt(0)
	v_cmp_gt_i32_e32 vcc, s6, v2
	s_and_saveexec_b64 s[6:7], vcc
	s_xor_b64 s[6:7], exec, s[6:7]
	s_cbranch_execz .LBB156_8
; %bb.7:
	v_ashrrev_i32_e32 v3, 31, v2
	v_lshl_add_u64 v[8:9], v[2:3], 2, s[4:5]
	global_load_dword v1, v[8:9], off
	s_mov_b64 s[2:3], exec
	s_waitcnt vmcnt(0)
	v_subrev_u32_e32 v1, s12, v1
.LBB156_8:
	s_or_b64 exec, exec, s[6:7]
	s_mov_b64 s[6:7], s[2:3]
	s_branch .LBB156_12
.LBB156_9:
	v_cmp_gt_i32_e32 vcc, s14, v2
	s_andn2_b64 s[2:3], s[6:7], exec
	s_and_b64 s[4:5], vcc, exec
	s_or_b64 s[6:7], s[2:3], s[4:5]
	s_and_b64 exec, exec, s[6:7]
	s_cbranch_execnz .LBB156_13
.LBB156_10:
	s_endpgm
.LBB156_11:
                                        ; implicit-def: $vgpr1
	s_cbranch_execnz .LBB156_9
.LBB156_12:
	v_mov_b32_e32 v2, v1
	s_and_b64 exec, exec, s[6:7]
	s_cbranch_execz .LBB156_10
.LBB156_13:
	s_load_dwordx8 s[4:11], s[0:1], 0x20
	v_ashrrev_i32_e32 v3, 31, v2
	v_lshlrev_b64 v[8:9], 3, v[2:3]
	v_and_b32_e32 v0, 7, v0
	v_mov_b32_e32 v1, 0
	s_waitcnt lgkmcnt(0)
	v_lshl_add_u64 v[10:11], s[4:5], 0, v[8:9]
	global_load_dwordx2 v[12:13], v[10:11], off
	s_cmp_eq_u64 s[6:7], 0
	v_lshl_add_u64 v[8:9], s[6:7], 0, v[8:9]
	v_lshl_add_u64 v[10:11], v[10:11], 0, 8
	s_cselect_b64 vcc, -1, 0
	v_cndmask_b32_e32 v9, v9, v11, vcc
	v_cndmask_b32_e32 v8, v8, v10, vcc
	global_load_dwordx2 v[8:9], v[8:9], off
	s_load_dwordx2 s[4:5], s[0:1], 0x40
	s_cmp_eq_u32 s15, 1
	s_waitcnt vmcnt(1)
	v_subrev_co_u32_e32 v10, vcc, s12, v12
	s_nop 1
	v_subbrev_co_u32_e32 v11, vcc, 0, v13, vcc
	v_lshl_add_u64 v[10:11], v[10:11], 0, v[0:1]
	v_mad_u64_u32 v[14:15], s[2:3], v10, 36, s[10:11]
	s_waitcnt vmcnt(0)
	v_subrev_co_u32_e32 v12, vcc, s12, v8
	v_mov_b32_e32 v8, v15
	s_nop 0
	v_subbrev_co_u32_e32 v13, vcc, 0, v9, vcc
	v_mad_u64_u32 v[8:9], s[2:3], v11, 36, v[8:9]
	v_mov_b32_e32 v15, v8
	v_cmp_lt_i64_e64 s[2:3], v[10:11], v[12:13]
	s_cbranch_scc1 .LBB156_19
; %bb.14:
	v_mov_b64_e32 v[8:9], 0
	s_mov_b64 s[6:7], 0
	v_mov_b64_e32 v[16:17], v[8:9]
	v_mov_b64_e32 v[18:19], v[8:9]
	s_and_saveexec_b64 s[10:11], s[2:3]
	s_cbranch_execz .LBB156_18
; %bb.15:
	v_mov_b64_e32 v[8:9], 0
	v_lshl_add_u64 v[20:21], v[10:11], 2, s[8:9]
	s_mov_b64 s[14:15], 0
	s_mov_b64 s[16:17], 0x120
	v_mov_b64_e32 v[22:23], v[14:15]
	v_mov_b64_e32 v[24:25], v[10:11]
	;; [unrolled: 1-line block ×4, first 2 shown]
.LBB156_16:                             ; =>This Inner Loop Header: Depth=1
	global_load_dword v1, v[20:21], off
	global_load_dwordx4 v[26:29], v[22:23], off
	global_load_dwordx4 v[30:33], v[22:23], off offset:16
	v_lshl_add_u64 v[24:25], v[24:25], 0, 8
	v_cmp_ge_i64_e32 vcc, v[24:25], v[12:13]
	v_lshl_add_u64 v[20:21], v[20:21], 0, 32
	s_or_b64 s[14:15], vcc, s[14:15]
	s_waitcnt vmcnt(2)
	v_subrev_u32_e32 v1, s12, v1
	v_lshl_add_u32 v34, v1, 1, v1
	v_ashrrev_i32_e32 v35, 31, v34
	s_waitcnt lgkmcnt(0)
	v_lshl_add_u64 v[38:39], v[34:35], 3, s[4:5]
	global_load_dwordx2 v[40:41], v[38:39], off offset:16
	global_load_dwordx4 v[34:37], v[38:39], off
	global_load_dword v1, v[22:23], off offset:32
	s_waitcnt vmcnt(4)
	v_cvt_f64_f32_e32 v[38:39], v26
	v_cvt_f64_f32_e32 v[42:43], v28
	;; [unrolled: 1-line block ×3, first 2 shown]
	s_waitcnt vmcnt(3)
	v_cvt_f64_f32_e32 v[46:47], v32
	v_cvt_f64_f32_e32 v[26:27], v27
	;; [unrolled: 1-line block ×5, first 2 shown]
	v_lshl_add_u64 v[22:23], v[22:23], 0, s[16:17]
	s_waitcnt vmcnt(1)
	v_fmac_f64_e32 v[18:19], v[38:39], v[34:35]
	v_fmac_f64_e32 v[16:17], v[28:29], v[34:35]
	;; [unrolled: 1-line block ×3, first 2 shown]
	s_waitcnt vmcnt(0)
	v_cvt_f64_f32_e32 v[48:49], v1
	v_fmac_f64_e32 v[18:19], v[26:27], v[36:37]
	v_fmac_f64_e32 v[16:17], v[44:45], v[36:37]
	;; [unrolled: 1-line block ×6, first 2 shown]
	s_andn2_b64 exec, exec, s[14:15]
	s_cbranch_execnz .LBB156_16
; %bb.17:
	s_or_b64 exec, exec, s[14:15]
.LBB156_18:
	s_or_b64 exec, exec, s[10:11]
	s_andn2_b64 vcc, exec, s[6:7]
	s_cbranch_vccz .LBB156_20
	s_branch .LBB156_25
.LBB156_19:
                                        ; implicit-def: $vgpr8_vgpr9
                                        ; implicit-def: $vgpr16_vgpr17
                                        ; implicit-def: $vgpr18_vgpr19
.LBB156_20:
	v_mov_b64_e32 v[8:9], 0
	v_mov_b64_e32 v[16:17], v[8:9]
	;; [unrolled: 1-line block ×3, first 2 shown]
	s_and_saveexec_b64 s[6:7], s[2:3]
	s_cbranch_execz .LBB156_24
; %bb.21:
	v_mov_b64_e32 v[8:9], 0
	v_lshl_add_u64 v[20:21], v[10:11], 2, s[8:9]
	s_mov_b64 s[2:3], 0
	s_mov_b64 s[8:9], 0x120
	v_mov_b64_e32 v[16:17], v[8:9]
	v_mov_b64_e32 v[18:19], v[8:9]
.LBB156_22:                             ; =>This Inner Loop Header: Depth=1
	global_load_dword v1, v[20:21], off
	global_load_dwordx4 v[22:25], v[14:15], off
	global_load_dwordx4 v[26:29], v[14:15], off offset:16
	v_lshl_add_u64 v[10:11], v[10:11], 0, 8
	v_cmp_ge_i64_e32 vcc, v[10:11], v[12:13]
	v_lshl_add_u64 v[20:21], v[20:21], 0, 32
	s_or_b64 s[2:3], vcc, s[2:3]
	s_waitcnt vmcnt(2)
	v_subrev_u32_e32 v1, s12, v1
	v_lshl_add_u32 v30, v1, 1, v1
	v_ashrrev_i32_e32 v31, 31, v30
	s_waitcnt lgkmcnt(0)
	v_lshl_add_u64 v[34:35], v[30:31], 3, s[4:5]
	global_load_dwordx2 v[36:37], v[34:35], off offset:16
	global_load_dwordx4 v[30:33], v[34:35], off
	global_load_dword v1, v[14:15], off offset:32
	s_waitcnt vmcnt(4)
	v_cvt_f64_f32_e32 v[34:35], v22
	v_cvt_f64_f32_e32 v[22:23], v23
	;; [unrolled: 1-line block ×4, first 2 shown]
	s_waitcnt vmcnt(3)
	v_cvt_f64_f32_e32 v[40:41], v26
	v_cvt_f64_f32_e32 v[26:27], v27
	;; [unrolled: 1-line block ×4, first 2 shown]
	v_lshl_add_u64 v[14:15], v[14:15], 0, s[8:9]
	s_waitcnt vmcnt(1)
	v_fmac_f64_e32 v[18:19], v[34:35], v[30:31]
	v_fmac_f64_e32 v[16:17], v[22:23], v[30:31]
	;; [unrolled: 1-line block ×3, first 2 shown]
	s_waitcnt vmcnt(0)
	v_cvt_f64_f32_e32 v[44:45], v1
	v_fmac_f64_e32 v[18:19], v[24:25], v[32:33]
	v_fmac_f64_e32 v[16:17], v[40:41], v[32:33]
	;; [unrolled: 1-line block ×6, first 2 shown]
	s_andn2_b64 exec, exec, s[2:3]
	s_cbranch_execnz .LBB156_22
; %bb.23:
	s_or_b64 exec, exec, s[2:3]
.LBB156_24:
	s_or_b64 exec, exec, s[6:7]
.LBB156_25:
	v_mov_b32_dpp v10, v18 row_shr:1 row_mask:0xf bank_mask:0xf
	v_mov_b32_dpp v11, v19 row_shr:1 row_mask:0xf bank_mask:0xf
	v_add_f64 v[10:11], v[18:19], v[10:11]
	v_mov_b32_dpp v14, v16 row_shr:1 row_mask:0xf bank_mask:0xf
	v_mov_b32_dpp v15, v17 row_shr:1 row_mask:0xf bank_mask:0xf
	;; [unrolled: 1-line block ×4, first 2 shown]
	v_add_f64 v[14:15], v[16:17], v[14:15]
	v_add_f64 v[8:9], v[8:9], v[18:19]
	v_mov_b32_dpp v12, v10 row_shr:2 row_mask:0xf bank_mask:0xf
	v_mov_b32_dpp v13, v11 row_shr:2 row_mask:0xf bank_mask:0xf
	;; [unrolled: 1-line block ×6, first 2 shown]
	v_add_f64 v[10:11], v[10:11], v[12:13]
	v_add_f64 v[14:15], v[14:15], v[16:17]
	;; [unrolled: 1-line block ×3, first 2 shown]
	v_mov_b32_dpp v12, v10 row_shr:4 row_mask:0xf bank_mask:0xe
	v_mov_b32_dpp v13, v11 row_shr:4 row_mask:0xf bank_mask:0xe
	;; [unrolled: 1-line block ×6, first 2 shown]
	v_cmp_eq_u32_e32 vcc, 7, v0
	s_and_b64 exec, exec, vcc
	s_cbranch_execz .LBB156_10
; %bb.26:
	s_load_dwordx2 s[0:1], s[0:1], 0x50
	v_add_f64 v[0:1], v[10:11], v[12:13]
	v_add_f64 v[10:11], v[14:15], v[16:17]
	;; [unrolled: 1-line block ×3, first 2 shown]
	v_lshl_add_u32 v8, v2, 1, v2
	v_cmp_eq_f64_e32 vcc, 0, v[4:5]
	v_mul_f64 v[0:1], v[6:7], v[0:1]
	v_mul_f64 v[2:3], v[6:7], v[10:11]
	;; [unrolled: 1-line block ×3, first 2 shown]
	v_ashrrev_i32_e32 v9, 31, v8
	s_and_saveexec_b64 s[2:3], vcc
	s_xor_b64 s[2:3], exec, s[2:3]
	s_cbranch_execz .LBB156_28
; %bb.27:
	s_waitcnt lgkmcnt(0)
	v_lshl_add_u64 v[4:5], v[8:9], 3, s[0:1]
	global_store_dwordx4 v[4:5], v[0:3], off
	global_store_dwordx2 v[4:5], v[6:7], off offset:16
                                        ; implicit-def: $vgpr8
                                        ; implicit-def: $vgpr4_vgpr5
                                        ; implicit-def: $vgpr0_vgpr1
                                        ; implicit-def: $vgpr6_vgpr7
.LBB156_28:
	s_andn2_saveexec_b64 s[2:3], s[2:3]
	s_cbranch_execz .LBB156_10
; %bb.29:
	s_waitcnt lgkmcnt(0)
	v_lshl_add_u64 v[12:13], v[8:9], 3, s[0:1]
	global_load_dwordx4 v[8:11], v[12:13], off
	global_load_dwordx2 v[14:15], v[12:13], off offset:16
	s_waitcnt vmcnt(1)
	v_fmac_f64_e32 v[0:1], v[4:5], v[8:9]
	v_fmac_f64_e32 v[2:3], v[4:5], v[10:11]
	s_waitcnt vmcnt(0)
	v_fmac_f64_e32 v[6:7], v[4:5], v[14:15]
	global_store_dwordx4 v[12:13], v[0:3], off
	global_store_dwordx2 v[12:13], v[6:7], off offset:16
	s_endpgm
	.section	.rodata,"a",@progbits
	.p2align	6, 0x0
	.amdhsa_kernel _ZN9rocsparseL18bsrxmvn_3x3_kernelILj256ELj8EdlifddEEvT3_20rocsparse_direction_NS_24const_host_device_scalarIT1_EES1_PKS1_PKT2_SA_S7_PKT4_PKT5_S5_PT6_21rocsparse_index_base_b
		.amdhsa_group_segment_fixed_size 0
		.amdhsa_private_segment_fixed_size 0
		.amdhsa_kernarg_size 96
		.amdhsa_user_sgpr_count 2
		.amdhsa_user_sgpr_dispatch_ptr 0
		.amdhsa_user_sgpr_queue_ptr 0
		.amdhsa_user_sgpr_kernarg_segment_ptr 1
		.amdhsa_user_sgpr_dispatch_id 0
		.amdhsa_user_sgpr_kernarg_preload_length 0
		.amdhsa_user_sgpr_kernarg_preload_offset 0
		.amdhsa_user_sgpr_private_segment_size 0
		.amdhsa_uses_dynamic_stack 0
		.amdhsa_enable_private_segment 0
		.amdhsa_system_sgpr_workgroup_id_x 1
		.amdhsa_system_sgpr_workgroup_id_y 0
		.amdhsa_system_sgpr_workgroup_id_z 0
		.amdhsa_system_sgpr_workgroup_info 0
		.amdhsa_system_vgpr_workitem_id 0
		.amdhsa_next_free_vgpr 50
		.amdhsa_next_free_sgpr 18
		.amdhsa_accum_offset 52
		.amdhsa_reserve_vcc 1
		.amdhsa_float_round_mode_32 0
		.amdhsa_float_round_mode_16_64 0
		.amdhsa_float_denorm_mode_32 3
		.amdhsa_float_denorm_mode_16_64 3
		.amdhsa_dx10_clamp 1
		.amdhsa_ieee_mode 1
		.amdhsa_fp16_overflow 0
		.amdhsa_tg_split 0
		.amdhsa_exception_fp_ieee_invalid_op 0
		.amdhsa_exception_fp_denorm_src 0
		.amdhsa_exception_fp_ieee_div_zero 0
		.amdhsa_exception_fp_ieee_overflow 0
		.amdhsa_exception_fp_ieee_underflow 0
		.amdhsa_exception_fp_ieee_inexact 0
		.amdhsa_exception_int_div_zero 0
	.end_amdhsa_kernel
	.section	.text._ZN9rocsparseL18bsrxmvn_3x3_kernelILj256ELj8EdlifddEEvT3_20rocsparse_direction_NS_24const_host_device_scalarIT1_EES1_PKS1_PKT2_SA_S7_PKT4_PKT5_S5_PT6_21rocsparse_index_base_b,"axG",@progbits,_ZN9rocsparseL18bsrxmvn_3x3_kernelILj256ELj8EdlifddEEvT3_20rocsparse_direction_NS_24const_host_device_scalarIT1_EES1_PKS1_PKT2_SA_S7_PKT4_PKT5_S5_PT6_21rocsparse_index_base_b,comdat
.Lfunc_end156:
	.size	_ZN9rocsparseL18bsrxmvn_3x3_kernelILj256ELj8EdlifddEEvT3_20rocsparse_direction_NS_24const_host_device_scalarIT1_EES1_PKS1_PKT2_SA_S7_PKT4_PKT5_S5_PT6_21rocsparse_index_base_b, .Lfunc_end156-_ZN9rocsparseL18bsrxmvn_3x3_kernelILj256ELj8EdlifddEEvT3_20rocsparse_direction_NS_24const_host_device_scalarIT1_EES1_PKS1_PKT2_SA_S7_PKT4_PKT5_S5_PT6_21rocsparse_index_base_b
                                        ; -- End function
	.section	.AMDGPU.csdata,"",@progbits
; Kernel info:
; codeLenInByte = 1408
; NumSgprs: 24
; NumVgprs: 50
; NumAgprs: 0
; TotalNumVgprs: 50
; ScratchSize: 0
; MemoryBound: 0
; FloatMode: 240
; IeeeMode: 1
; LDSByteSize: 0 bytes/workgroup (compile time only)
; SGPRBlocks: 2
; VGPRBlocks: 6
; NumSGPRsForWavesPerEU: 24
; NumVGPRsForWavesPerEU: 50
; AccumOffset: 52
; Occupancy: 8
; WaveLimiterHint : 1
; COMPUTE_PGM_RSRC2:SCRATCH_EN: 0
; COMPUTE_PGM_RSRC2:USER_SGPR: 2
; COMPUTE_PGM_RSRC2:TRAP_HANDLER: 0
; COMPUTE_PGM_RSRC2:TGID_X_EN: 1
; COMPUTE_PGM_RSRC2:TGID_Y_EN: 0
; COMPUTE_PGM_RSRC2:TGID_Z_EN: 0
; COMPUTE_PGM_RSRC2:TIDIG_COMP_CNT: 0
; COMPUTE_PGM_RSRC3_GFX90A:ACCUM_OFFSET: 12
; COMPUTE_PGM_RSRC3_GFX90A:TG_SPLIT: 0
	.section	.text._ZN9rocsparseL18bsrxmvn_3x3_kernelILj256ELj16EdlifddEEvT3_20rocsparse_direction_NS_24const_host_device_scalarIT1_EES1_PKS1_PKT2_SA_S7_PKT4_PKT5_S5_PT6_21rocsparse_index_base_b,"axG",@progbits,_ZN9rocsparseL18bsrxmvn_3x3_kernelILj256ELj16EdlifddEEvT3_20rocsparse_direction_NS_24const_host_device_scalarIT1_EES1_PKS1_PKT2_SA_S7_PKT4_PKT5_S5_PT6_21rocsparse_index_base_b,comdat
	.globl	_ZN9rocsparseL18bsrxmvn_3x3_kernelILj256ELj16EdlifddEEvT3_20rocsparse_direction_NS_24const_host_device_scalarIT1_EES1_PKS1_PKT2_SA_S7_PKT4_PKT5_S5_PT6_21rocsparse_index_base_b ; -- Begin function _ZN9rocsparseL18bsrxmvn_3x3_kernelILj256ELj16EdlifddEEvT3_20rocsparse_direction_NS_24const_host_device_scalarIT1_EES1_PKS1_PKT2_SA_S7_PKT4_PKT5_S5_PT6_21rocsparse_index_base_b
	.p2align	8
	.type	_ZN9rocsparseL18bsrxmvn_3x3_kernelILj256ELj16EdlifddEEvT3_20rocsparse_direction_NS_24const_host_device_scalarIT1_EES1_PKS1_PKT2_SA_S7_PKT4_PKT5_S5_PT6_21rocsparse_index_base_b,@function
_ZN9rocsparseL18bsrxmvn_3x3_kernelILj256ELj16EdlifddEEvT3_20rocsparse_direction_NS_24const_host_device_scalarIT1_EES1_PKS1_PKT2_SA_S7_PKT4_PKT5_S5_PT6_21rocsparse_index_base_b: ; @_ZN9rocsparseL18bsrxmvn_3x3_kernelILj256ELj16EdlifddEEvT3_20rocsparse_direction_NS_24const_host_device_scalarIT1_EES1_PKS1_PKT2_SA_S7_PKT4_PKT5_S5_PT6_21rocsparse_index_base_b
; %bb.0:
	s_load_dwordx2 s[12:13], s[0:1], 0x58
	s_load_dwordx2 s[8:9], s[0:1], 0x8
	;; [unrolled: 1-line block ×3, first 2 shown]
	s_waitcnt lgkmcnt(0)
	s_bitcmp1_b32 s13, 0
	s_cselect_b64 s[10:11], -1, 0
	s_xor_b64 s[6:7], s[10:11], -1
	s_and_b64 vcc, exec, s[10:11]
	v_mov_b64_e32 v[6:7], s[8:9]
	s_cbranch_vccnz .LBB157_2
; %bb.1:
	v_mov_b64_e32 v[2:3], s[8:9]
	flat_load_dwordx2 v[6:7], v[2:3]
.LBB157_2:
	s_andn2_b64 vcc, exec, s[6:7]
	v_mov_b64_e32 v[4:5], s[4:5]
	s_cbranch_vccnz .LBB157_4
; %bb.3:
	v_mov_b64_e32 v[2:3], s[4:5]
	flat_load_dwordx2 v[4:5], v[2:3]
.LBB157_4:
	s_waitcnt vmcnt(0) lgkmcnt(0)
	v_cmp_neq_f64_e32 vcc, 0, v[6:7]
	v_cmp_neq_f64_e64 s[4:5], 1.0, v[4:5]
	s_mov_b64 s[6:7], 0
	s_or_b64 s[4:5], vcc, s[4:5]
	s_and_saveexec_b64 s[8:9], s[4:5]
	s_cbranch_execz .LBB157_10
; %bb.5:
	s_load_dwordx2 s[4:5], s[0:1], 0x18
	s_load_dwordx2 s[14:15], s[0:1], 0x0
	v_lshrrev_b32_e32 v1, 4, v0
	v_lshl_or_b32 v2, s2, 4, v1
	s_mov_b64 s[2:3], 0
	s_waitcnt lgkmcnt(0)
	s_cmp_lg_u64 s[4:5], 0
	s_cbranch_scc0 .LBB157_11
; %bb.6:
	s_load_dword s6, s[0:1], 0x10
                                        ; implicit-def: $vgpr1
	s_waitcnt lgkmcnt(0)
	v_cmp_gt_i32_e32 vcc, s6, v2
	s_and_saveexec_b64 s[6:7], vcc
	s_xor_b64 s[6:7], exec, s[6:7]
	s_cbranch_execz .LBB157_8
; %bb.7:
	v_ashrrev_i32_e32 v3, 31, v2
	v_lshl_add_u64 v[8:9], v[2:3], 2, s[4:5]
	global_load_dword v1, v[8:9], off
	s_mov_b64 s[2:3], exec
	s_waitcnt vmcnt(0)
	v_subrev_u32_e32 v1, s12, v1
.LBB157_8:
	s_or_b64 exec, exec, s[6:7]
	s_mov_b64 s[6:7], s[2:3]
	s_branch .LBB157_12
.LBB157_9:
	v_cmp_gt_i32_e32 vcc, s14, v2
	s_andn2_b64 s[2:3], s[6:7], exec
	s_and_b64 s[4:5], vcc, exec
	s_or_b64 s[6:7], s[2:3], s[4:5]
	s_and_b64 exec, exec, s[6:7]
	s_cbranch_execnz .LBB157_13
.LBB157_10:
	s_endpgm
.LBB157_11:
                                        ; implicit-def: $vgpr1
	s_cbranch_execnz .LBB157_9
.LBB157_12:
	v_mov_b32_e32 v2, v1
	s_and_b64 exec, exec, s[6:7]
	s_cbranch_execz .LBB157_10
.LBB157_13:
	s_load_dwordx8 s[4:11], s[0:1], 0x20
	v_ashrrev_i32_e32 v3, 31, v2
	v_lshlrev_b64 v[8:9], 3, v[2:3]
	v_and_b32_e32 v0, 15, v0
	v_mov_b32_e32 v1, 0
	s_waitcnt lgkmcnt(0)
	v_lshl_add_u64 v[10:11], s[4:5], 0, v[8:9]
	global_load_dwordx2 v[12:13], v[10:11], off
	s_cmp_eq_u64 s[6:7], 0
	v_lshl_add_u64 v[8:9], s[6:7], 0, v[8:9]
	v_lshl_add_u64 v[10:11], v[10:11], 0, 8
	s_cselect_b64 vcc, -1, 0
	v_cndmask_b32_e32 v9, v9, v11, vcc
	v_cndmask_b32_e32 v8, v8, v10, vcc
	global_load_dwordx2 v[8:9], v[8:9], off
	s_load_dwordx2 s[4:5], s[0:1], 0x40
	s_cmp_eq_u32 s15, 1
	s_waitcnt vmcnt(1)
	v_subrev_co_u32_e32 v10, vcc, s12, v12
	s_nop 1
	v_subbrev_co_u32_e32 v11, vcc, 0, v13, vcc
	v_lshl_add_u64 v[10:11], v[10:11], 0, v[0:1]
	v_mad_u64_u32 v[16:17], s[2:3], v10, 36, s[10:11]
	s_waitcnt vmcnt(0)
	v_subrev_co_u32_e32 v14, vcc, s12, v8
	v_mov_b32_e32 v8, v17
	s_nop 0
	v_subbrev_co_u32_e32 v15, vcc, 0, v9, vcc
	v_mad_u64_u32 v[8:9], s[2:3], v11, 36, v[8:9]
	v_mov_b32_e32 v17, v8
	v_cmp_lt_i64_e64 s[2:3], v[10:11], v[14:15]
	s_cbranch_scc1 .LBB157_19
; %bb.14:
	v_mov_b64_e32 v[8:9], 0
	s_mov_b64 s[6:7], 0
	v_mov_b64_e32 v[12:13], v[8:9]
	v_mov_b64_e32 v[18:19], v[8:9]
	s_and_saveexec_b64 s[10:11], s[2:3]
	s_cbranch_execz .LBB157_18
; %bb.15:
	v_mov_b64_e32 v[8:9], 0
	v_lshl_add_u64 v[20:21], v[10:11], 2, s[8:9]
	s_mov_b64 s[14:15], 0
	s_mov_b64 s[16:17], 0x240
	v_mov_b64_e32 v[22:23], v[16:17]
	v_mov_b64_e32 v[24:25], v[10:11]
	;; [unrolled: 1-line block ×4, first 2 shown]
.LBB157_16:                             ; =>This Inner Loop Header: Depth=1
	global_load_dword v1, v[20:21], off
	global_load_dwordx4 v[26:29], v[22:23], off
	global_load_dwordx4 v[30:33], v[22:23], off offset:16
	v_lshl_add_u64 v[24:25], v[24:25], 0, 16
	v_cmp_ge_i64_e32 vcc, v[24:25], v[14:15]
	v_lshl_add_u64 v[20:21], v[20:21], 0, 64
	s_or_b64 s[14:15], vcc, s[14:15]
	s_waitcnt vmcnt(2)
	v_subrev_u32_e32 v1, s12, v1
	v_lshl_add_u32 v34, v1, 1, v1
	v_ashrrev_i32_e32 v35, 31, v34
	s_waitcnt lgkmcnt(0)
	v_lshl_add_u64 v[38:39], v[34:35], 3, s[4:5]
	global_load_dwordx2 v[40:41], v[38:39], off offset:16
	global_load_dwordx4 v[34:37], v[38:39], off
	global_load_dword v1, v[22:23], off offset:32
	s_waitcnt vmcnt(4)
	v_cvt_f64_f32_e32 v[38:39], v26
	v_cvt_f64_f32_e32 v[42:43], v28
	;; [unrolled: 1-line block ×3, first 2 shown]
	s_waitcnt vmcnt(3)
	v_cvt_f64_f32_e32 v[46:47], v32
	v_cvt_f64_f32_e32 v[26:27], v27
	v_cvt_f64_f32_e32 v[44:45], v30
	v_cvt_f64_f32_e32 v[32:33], v33
	v_cvt_f64_f32_e32 v[30:31], v31
	v_lshl_add_u64 v[22:23], v[22:23], 0, s[16:17]
	s_waitcnt vmcnt(1)
	v_fmac_f64_e32 v[18:19], v[38:39], v[34:35]
	v_fmac_f64_e32 v[12:13], v[28:29], v[34:35]
	;; [unrolled: 1-line block ×3, first 2 shown]
	s_waitcnt vmcnt(0)
	v_cvt_f64_f32_e32 v[48:49], v1
	v_fmac_f64_e32 v[18:19], v[26:27], v[36:37]
	v_fmac_f64_e32 v[12:13], v[44:45], v[36:37]
	;; [unrolled: 1-line block ×6, first 2 shown]
	s_andn2_b64 exec, exec, s[14:15]
	s_cbranch_execnz .LBB157_16
; %bb.17:
	s_or_b64 exec, exec, s[14:15]
.LBB157_18:
	s_or_b64 exec, exec, s[10:11]
	s_andn2_b64 vcc, exec, s[6:7]
	s_cbranch_vccz .LBB157_20
	s_branch .LBB157_25
.LBB157_19:
                                        ; implicit-def: $vgpr8_vgpr9
                                        ; implicit-def: $vgpr12_vgpr13
                                        ; implicit-def: $vgpr18_vgpr19
.LBB157_20:
	v_mov_b64_e32 v[8:9], 0
	v_mov_b64_e32 v[12:13], v[8:9]
	;; [unrolled: 1-line block ×3, first 2 shown]
	s_and_saveexec_b64 s[6:7], s[2:3]
	s_cbranch_execz .LBB157_24
; %bb.21:
	v_mov_b64_e32 v[8:9], 0
	v_lshl_add_u64 v[20:21], v[10:11], 2, s[8:9]
	s_mov_b64 s[2:3], 0
	s_mov_b64 s[8:9], 0x240
	v_mov_b64_e32 v[12:13], v[8:9]
	v_mov_b64_e32 v[18:19], v[8:9]
.LBB157_22:                             ; =>This Inner Loop Header: Depth=1
	global_load_dword v1, v[20:21], off
	global_load_dwordx4 v[22:25], v[16:17], off
	global_load_dwordx4 v[26:29], v[16:17], off offset:16
	v_lshl_add_u64 v[10:11], v[10:11], 0, 16
	v_cmp_ge_i64_e32 vcc, v[10:11], v[14:15]
	v_lshl_add_u64 v[20:21], v[20:21], 0, 64
	s_or_b64 s[2:3], vcc, s[2:3]
	s_waitcnt vmcnt(2)
	v_subrev_u32_e32 v1, s12, v1
	v_lshl_add_u32 v30, v1, 1, v1
	v_ashrrev_i32_e32 v31, 31, v30
	s_waitcnt lgkmcnt(0)
	v_lshl_add_u64 v[34:35], v[30:31], 3, s[4:5]
	global_load_dwordx2 v[36:37], v[34:35], off offset:16
	global_load_dwordx4 v[30:33], v[34:35], off
	global_load_dword v1, v[16:17], off offset:32
	s_waitcnt vmcnt(4)
	v_cvt_f64_f32_e32 v[34:35], v22
	v_cvt_f64_f32_e32 v[22:23], v23
	;; [unrolled: 1-line block ×4, first 2 shown]
	s_waitcnt vmcnt(3)
	v_cvt_f64_f32_e32 v[40:41], v26
	v_cvt_f64_f32_e32 v[26:27], v27
	v_cvt_f64_f32_e32 v[42:43], v28
	v_cvt_f64_f32_e32 v[28:29], v29
	v_lshl_add_u64 v[16:17], v[16:17], 0, s[8:9]
	s_waitcnt vmcnt(1)
	v_fmac_f64_e32 v[18:19], v[34:35], v[30:31]
	v_fmac_f64_e32 v[12:13], v[22:23], v[30:31]
	;; [unrolled: 1-line block ×3, first 2 shown]
	s_waitcnt vmcnt(0)
	v_cvt_f64_f32_e32 v[44:45], v1
	v_fmac_f64_e32 v[18:19], v[24:25], v[32:33]
	v_fmac_f64_e32 v[12:13], v[40:41], v[32:33]
	v_fmac_f64_e32 v[8:9], v[26:27], v[32:33]
	v_fmac_f64_e32 v[18:19], v[42:43], v[36:37]
	v_fmac_f64_e32 v[12:13], v[28:29], v[36:37]
	v_fmac_f64_e32 v[8:9], v[44:45], v[36:37]
	s_andn2_b64 exec, exec, s[2:3]
	s_cbranch_execnz .LBB157_22
; %bb.23:
	s_or_b64 exec, exec, s[2:3]
.LBB157_24:
	s_or_b64 exec, exec, s[6:7]
.LBB157_25:
	v_mov_b32_dpp v10, v18 row_shr:1 row_mask:0xf bank_mask:0xf
	v_mov_b32_dpp v11, v19 row_shr:1 row_mask:0xf bank_mask:0xf
	v_add_f64 v[10:11], v[18:19], v[10:11]
	v_mov_b32_dpp v16, v12 row_shr:1 row_mask:0xf bank_mask:0xf
	v_mov_b32_dpp v17, v13 row_shr:1 row_mask:0xf bank_mask:0xf
	;; [unrolled: 1-line block ×4, first 2 shown]
	v_add_f64 v[12:13], v[12:13], v[16:17]
	v_add_f64 v[8:9], v[8:9], v[18:19]
	v_mov_b32_dpp v14, v10 row_shr:2 row_mask:0xf bank_mask:0xf
	v_mov_b32_dpp v15, v11 row_shr:2 row_mask:0xf bank_mask:0xf
	;; [unrolled: 1-line block ×6, first 2 shown]
	v_add_f64 v[10:11], v[10:11], v[14:15]
	v_add_f64 v[12:13], v[12:13], v[16:17]
	;; [unrolled: 1-line block ×3, first 2 shown]
	v_mov_b32_dpp v14, v10 row_shr:4 row_mask:0xf bank_mask:0xe
	v_mov_b32_dpp v15, v11 row_shr:4 row_mask:0xf bank_mask:0xe
	;; [unrolled: 1-line block ×6, first 2 shown]
	v_add_f64 v[10:11], v[10:11], v[14:15]
	v_add_f64 v[12:13], v[12:13], v[16:17]
	;; [unrolled: 1-line block ×3, first 2 shown]
	v_mov_b32_dpp v14, v10 row_shr:8 row_mask:0xf bank_mask:0xc
	v_mov_b32_dpp v15, v11 row_shr:8 row_mask:0xf bank_mask:0xc
	;; [unrolled: 1-line block ×6, first 2 shown]
	v_cmp_eq_u32_e32 vcc, 15, v0
	s_and_b64 exec, exec, vcc
	s_cbranch_execz .LBB157_10
; %bb.26:
	s_load_dwordx2 s[0:1], s[0:1], 0x50
	v_add_f64 v[0:1], v[10:11], v[14:15]
	v_add_f64 v[10:11], v[12:13], v[16:17]
	;; [unrolled: 1-line block ×3, first 2 shown]
	v_lshl_add_u32 v8, v2, 1, v2
	v_cmp_eq_f64_e32 vcc, 0, v[4:5]
	v_mul_f64 v[0:1], v[6:7], v[0:1]
	v_mul_f64 v[2:3], v[6:7], v[10:11]
	;; [unrolled: 1-line block ×3, first 2 shown]
	v_ashrrev_i32_e32 v9, 31, v8
	s_and_saveexec_b64 s[2:3], vcc
	s_xor_b64 s[2:3], exec, s[2:3]
	s_cbranch_execz .LBB157_28
; %bb.27:
	s_waitcnt lgkmcnt(0)
	v_lshl_add_u64 v[4:5], v[8:9], 3, s[0:1]
	global_store_dwordx4 v[4:5], v[0:3], off
	global_store_dwordx2 v[4:5], v[6:7], off offset:16
                                        ; implicit-def: $vgpr8
                                        ; implicit-def: $vgpr4_vgpr5
                                        ; implicit-def: $vgpr0_vgpr1
                                        ; implicit-def: $vgpr6_vgpr7
.LBB157_28:
	s_andn2_saveexec_b64 s[2:3], s[2:3]
	s_cbranch_execz .LBB157_10
; %bb.29:
	s_waitcnt lgkmcnt(0)
	v_lshl_add_u64 v[12:13], v[8:9], 3, s[0:1]
	global_load_dwordx4 v[8:11], v[12:13], off
	global_load_dwordx2 v[14:15], v[12:13], off offset:16
	s_waitcnt vmcnt(1)
	v_fmac_f64_e32 v[0:1], v[4:5], v[8:9]
	v_fmac_f64_e32 v[2:3], v[4:5], v[10:11]
	s_waitcnt vmcnt(0)
	v_fmac_f64_e32 v[6:7], v[4:5], v[14:15]
	global_store_dwordx4 v[12:13], v[0:3], off
	global_store_dwordx2 v[12:13], v[6:7], off offset:16
	s_endpgm
	.section	.rodata,"a",@progbits
	.p2align	6, 0x0
	.amdhsa_kernel _ZN9rocsparseL18bsrxmvn_3x3_kernelILj256ELj16EdlifddEEvT3_20rocsparse_direction_NS_24const_host_device_scalarIT1_EES1_PKS1_PKT2_SA_S7_PKT4_PKT5_S5_PT6_21rocsparse_index_base_b
		.amdhsa_group_segment_fixed_size 0
		.amdhsa_private_segment_fixed_size 0
		.amdhsa_kernarg_size 96
		.amdhsa_user_sgpr_count 2
		.amdhsa_user_sgpr_dispatch_ptr 0
		.amdhsa_user_sgpr_queue_ptr 0
		.amdhsa_user_sgpr_kernarg_segment_ptr 1
		.amdhsa_user_sgpr_dispatch_id 0
		.amdhsa_user_sgpr_kernarg_preload_length 0
		.amdhsa_user_sgpr_kernarg_preload_offset 0
		.amdhsa_user_sgpr_private_segment_size 0
		.amdhsa_uses_dynamic_stack 0
		.amdhsa_enable_private_segment 0
		.amdhsa_system_sgpr_workgroup_id_x 1
		.amdhsa_system_sgpr_workgroup_id_y 0
		.amdhsa_system_sgpr_workgroup_id_z 0
		.amdhsa_system_sgpr_workgroup_info 0
		.amdhsa_system_vgpr_workitem_id 0
		.amdhsa_next_free_vgpr 50
		.amdhsa_next_free_sgpr 18
		.amdhsa_accum_offset 52
		.amdhsa_reserve_vcc 1
		.amdhsa_float_round_mode_32 0
		.amdhsa_float_round_mode_16_64 0
		.amdhsa_float_denorm_mode_32 3
		.amdhsa_float_denorm_mode_16_64 3
		.amdhsa_dx10_clamp 1
		.amdhsa_ieee_mode 1
		.amdhsa_fp16_overflow 0
		.amdhsa_tg_split 0
		.amdhsa_exception_fp_ieee_invalid_op 0
		.amdhsa_exception_fp_denorm_src 0
		.amdhsa_exception_fp_ieee_div_zero 0
		.amdhsa_exception_fp_ieee_overflow 0
		.amdhsa_exception_fp_ieee_underflow 0
		.amdhsa_exception_fp_ieee_inexact 0
		.amdhsa_exception_int_div_zero 0
	.end_amdhsa_kernel
	.section	.text._ZN9rocsparseL18bsrxmvn_3x3_kernelILj256ELj16EdlifddEEvT3_20rocsparse_direction_NS_24const_host_device_scalarIT1_EES1_PKS1_PKT2_SA_S7_PKT4_PKT5_S5_PT6_21rocsparse_index_base_b,"axG",@progbits,_ZN9rocsparseL18bsrxmvn_3x3_kernelILj256ELj16EdlifddEEvT3_20rocsparse_direction_NS_24const_host_device_scalarIT1_EES1_PKS1_PKT2_SA_S7_PKT4_PKT5_S5_PT6_21rocsparse_index_base_b,comdat
.Lfunc_end157:
	.size	_ZN9rocsparseL18bsrxmvn_3x3_kernelILj256ELj16EdlifddEEvT3_20rocsparse_direction_NS_24const_host_device_scalarIT1_EES1_PKS1_PKT2_SA_S7_PKT4_PKT5_S5_PT6_21rocsparse_index_base_b, .Lfunc_end157-_ZN9rocsparseL18bsrxmvn_3x3_kernelILj256ELj16EdlifddEEvT3_20rocsparse_direction_NS_24const_host_device_scalarIT1_EES1_PKS1_PKT2_SA_S7_PKT4_PKT5_S5_PT6_21rocsparse_index_base_b
                                        ; -- End function
	.section	.AMDGPU.csdata,"",@progbits
; Kernel info:
; codeLenInByte = 1480
; NumSgprs: 24
; NumVgprs: 50
; NumAgprs: 0
; TotalNumVgprs: 50
; ScratchSize: 0
; MemoryBound: 0
; FloatMode: 240
; IeeeMode: 1
; LDSByteSize: 0 bytes/workgroup (compile time only)
; SGPRBlocks: 2
; VGPRBlocks: 6
; NumSGPRsForWavesPerEU: 24
; NumVGPRsForWavesPerEU: 50
; AccumOffset: 52
; Occupancy: 8
; WaveLimiterHint : 1
; COMPUTE_PGM_RSRC2:SCRATCH_EN: 0
; COMPUTE_PGM_RSRC2:USER_SGPR: 2
; COMPUTE_PGM_RSRC2:TRAP_HANDLER: 0
; COMPUTE_PGM_RSRC2:TGID_X_EN: 1
; COMPUTE_PGM_RSRC2:TGID_Y_EN: 0
; COMPUTE_PGM_RSRC2:TGID_Z_EN: 0
; COMPUTE_PGM_RSRC2:TIDIG_COMP_CNT: 0
; COMPUTE_PGM_RSRC3_GFX90A:ACCUM_OFFSET: 12
; COMPUTE_PGM_RSRC3_GFX90A:TG_SPLIT: 0
	.section	.text._ZN9rocsparseL18bsrxmvn_3x3_kernelILj256ELj32EdlifddEEvT3_20rocsparse_direction_NS_24const_host_device_scalarIT1_EES1_PKS1_PKT2_SA_S7_PKT4_PKT5_S5_PT6_21rocsparse_index_base_b,"axG",@progbits,_ZN9rocsparseL18bsrxmvn_3x3_kernelILj256ELj32EdlifddEEvT3_20rocsparse_direction_NS_24const_host_device_scalarIT1_EES1_PKS1_PKT2_SA_S7_PKT4_PKT5_S5_PT6_21rocsparse_index_base_b,comdat
	.globl	_ZN9rocsparseL18bsrxmvn_3x3_kernelILj256ELj32EdlifddEEvT3_20rocsparse_direction_NS_24const_host_device_scalarIT1_EES1_PKS1_PKT2_SA_S7_PKT4_PKT5_S5_PT6_21rocsparse_index_base_b ; -- Begin function _ZN9rocsparseL18bsrxmvn_3x3_kernelILj256ELj32EdlifddEEvT3_20rocsparse_direction_NS_24const_host_device_scalarIT1_EES1_PKS1_PKT2_SA_S7_PKT4_PKT5_S5_PT6_21rocsparse_index_base_b
	.p2align	8
	.type	_ZN9rocsparseL18bsrxmvn_3x3_kernelILj256ELj32EdlifddEEvT3_20rocsparse_direction_NS_24const_host_device_scalarIT1_EES1_PKS1_PKT2_SA_S7_PKT4_PKT5_S5_PT6_21rocsparse_index_base_b,@function
_ZN9rocsparseL18bsrxmvn_3x3_kernelILj256ELj32EdlifddEEvT3_20rocsparse_direction_NS_24const_host_device_scalarIT1_EES1_PKS1_PKT2_SA_S7_PKT4_PKT5_S5_PT6_21rocsparse_index_base_b: ; @_ZN9rocsparseL18bsrxmvn_3x3_kernelILj256ELj32EdlifddEEvT3_20rocsparse_direction_NS_24const_host_device_scalarIT1_EES1_PKS1_PKT2_SA_S7_PKT4_PKT5_S5_PT6_21rocsparse_index_base_b
; %bb.0:
	s_load_dwordx2 s[12:13], s[0:1], 0x58
	s_load_dwordx2 s[8:9], s[0:1], 0x8
	;; [unrolled: 1-line block ×3, first 2 shown]
	s_waitcnt lgkmcnt(0)
	s_bitcmp1_b32 s13, 0
	s_cselect_b64 s[10:11], -1, 0
	s_xor_b64 s[6:7], s[10:11], -1
	s_and_b64 vcc, exec, s[10:11]
	v_mov_b64_e32 v[6:7], s[8:9]
	s_cbranch_vccnz .LBB158_2
; %bb.1:
	v_mov_b64_e32 v[2:3], s[8:9]
	flat_load_dwordx2 v[6:7], v[2:3]
.LBB158_2:
	s_andn2_b64 vcc, exec, s[6:7]
	v_mov_b64_e32 v[4:5], s[4:5]
	s_cbranch_vccnz .LBB158_4
; %bb.3:
	v_mov_b64_e32 v[2:3], s[4:5]
	flat_load_dwordx2 v[4:5], v[2:3]
.LBB158_4:
	s_waitcnt vmcnt(0) lgkmcnt(0)
	v_cmp_neq_f64_e32 vcc, 0, v[6:7]
	v_cmp_neq_f64_e64 s[4:5], 1.0, v[4:5]
	s_mov_b64 s[6:7], 0
	s_or_b64 s[4:5], vcc, s[4:5]
	s_and_saveexec_b64 s[8:9], s[4:5]
	s_cbranch_execz .LBB158_10
; %bb.5:
	s_load_dwordx2 s[4:5], s[0:1], 0x18
	s_load_dwordx2 s[14:15], s[0:1], 0x0
	v_lshrrev_b32_e32 v1, 5, v0
	v_lshl_or_b32 v2, s2, 3, v1
	s_mov_b64 s[2:3], 0
	s_waitcnt lgkmcnt(0)
	s_cmp_lg_u64 s[4:5], 0
	s_cbranch_scc0 .LBB158_11
; %bb.6:
	s_load_dword s6, s[0:1], 0x10
                                        ; implicit-def: $vgpr1
	s_waitcnt lgkmcnt(0)
	v_cmp_gt_i32_e32 vcc, s6, v2
	s_and_saveexec_b64 s[6:7], vcc
	s_xor_b64 s[6:7], exec, s[6:7]
	s_cbranch_execz .LBB158_8
; %bb.7:
	v_ashrrev_i32_e32 v3, 31, v2
	v_lshl_add_u64 v[8:9], v[2:3], 2, s[4:5]
	global_load_dword v1, v[8:9], off
	s_mov_b64 s[2:3], exec
	s_waitcnt vmcnt(0)
	v_subrev_u32_e32 v1, s12, v1
.LBB158_8:
	s_or_b64 exec, exec, s[6:7]
	s_mov_b64 s[6:7], s[2:3]
	s_branch .LBB158_12
.LBB158_9:
	v_cmp_gt_i32_e32 vcc, s14, v2
	s_andn2_b64 s[2:3], s[6:7], exec
	s_and_b64 s[4:5], vcc, exec
	s_or_b64 s[6:7], s[2:3], s[4:5]
	s_and_b64 exec, exec, s[6:7]
	s_cbranch_execnz .LBB158_13
.LBB158_10:
	s_endpgm
.LBB158_11:
                                        ; implicit-def: $vgpr1
	s_cbranch_execnz .LBB158_9
.LBB158_12:
	v_mov_b32_e32 v2, v1
	s_and_b64 exec, exec, s[6:7]
	s_cbranch_execz .LBB158_10
.LBB158_13:
	s_load_dwordx8 s[4:11], s[0:1], 0x20
	v_ashrrev_i32_e32 v3, 31, v2
	v_lshlrev_b64 v[8:9], 3, v[2:3]
	v_and_b32_e32 v0, 31, v0
	v_mov_b32_e32 v1, 0
	s_waitcnt lgkmcnt(0)
	v_lshl_add_u64 v[10:11], s[4:5], 0, v[8:9]
	global_load_dwordx2 v[12:13], v[10:11], off
	s_cmp_eq_u64 s[6:7], 0
	v_lshl_add_u64 v[8:9], s[6:7], 0, v[8:9]
	v_lshl_add_u64 v[10:11], v[10:11], 0, 8
	s_cselect_b64 vcc, -1, 0
	v_cndmask_b32_e32 v9, v9, v11, vcc
	v_cndmask_b32_e32 v8, v8, v10, vcc
	global_load_dwordx2 v[8:9], v[8:9], off
	s_load_dwordx2 s[4:5], s[0:1], 0x40
	s_cmp_eq_u32 s15, 1
	s_waitcnt vmcnt(1)
	v_subrev_co_u32_e32 v10, vcc, s12, v12
	s_nop 1
	v_subbrev_co_u32_e32 v11, vcc, 0, v13, vcc
	v_lshl_add_u64 v[12:13], v[10:11], 0, v[0:1]
	v_mad_u64_u32 v[16:17], s[2:3], v12, 36, s[10:11]
	s_waitcnt vmcnt(0)
	v_subrev_co_u32_e32 v14, vcc, s12, v8
	v_mov_b32_e32 v8, v17
	s_nop 0
	v_subbrev_co_u32_e32 v15, vcc, 0, v9, vcc
	v_mad_u64_u32 v[8:9], s[2:3], v13, 36, v[8:9]
	v_mov_b32_e32 v17, v8
	v_cmp_lt_i64_e64 s[2:3], v[12:13], v[14:15]
	s_cbranch_scc1 .LBB158_19
; %bb.14:
	v_mov_b64_e32 v[8:9], 0
	s_mov_b64 s[6:7], 0
	v_mov_b64_e32 v[10:11], v[8:9]
	v_mov_b64_e32 v[18:19], v[8:9]
	s_and_saveexec_b64 s[10:11], s[2:3]
	s_cbranch_execz .LBB158_18
; %bb.15:
	v_mov_b64_e32 v[8:9], 0
	v_lshl_add_u64 v[20:21], v[12:13], 2, s[8:9]
	s_mov_b64 s[14:15], 0
	s_mov_b64 s[16:17], 0x480
	;; [unrolled: 1-line block ×3, first 2 shown]
	v_mov_b64_e32 v[22:23], v[16:17]
	v_mov_b64_e32 v[24:25], v[12:13]
	;; [unrolled: 1-line block ×4, first 2 shown]
.LBB158_16:                             ; =>This Inner Loop Header: Depth=1
	global_load_dword v1, v[20:21], off
	global_load_dwordx4 v[26:29], v[22:23], off
	global_load_dwordx4 v[30:33], v[22:23], off offset:16
	v_lshl_add_u64 v[24:25], v[24:25], 0, 32
	v_cmp_ge_i64_e32 vcc, v[24:25], v[14:15]
	v_lshl_add_u64 v[20:21], v[20:21], 0, s[18:19]
	s_or_b64 s[14:15], vcc, s[14:15]
	s_waitcnt vmcnt(2)
	v_subrev_u32_e32 v1, s12, v1
	v_lshl_add_u32 v34, v1, 1, v1
	v_ashrrev_i32_e32 v35, 31, v34
	s_waitcnt lgkmcnt(0)
	v_lshl_add_u64 v[38:39], v[34:35], 3, s[4:5]
	global_load_dwordx2 v[40:41], v[38:39], off offset:16
	global_load_dwordx4 v[34:37], v[38:39], off
	global_load_dword v1, v[22:23], off offset:32
	s_waitcnt vmcnt(4)
	v_cvt_f64_f32_e32 v[38:39], v26
	v_cvt_f64_f32_e32 v[42:43], v28
	;; [unrolled: 1-line block ×3, first 2 shown]
	s_waitcnt vmcnt(3)
	v_cvt_f64_f32_e32 v[46:47], v32
	v_cvt_f64_f32_e32 v[26:27], v27
	;; [unrolled: 1-line block ×5, first 2 shown]
	v_lshl_add_u64 v[22:23], v[22:23], 0, s[16:17]
	s_waitcnt vmcnt(1)
	v_fmac_f64_e32 v[18:19], v[38:39], v[34:35]
	v_fmac_f64_e32 v[10:11], v[28:29], v[34:35]
	;; [unrolled: 1-line block ×3, first 2 shown]
	s_waitcnt vmcnt(0)
	v_cvt_f64_f32_e32 v[48:49], v1
	v_fmac_f64_e32 v[18:19], v[26:27], v[36:37]
	v_fmac_f64_e32 v[10:11], v[44:45], v[36:37]
	;; [unrolled: 1-line block ×6, first 2 shown]
	s_andn2_b64 exec, exec, s[14:15]
	s_cbranch_execnz .LBB158_16
; %bb.17:
	s_or_b64 exec, exec, s[14:15]
.LBB158_18:
	s_or_b64 exec, exec, s[10:11]
	s_andn2_b64 vcc, exec, s[6:7]
	s_cbranch_vccz .LBB158_20
	s_branch .LBB158_25
.LBB158_19:
                                        ; implicit-def: $vgpr8_vgpr9
                                        ; implicit-def: $vgpr10_vgpr11
                                        ; implicit-def: $vgpr18_vgpr19
.LBB158_20:
	v_mov_b64_e32 v[8:9], 0
	v_mov_b64_e32 v[10:11], v[8:9]
	;; [unrolled: 1-line block ×3, first 2 shown]
	s_and_saveexec_b64 s[6:7], s[2:3]
	s_cbranch_execz .LBB158_24
; %bb.21:
	v_mov_b64_e32 v[8:9], 0
	v_lshl_add_u64 v[20:21], v[12:13], 2, s[8:9]
	s_mov_b64 s[2:3], 0
	s_mov_b64 s[8:9], 0x480
	;; [unrolled: 1-line block ×3, first 2 shown]
	v_mov_b64_e32 v[10:11], v[8:9]
	v_mov_b64_e32 v[18:19], v[8:9]
.LBB158_22:                             ; =>This Inner Loop Header: Depth=1
	global_load_dword v1, v[20:21], off
	global_load_dwordx4 v[22:25], v[16:17], off
	global_load_dwordx4 v[26:29], v[16:17], off offset:16
	v_lshl_add_u64 v[12:13], v[12:13], 0, 32
	v_cmp_ge_i64_e32 vcc, v[12:13], v[14:15]
	v_lshl_add_u64 v[20:21], v[20:21], 0, s[10:11]
	s_or_b64 s[2:3], vcc, s[2:3]
	s_waitcnt vmcnt(2)
	v_subrev_u32_e32 v1, s12, v1
	v_lshl_add_u32 v30, v1, 1, v1
	v_ashrrev_i32_e32 v31, 31, v30
	s_waitcnt lgkmcnt(0)
	v_lshl_add_u64 v[34:35], v[30:31], 3, s[4:5]
	global_load_dwordx2 v[36:37], v[34:35], off offset:16
	global_load_dwordx4 v[30:33], v[34:35], off
	global_load_dword v1, v[16:17], off offset:32
	s_waitcnt vmcnt(4)
	v_cvt_f64_f32_e32 v[34:35], v22
	v_cvt_f64_f32_e32 v[22:23], v23
	;; [unrolled: 1-line block ×4, first 2 shown]
	s_waitcnt vmcnt(3)
	v_cvt_f64_f32_e32 v[40:41], v26
	v_cvt_f64_f32_e32 v[26:27], v27
	;; [unrolled: 1-line block ×4, first 2 shown]
	v_lshl_add_u64 v[16:17], v[16:17], 0, s[8:9]
	s_waitcnt vmcnt(1)
	v_fmac_f64_e32 v[18:19], v[34:35], v[30:31]
	v_fmac_f64_e32 v[10:11], v[22:23], v[30:31]
	;; [unrolled: 1-line block ×3, first 2 shown]
	s_waitcnt vmcnt(0)
	v_cvt_f64_f32_e32 v[44:45], v1
	v_fmac_f64_e32 v[18:19], v[24:25], v[32:33]
	v_fmac_f64_e32 v[10:11], v[40:41], v[32:33]
	;; [unrolled: 1-line block ×6, first 2 shown]
	s_andn2_b64 exec, exec, s[2:3]
	s_cbranch_execnz .LBB158_22
; %bb.23:
	s_or_b64 exec, exec, s[2:3]
.LBB158_24:
	s_or_b64 exec, exec, s[6:7]
.LBB158_25:
	v_mov_b32_dpp v12, v18 row_shr:1 row_mask:0xf bank_mask:0xf
	v_mov_b32_dpp v13, v19 row_shr:1 row_mask:0xf bank_mask:0xf
	v_add_f64 v[12:13], v[18:19], v[12:13]
	v_mov_b32_dpp v16, v10 row_shr:1 row_mask:0xf bank_mask:0xf
	v_mov_b32_dpp v17, v11 row_shr:1 row_mask:0xf bank_mask:0xf
	v_mov_b32_dpp v18, v8 row_shr:1 row_mask:0xf bank_mask:0xf
	v_mov_b32_dpp v19, v9 row_shr:1 row_mask:0xf bank_mask:0xf
	v_add_f64 v[10:11], v[10:11], v[16:17]
	v_add_f64 v[8:9], v[8:9], v[18:19]
	v_mov_b32_dpp v14, v12 row_shr:2 row_mask:0xf bank_mask:0xf
	v_mov_b32_dpp v15, v13 row_shr:2 row_mask:0xf bank_mask:0xf
	v_mov_b32_dpp v16, v10 row_shr:2 row_mask:0xf bank_mask:0xf
	v_mov_b32_dpp v17, v11 row_shr:2 row_mask:0xf bank_mask:0xf
	v_mov_b32_dpp v18, v8 row_shr:2 row_mask:0xf bank_mask:0xf
	v_mov_b32_dpp v19, v9 row_shr:2 row_mask:0xf bank_mask:0xf
	v_add_f64 v[12:13], v[12:13], v[14:15]
	v_add_f64 v[10:11], v[10:11], v[16:17]
	v_add_f64 v[8:9], v[8:9], v[18:19]
	v_mov_b32_dpp v14, v12 row_shr:4 row_mask:0xf bank_mask:0xe
	v_mov_b32_dpp v15, v13 row_shr:4 row_mask:0xf bank_mask:0xe
	v_mov_b32_dpp v16, v10 row_shr:4 row_mask:0xf bank_mask:0xe
	v_mov_b32_dpp v17, v11 row_shr:4 row_mask:0xf bank_mask:0xe
	v_mov_b32_dpp v18, v8 row_shr:4 row_mask:0xf bank_mask:0xe
	v_mov_b32_dpp v19, v9 row_shr:4 row_mask:0xf bank_mask:0xe
	v_add_f64 v[12:13], v[12:13], v[14:15]
	;; [unrolled: 9-line block ×3, first 2 shown]
	v_add_f64 v[10:11], v[10:11], v[16:17]
	v_add_f64 v[8:9], v[8:9], v[18:19]
	v_mov_b32_dpp v14, v12 row_bcast:15 row_mask:0xa bank_mask:0xf
	v_mov_b32_dpp v15, v13 row_bcast:15 row_mask:0xa bank_mask:0xf
	;; [unrolled: 1-line block ×6, first 2 shown]
	v_cmp_eq_u32_e32 vcc, 31, v0
	s_and_b64 exec, exec, vcc
	s_cbranch_execz .LBB158_10
; %bb.26:
	s_load_dwordx2 s[0:1], s[0:1], 0x50
	v_add_f64 v[0:1], v[12:13], v[14:15]
	v_add_f64 v[10:11], v[10:11], v[16:17]
	v_add_f64 v[12:13], v[8:9], v[18:19]
	v_lshl_add_u32 v8, v2, 1, v2
	v_cmp_eq_f64_e32 vcc, 0, v[4:5]
	v_mul_f64 v[0:1], v[6:7], v[0:1]
	v_mul_f64 v[2:3], v[6:7], v[10:11]
	;; [unrolled: 1-line block ×3, first 2 shown]
	v_ashrrev_i32_e32 v9, 31, v8
	s_and_saveexec_b64 s[2:3], vcc
	s_xor_b64 s[2:3], exec, s[2:3]
	s_cbranch_execz .LBB158_28
; %bb.27:
	s_waitcnt lgkmcnt(0)
	v_lshl_add_u64 v[4:5], v[8:9], 3, s[0:1]
	global_store_dwordx4 v[4:5], v[0:3], off
	global_store_dwordx2 v[4:5], v[6:7], off offset:16
                                        ; implicit-def: $vgpr8
                                        ; implicit-def: $vgpr4_vgpr5
                                        ; implicit-def: $vgpr0_vgpr1
                                        ; implicit-def: $vgpr6_vgpr7
.LBB158_28:
	s_andn2_saveexec_b64 s[2:3], s[2:3]
	s_cbranch_execz .LBB158_10
; %bb.29:
	s_waitcnt lgkmcnt(0)
	v_lshl_add_u64 v[12:13], v[8:9], 3, s[0:1]
	global_load_dwordx4 v[8:11], v[12:13], off
	global_load_dwordx2 v[14:15], v[12:13], off offset:16
	s_waitcnt vmcnt(1)
	v_fmac_f64_e32 v[0:1], v[4:5], v[8:9]
	v_fmac_f64_e32 v[2:3], v[4:5], v[10:11]
	s_waitcnt vmcnt(0)
	v_fmac_f64_e32 v[6:7], v[4:5], v[14:15]
	global_store_dwordx4 v[12:13], v[0:3], off
	global_store_dwordx2 v[12:13], v[6:7], off offset:16
	s_endpgm
	.section	.rodata,"a",@progbits
	.p2align	6, 0x0
	.amdhsa_kernel _ZN9rocsparseL18bsrxmvn_3x3_kernelILj256ELj32EdlifddEEvT3_20rocsparse_direction_NS_24const_host_device_scalarIT1_EES1_PKS1_PKT2_SA_S7_PKT4_PKT5_S5_PT6_21rocsparse_index_base_b
		.amdhsa_group_segment_fixed_size 0
		.amdhsa_private_segment_fixed_size 0
		.amdhsa_kernarg_size 96
		.amdhsa_user_sgpr_count 2
		.amdhsa_user_sgpr_dispatch_ptr 0
		.amdhsa_user_sgpr_queue_ptr 0
		.amdhsa_user_sgpr_kernarg_segment_ptr 1
		.amdhsa_user_sgpr_dispatch_id 0
		.amdhsa_user_sgpr_kernarg_preload_length 0
		.amdhsa_user_sgpr_kernarg_preload_offset 0
		.amdhsa_user_sgpr_private_segment_size 0
		.amdhsa_uses_dynamic_stack 0
		.amdhsa_enable_private_segment 0
		.amdhsa_system_sgpr_workgroup_id_x 1
		.amdhsa_system_sgpr_workgroup_id_y 0
		.amdhsa_system_sgpr_workgroup_id_z 0
		.amdhsa_system_sgpr_workgroup_info 0
		.amdhsa_system_vgpr_workitem_id 0
		.amdhsa_next_free_vgpr 50
		.amdhsa_next_free_sgpr 20
		.amdhsa_accum_offset 52
		.amdhsa_reserve_vcc 1
		.amdhsa_float_round_mode_32 0
		.amdhsa_float_round_mode_16_64 0
		.amdhsa_float_denorm_mode_32 3
		.amdhsa_float_denorm_mode_16_64 3
		.amdhsa_dx10_clamp 1
		.amdhsa_ieee_mode 1
		.amdhsa_fp16_overflow 0
		.amdhsa_tg_split 0
		.amdhsa_exception_fp_ieee_invalid_op 0
		.amdhsa_exception_fp_denorm_src 0
		.amdhsa_exception_fp_ieee_div_zero 0
		.amdhsa_exception_fp_ieee_overflow 0
		.amdhsa_exception_fp_ieee_underflow 0
		.amdhsa_exception_fp_ieee_inexact 0
		.amdhsa_exception_int_div_zero 0
	.end_amdhsa_kernel
	.section	.text._ZN9rocsparseL18bsrxmvn_3x3_kernelILj256ELj32EdlifddEEvT3_20rocsparse_direction_NS_24const_host_device_scalarIT1_EES1_PKS1_PKT2_SA_S7_PKT4_PKT5_S5_PT6_21rocsparse_index_base_b,"axG",@progbits,_ZN9rocsparseL18bsrxmvn_3x3_kernelILj256ELj32EdlifddEEvT3_20rocsparse_direction_NS_24const_host_device_scalarIT1_EES1_PKS1_PKT2_SA_S7_PKT4_PKT5_S5_PT6_21rocsparse_index_base_b,comdat
.Lfunc_end158:
	.size	_ZN9rocsparseL18bsrxmvn_3x3_kernelILj256ELj32EdlifddEEvT3_20rocsparse_direction_NS_24const_host_device_scalarIT1_EES1_PKS1_PKT2_SA_S7_PKT4_PKT5_S5_PT6_21rocsparse_index_base_b, .Lfunc_end158-_ZN9rocsparseL18bsrxmvn_3x3_kernelILj256ELj32EdlifddEEvT3_20rocsparse_direction_NS_24const_host_device_scalarIT1_EES1_PKS1_PKT2_SA_S7_PKT4_PKT5_S5_PT6_21rocsparse_index_base_b
                                        ; -- End function
	.section	.AMDGPU.csdata,"",@progbits
; Kernel info:
; codeLenInByte = 1568
; NumSgprs: 26
; NumVgprs: 50
; NumAgprs: 0
; TotalNumVgprs: 50
; ScratchSize: 0
; MemoryBound: 0
; FloatMode: 240
; IeeeMode: 1
; LDSByteSize: 0 bytes/workgroup (compile time only)
; SGPRBlocks: 3
; VGPRBlocks: 6
; NumSGPRsForWavesPerEU: 26
; NumVGPRsForWavesPerEU: 50
; AccumOffset: 52
; Occupancy: 8
; WaveLimiterHint : 1
; COMPUTE_PGM_RSRC2:SCRATCH_EN: 0
; COMPUTE_PGM_RSRC2:USER_SGPR: 2
; COMPUTE_PGM_RSRC2:TRAP_HANDLER: 0
; COMPUTE_PGM_RSRC2:TGID_X_EN: 1
; COMPUTE_PGM_RSRC2:TGID_Y_EN: 0
; COMPUTE_PGM_RSRC2:TGID_Z_EN: 0
; COMPUTE_PGM_RSRC2:TIDIG_COMP_CNT: 0
; COMPUTE_PGM_RSRC3_GFX90A:ACCUM_OFFSET: 12
; COMPUTE_PGM_RSRC3_GFX90A:TG_SPLIT: 0
	.section	.text._ZN9rocsparseL18bsrxmvn_3x3_kernelILj256ELj64EdlifddEEvT3_20rocsparse_direction_NS_24const_host_device_scalarIT1_EES1_PKS1_PKT2_SA_S7_PKT4_PKT5_S5_PT6_21rocsparse_index_base_b,"axG",@progbits,_ZN9rocsparseL18bsrxmvn_3x3_kernelILj256ELj64EdlifddEEvT3_20rocsparse_direction_NS_24const_host_device_scalarIT1_EES1_PKS1_PKT2_SA_S7_PKT4_PKT5_S5_PT6_21rocsparse_index_base_b,comdat
	.globl	_ZN9rocsparseL18bsrxmvn_3x3_kernelILj256ELj64EdlifddEEvT3_20rocsparse_direction_NS_24const_host_device_scalarIT1_EES1_PKS1_PKT2_SA_S7_PKT4_PKT5_S5_PT6_21rocsparse_index_base_b ; -- Begin function _ZN9rocsparseL18bsrxmvn_3x3_kernelILj256ELj64EdlifddEEvT3_20rocsparse_direction_NS_24const_host_device_scalarIT1_EES1_PKS1_PKT2_SA_S7_PKT4_PKT5_S5_PT6_21rocsparse_index_base_b
	.p2align	8
	.type	_ZN9rocsparseL18bsrxmvn_3x3_kernelILj256ELj64EdlifddEEvT3_20rocsparse_direction_NS_24const_host_device_scalarIT1_EES1_PKS1_PKT2_SA_S7_PKT4_PKT5_S5_PT6_21rocsparse_index_base_b,@function
_ZN9rocsparseL18bsrxmvn_3x3_kernelILj256ELj64EdlifddEEvT3_20rocsparse_direction_NS_24const_host_device_scalarIT1_EES1_PKS1_PKT2_SA_S7_PKT4_PKT5_S5_PT6_21rocsparse_index_base_b: ; @_ZN9rocsparseL18bsrxmvn_3x3_kernelILj256ELj64EdlifddEEvT3_20rocsparse_direction_NS_24const_host_device_scalarIT1_EES1_PKS1_PKT2_SA_S7_PKT4_PKT5_S5_PT6_21rocsparse_index_base_b
; %bb.0:
	s_load_dwordx2 s[12:13], s[0:1], 0x58
	s_load_dwordx2 s[8:9], s[0:1], 0x8
	;; [unrolled: 1-line block ×3, first 2 shown]
	s_waitcnt lgkmcnt(0)
	s_bitcmp1_b32 s13, 0
	s_cselect_b64 s[10:11], -1, 0
	s_xor_b64 s[6:7], s[10:11], -1
	s_and_b64 vcc, exec, s[10:11]
	v_mov_b64_e32 v[6:7], s[8:9]
	s_cbranch_vccnz .LBB159_2
; %bb.1:
	v_mov_b64_e32 v[2:3], s[8:9]
	flat_load_dwordx2 v[6:7], v[2:3]
.LBB159_2:
	s_andn2_b64 vcc, exec, s[6:7]
	v_mov_b64_e32 v[4:5], s[4:5]
	s_cbranch_vccnz .LBB159_4
; %bb.3:
	v_mov_b64_e32 v[2:3], s[4:5]
	flat_load_dwordx2 v[4:5], v[2:3]
.LBB159_4:
	s_waitcnt vmcnt(0) lgkmcnt(0)
	v_cmp_neq_f64_e32 vcc, 0, v[6:7]
	v_cmp_neq_f64_e64 s[4:5], 1.0, v[4:5]
	s_mov_b64 s[6:7], 0
	s_or_b64 s[4:5], vcc, s[4:5]
	s_and_saveexec_b64 s[8:9], s[4:5]
	s_cbranch_execz .LBB159_10
; %bb.5:
	s_load_dwordx2 s[4:5], s[0:1], 0x18
	s_load_dwordx2 s[14:15], s[0:1], 0x0
	v_lshrrev_b32_e32 v1, 6, v0
	v_lshl_or_b32 v2, s2, 2, v1
	s_mov_b64 s[2:3], 0
	s_waitcnt lgkmcnt(0)
	s_cmp_lg_u64 s[4:5], 0
	s_cbranch_scc0 .LBB159_11
; %bb.6:
	s_load_dword s6, s[0:1], 0x10
                                        ; implicit-def: $vgpr1
	s_waitcnt lgkmcnt(0)
	v_cmp_gt_i32_e32 vcc, s6, v2
	s_and_saveexec_b64 s[6:7], vcc
	s_xor_b64 s[6:7], exec, s[6:7]
	s_cbranch_execz .LBB159_8
; %bb.7:
	v_ashrrev_i32_e32 v3, 31, v2
	v_lshl_add_u64 v[8:9], v[2:3], 2, s[4:5]
	global_load_dword v1, v[8:9], off
	s_mov_b64 s[2:3], exec
	s_waitcnt vmcnt(0)
	v_subrev_u32_e32 v1, s12, v1
.LBB159_8:
	s_or_b64 exec, exec, s[6:7]
	s_mov_b64 s[6:7], s[2:3]
	s_branch .LBB159_12
.LBB159_9:
	v_cmp_gt_i32_e32 vcc, s14, v2
	s_andn2_b64 s[2:3], s[6:7], exec
	s_and_b64 s[4:5], vcc, exec
	s_or_b64 s[6:7], s[2:3], s[4:5]
	s_and_b64 exec, exec, s[6:7]
	s_cbranch_execnz .LBB159_13
.LBB159_10:
	s_endpgm
.LBB159_11:
                                        ; implicit-def: $vgpr1
	s_cbranch_execnz .LBB159_9
.LBB159_12:
	v_mov_b32_e32 v2, v1
	s_and_b64 exec, exec, s[6:7]
	s_cbranch_execz .LBB159_10
.LBB159_13:
	s_load_dwordx8 s[4:11], s[0:1], 0x20
	v_ashrrev_i32_e32 v3, 31, v2
	v_lshlrev_b64 v[8:9], 3, v[2:3]
	v_and_b32_e32 v0, 63, v0
	v_mov_b32_e32 v1, 0
	s_waitcnt lgkmcnt(0)
	v_lshl_add_u64 v[10:11], s[4:5], 0, v[8:9]
	global_load_dwordx2 v[12:13], v[10:11], off
	s_cmp_eq_u64 s[6:7], 0
	v_lshl_add_u64 v[8:9], s[6:7], 0, v[8:9]
	v_lshl_add_u64 v[10:11], v[10:11], 0, 8
	s_cselect_b64 vcc, -1, 0
	v_cndmask_b32_e32 v9, v9, v11, vcc
	v_cndmask_b32_e32 v8, v8, v10, vcc
	global_load_dwordx2 v[8:9], v[8:9], off
	s_load_dwordx2 s[4:5], s[0:1], 0x40
	s_cmp_eq_u32 s15, 1
	s_waitcnt vmcnt(1)
	v_subrev_co_u32_e32 v10, vcc, s12, v12
	s_nop 1
	v_subbrev_co_u32_e32 v11, vcc, 0, v13, vcc
	v_lshl_add_u64 v[12:13], v[10:11], 0, v[0:1]
	v_mad_u64_u32 v[16:17], s[2:3], v12, 36, s[10:11]
	s_waitcnt vmcnt(0)
	v_subrev_co_u32_e32 v14, vcc, s12, v8
	v_mov_b32_e32 v8, v17
	s_nop 0
	v_subbrev_co_u32_e32 v15, vcc, 0, v9, vcc
	v_mad_u64_u32 v[8:9], s[2:3], v13, 36, v[8:9]
	v_mov_b32_e32 v17, v8
	v_cmp_lt_i64_e64 s[2:3], v[12:13], v[14:15]
	s_cbranch_scc1 .LBB159_19
; %bb.14:
	v_mov_b64_e32 v[8:9], 0
	s_mov_b64 s[6:7], 0
	v_mov_b64_e32 v[10:11], v[8:9]
	v_mov_b64_e32 v[18:19], v[8:9]
	s_and_saveexec_b64 s[10:11], s[2:3]
	s_cbranch_execz .LBB159_18
; %bb.15:
	v_mov_b64_e32 v[8:9], 0
	v_lshl_add_u64 v[20:21], v[12:13], 2, s[8:9]
	s_mov_b64 s[14:15], 0
	s_mov_b64 s[16:17], 0x900
	;; [unrolled: 1-line block ×3, first 2 shown]
	v_mov_b64_e32 v[22:23], v[16:17]
	v_mov_b64_e32 v[24:25], v[12:13]
	;; [unrolled: 1-line block ×4, first 2 shown]
.LBB159_16:                             ; =>This Inner Loop Header: Depth=1
	global_load_dword v1, v[20:21], off
	global_load_dwordx4 v[26:29], v[22:23], off
	global_load_dwordx4 v[30:33], v[22:23], off offset:16
	v_lshl_add_u64 v[24:25], v[24:25], 0, 64
	v_cmp_ge_i64_e32 vcc, v[24:25], v[14:15]
	v_lshl_add_u64 v[20:21], v[20:21], 0, s[18:19]
	s_or_b64 s[14:15], vcc, s[14:15]
	s_waitcnt vmcnt(2)
	v_subrev_u32_e32 v1, s12, v1
	v_lshl_add_u32 v34, v1, 1, v1
	v_ashrrev_i32_e32 v35, 31, v34
	s_waitcnt lgkmcnt(0)
	v_lshl_add_u64 v[38:39], v[34:35], 3, s[4:5]
	global_load_dwordx2 v[40:41], v[38:39], off offset:16
	global_load_dwordx4 v[34:37], v[38:39], off
	global_load_dword v1, v[22:23], off offset:32
	s_waitcnt vmcnt(4)
	v_cvt_f64_f32_e32 v[38:39], v26
	v_cvt_f64_f32_e32 v[42:43], v28
	;; [unrolled: 1-line block ×3, first 2 shown]
	s_waitcnt vmcnt(3)
	v_cvt_f64_f32_e32 v[46:47], v32
	v_cvt_f64_f32_e32 v[26:27], v27
	;; [unrolled: 1-line block ×5, first 2 shown]
	v_lshl_add_u64 v[22:23], v[22:23], 0, s[16:17]
	s_waitcnt vmcnt(1)
	v_fmac_f64_e32 v[18:19], v[38:39], v[34:35]
	v_fmac_f64_e32 v[10:11], v[28:29], v[34:35]
	;; [unrolled: 1-line block ×3, first 2 shown]
	s_waitcnt vmcnt(0)
	v_cvt_f64_f32_e32 v[48:49], v1
	v_fmac_f64_e32 v[18:19], v[26:27], v[36:37]
	v_fmac_f64_e32 v[10:11], v[44:45], v[36:37]
	;; [unrolled: 1-line block ×6, first 2 shown]
	s_andn2_b64 exec, exec, s[14:15]
	s_cbranch_execnz .LBB159_16
; %bb.17:
	s_or_b64 exec, exec, s[14:15]
.LBB159_18:
	s_or_b64 exec, exec, s[10:11]
	s_andn2_b64 vcc, exec, s[6:7]
	s_cbranch_vccz .LBB159_20
	s_branch .LBB159_25
.LBB159_19:
                                        ; implicit-def: $vgpr8_vgpr9
                                        ; implicit-def: $vgpr10_vgpr11
                                        ; implicit-def: $vgpr18_vgpr19
.LBB159_20:
	v_mov_b64_e32 v[8:9], 0
	v_mov_b64_e32 v[10:11], v[8:9]
	;; [unrolled: 1-line block ×3, first 2 shown]
	s_and_saveexec_b64 s[6:7], s[2:3]
	s_cbranch_execz .LBB159_24
; %bb.21:
	v_mov_b64_e32 v[8:9], 0
	v_lshl_add_u64 v[20:21], v[12:13], 2, s[8:9]
	s_mov_b64 s[2:3], 0
	s_mov_b64 s[8:9], 0x900
	;; [unrolled: 1-line block ×3, first 2 shown]
	v_mov_b64_e32 v[10:11], v[8:9]
	v_mov_b64_e32 v[18:19], v[8:9]
.LBB159_22:                             ; =>This Inner Loop Header: Depth=1
	global_load_dword v1, v[20:21], off
	global_load_dwordx4 v[22:25], v[16:17], off
	global_load_dwordx4 v[26:29], v[16:17], off offset:16
	v_lshl_add_u64 v[12:13], v[12:13], 0, 64
	v_cmp_ge_i64_e32 vcc, v[12:13], v[14:15]
	v_lshl_add_u64 v[20:21], v[20:21], 0, s[10:11]
	s_or_b64 s[2:3], vcc, s[2:3]
	s_waitcnt vmcnt(2)
	v_subrev_u32_e32 v1, s12, v1
	v_lshl_add_u32 v30, v1, 1, v1
	v_ashrrev_i32_e32 v31, 31, v30
	s_waitcnt lgkmcnt(0)
	v_lshl_add_u64 v[34:35], v[30:31], 3, s[4:5]
	global_load_dwordx2 v[36:37], v[34:35], off offset:16
	global_load_dwordx4 v[30:33], v[34:35], off
	global_load_dword v1, v[16:17], off offset:32
	s_waitcnt vmcnt(4)
	v_cvt_f64_f32_e32 v[34:35], v22
	v_cvt_f64_f32_e32 v[22:23], v23
	;; [unrolled: 1-line block ×4, first 2 shown]
	s_waitcnt vmcnt(3)
	v_cvt_f64_f32_e32 v[40:41], v26
	v_cvt_f64_f32_e32 v[26:27], v27
	;; [unrolled: 1-line block ×4, first 2 shown]
	v_lshl_add_u64 v[16:17], v[16:17], 0, s[8:9]
	s_waitcnt vmcnt(1)
	v_fmac_f64_e32 v[18:19], v[34:35], v[30:31]
	v_fmac_f64_e32 v[10:11], v[22:23], v[30:31]
	;; [unrolled: 1-line block ×3, first 2 shown]
	s_waitcnt vmcnt(0)
	v_cvt_f64_f32_e32 v[44:45], v1
	v_fmac_f64_e32 v[18:19], v[24:25], v[32:33]
	v_fmac_f64_e32 v[10:11], v[40:41], v[32:33]
	;; [unrolled: 1-line block ×6, first 2 shown]
	s_andn2_b64 exec, exec, s[2:3]
	s_cbranch_execnz .LBB159_22
; %bb.23:
	s_or_b64 exec, exec, s[2:3]
.LBB159_24:
	s_or_b64 exec, exec, s[6:7]
.LBB159_25:
	v_mov_b32_dpp v12, v18 row_shr:1 row_mask:0xf bank_mask:0xf
	v_mov_b32_dpp v13, v19 row_shr:1 row_mask:0xf bank_mask:0xf
	v_add_f64 v[12:13], v[18:19], v[12:13]
	v_mov_b32_dpp v16, v10 row_shr:1 row_mask:0xf bank_mask:0xf
	v_mov_b32_dpp v17, v11 row_shr:1 row_mask:0xf bank_mask:0xf
	;; [unrolled: 1-line block ×4, first 2 shown]
	v_add_f64 v[10:11], v[10:11], v[16:17]
	v_add_f64 v[8:9], v[8:9], v[18:19]
	v_mov_b32_dpp v14, v12 row_shr:2 row_mask:0xf bank_mask:0xf
	v_mov_b32_dpp v15, v13 row_shr:2 row_mask:0xf bank_mask:0xf
	v_mov_b32_dpp v16, v10 row_shr:2 row_mask:0xf bank_mask:0xf
	v_mov_b32_dpp v17, v11 row_shr:2 row_mask:0xf bank_mask:0xf
	v_mov_b32_dpp v18, v8 row_shr:2 row_mask:0xf bank_mask:0xf
	v_mov_b32_dpp v19, v9 row_shr:2 row_mask:0xf bank_mask:0xf
	v_add_f64 v[12:13], v[12:13], v[14:15]
	v_add_f64 v[10:11], v[10:11], v[16:17]
	v_add_f64 v[8:9], v[8:9], v[18:19]
	v_mov_b32_dpp v14, v12 row_shr:4 row_mask:0xf bank_mask:0xe
	v_mov_b32_dpp v15, v13 row_shr:4 row_mask:0xf bank_mask:0xe
	v_mov_b32_dpp v16, v10 row_shr:4 row_mask:0xf bank_mask:0xe
	v_mov_b32_dpp v17, v11 row_shr:4 row_mask:0xf bank_mask:0xe
	v_mov_b32_dpp v18, v8 row_shr:4 row_mask:0xf bank_mask:0xe
	v_mov_b32_dpp v19, v9 row_shr:4 row_mask:0xf bank_mask:0xe
	v_add_f64 v[12:13], v[12:13], v[14:15]
	v_add_f64 v[10:11], v[10:11], v[16:17]
	v_add_f64 v[8:9], v[8:9], v[18:19]
	v_mov_b32_dpp v14, v12 row_shr:8 row_mask:0xf bank_mask:0xc
	v_mov_b32_dpp v15, v13 row_shr:8 row_mask:0xf bank_mask:0xc
	v_mov_b32_dpp v16, v10 row_shr:8 row_mask:0xf bank_mask:0xc
	v_mov_b32_dpp v17, v11 row_shr:8 row_mask:0xf bank_mask:0xc
	v_mov_b32_dpp v18, v8 row_shr:8 row_mask:0xf bank_mask:0xc
	v_mov_b32_dpp v19, v9 row_shr:8 row_mask:0xf bank_mask:0xc
	v_add_f64 v[12:13], v[12:13], v[14:15]
	v_add_f64 v[10:11], v[10:11], v[16:17]
	v_add_f64 v[8:9], v[8:9], v[18:19]
	v_mov_b32_dpp v14, v12 row_bcast:15 row_mask:0xa bank_mask:0xf
	v_mov_b32_dpp v15, v13 row_bcast:15 row_mask:0xa bank_mask:0xf
	;; [unrolled: 1-line block ×6, first 2 shown]
	v_add_f64 v[12:13], v[12:13], v[14:15]
	v_add_f64 v[10:11], v[10:11], v[16:17]
	v_add_f64 v[8:9], v[8:9], v[18:19]
	v_mov_b32_dpp v14, v12 row_bcast:31 row_mask:0xc bank_mask:0xf
	v_mov_b32_dpp v15, v13 row_bcast:31 row_mask:0xc bank_mask:0xf
	;; [unrolled: 1-line block ×6, first 2 shown]
	v_cmp_eq_u32_e32 vcc, 63, v0
	s_and_b64 exec, exec, vcc
	s_cbranch_execz .LBB159_10
; %bb.26:
	s_load_dwordx2 s[0:1], s[0:1], 0x50
	v_add_f64 v[0:1], v[12:13], v[14:15]
	v_add_f64 v[10:11], v[10:11], v[16:17]
	;; [unrolled: 1-line block ×3, first 2 shown]
	v_lshl_add_u32 v8, v2, 1, v2
	v_cmp_eq_f64_e32 vcc, 0, v[4:5]
	v_mul_f64 v[0:1], v[6:7], v[0:1]
	v_mul_f64 v[2:3], v[6:7], v[10:11]
	v_mul_f64 v[6:7], v[6:7], v[12:13]
	v_ashrrev_i32_e32 v9, 31, v8
	s_and_saveexec_b64 s[2:3], vcc
	s_xor_b64 s[2:3], exec, s[2:3]
	s_cbranch_execz .LBB159_28
; %bb.27:
	s_waitcnt lgkmcnt(0)
	v_lshl_add_u64 v[4:5], v[8:9], 3, s[0:1]
	global_store_dwordx4 v[4:5], v[0:3], off
	global_store_dwordx2 v[4:5], v[6:7], off offset:16
                                        ; implicit-def: $vgpr8
                                        ; implicit-def: $vgpr4_vgpr5
                                        ; implicit-def: $vgpr0_vgpr1
                                        ; implicit-def: $vgpr6_vgpr7
.LBB159_28:
	s_andn2_saveexec_b64 s[2:3], s[2:3]
	s_cbranch_execz .LBB159_10
; %bb.29:
	s_waitcnt lgkmcnt(0)
	v_lshl_add_u64 v[12:13], v[8:9], 3, s[0:1]
	global_load_dwordx4 v[8:11], v[12:13], off
	global_load_dwordx2 v[14:15], v[12:13], off offset:16
	s_waitcnt vmcnt(1)
	v_fmac_f64_e32 v[0:1], v[4:5], v[8:9]
	v_fmac_f64_e32 v[2:3], v[4:5], v[10:11]
	s_waitcnt vmcnt(0)
	v_fmac_f64_e32 v[6:7], v[4:5], v[14:15]
	global_store_dwordx4 v[12:13], v[0:3], off
	global_store_dwordx2 v[12:13], v[6:7], off offset:16
	s_endpgm
	.section	.rodata,"a",@progbits
	.p2align	6, 0x0
	.amdhsa_kernel _ZN9rocsparseL18bsrxmvn_3x3_kernelILj256ELj64EdlifddEEvT3_20rocsparse_direction_NS_24const_host_device_scalarIT1_EES1_PKS1_PKT2_SA_S7_PKT4_PKT5_S5_PT6_21rocsparse_index_base_b
		.amdhsa_group_segment_fixed_size 0
		.amdhsa_private_segment_fixed_size 0
		.amdhsa_kernarg_size 96
		.amdhsa_user_sgpr_count 2
		.amdhsa_user_sgpr_dispatch_ptr 0
		.amdhsa_user_sgpr_queue_ptr 0
		.amdhsa_user_sgpr_kernarg_segment_ptr 1
		.amdhsa_user_sgpr_dispatch_id 0
		.amdhsa_user_sgpr_kernarg_preload_length 0
		.amdhsa_user_sgpr_kernarg_preload_offset 0
		.amdhsa_user_sgpr_private_segment_size 0
		.amdhsa_uses_dynamic_stack 0
		.amdhsa_enable_private_segment 0
		.amdhsa_system_sgpr_workgroup_id_x 1
		.amdhsa_system_sgpr_workgroup_id_y 0
		.amdhsa_system_sgpr_workgroup_id_z 0
		.amdhsa_system_sgpr_workgroup_info 0
		.amdhsa_system_vgpr_workitem_id 0
		.amdhsa_next_free_vgpr 50
		.amdhsa_next_free_sgpr 20
		.amdhsa_accum_offset 52
		.amdhsa_reserve_vcc 1
		.amdhsa_float_round_mode_32 0
		.amdhsa_float_round_mode_16_64 0
		.amdhsa_float_denorm_mode_32 3
		.amdhsa_float_denorm_mode_16_64 3
		.amdhsa_dx10_clamp 1
		.amdhsa_ieee_mode 1
		.amdhsa_fp16_overflow 0
		.amdhsa_tg_split 0
		.amdhsa_exception_fp_ieee_invalid_op 0
		.amdhsa_exception_fp_denorm_src 0
		.amdhsa_exception_fp_ieee_div_zero 0
		.amdhsa_exception_fp_ieee_overflow 0
		.amdhsa_exception_fp_ieee_underflow 0
		.amdhsa_exception_fp_ieee_inexact 0
		.amdhsa_exception_int_div_zero 0
	.end_amdhsa_kernel
	.section	.text._ZN9rocsparseL18bsrxmvn_3x3_kernelILj256ELj64EdlifddEEvT3_20rocsparse_direction_NS_24const_host_device_scalarIT1_EES1_PKS1_PKT2_SA_S7_PKT4_PKT5_S5_PT6_21rocsparse_index_base_b,"axG",@progbits,_ZN9rocsparseL18bsrxmvn_3x3_kernelILj256ELj64EdlifddEEvT3_20rocsparse_direction_NS_24const_host_device_scalarIT1_EES1_PKS1_PKT2_SA_S7_PKT4_PKT5_S5_PT6_21rocsparse_index_base_b,comdat
.Lfunc_end159:
	.size	_ZN9rocsparseL18bsrxmvn_3x3_kernelILj256ELj64EdlifddEEvT3_20rocsparse_direction_NS_24const_host_device_scalarIT1_EES1_PKS1_PKT2_SA_S7_PKT4_PKT5_S5_PT6_21rocsparse_index_base_b, .Lfunc_end159-_ZN9rocsparseL18bsrxmvn_3x3_kernelILj256ELj64EdlifddEEvT3_20rocsparse_direction_NS_24const_host_device_scalarIT1_EES1_PKS1_PKT2_SA_S7_PKT4_PKT5_S5_PT6_21rocsparse_index_base_b
                                        ; -- End function
	.section	.AMDGPU.csdata,"",@progbits
; Kernel info:
; codeLenInByte = 1640
; NumSgprs: 26
; NumVgprs: 50
; NumAgprs: 0
; TotalNumVgprs: 50
; ScratchSize: 0
; MemoryBound: 0
; FloatMode: 240
; IeeeMode: 1
; LDSByteSize: 0 bytes/workgroup (compile time only)
; SGPRBlocks: 3
; VGPRBlocks: 6
; NumSGPRsForWavesPerEU: 26
; NumVGPRsForWavesPerEU: 50
; AccumOffset: 52
; Occupancy: 8
; WaveLimiterHint : 1
; COMPUTE_PGM_RSRC2:SCRATCH_EN: 0
; COMPUTE_PGM_RSRC2:USER_SGPR: 2
; COMPUTE_PGM_RSRC2:TRAP_HANDLER: 0
; COMPUTE_PGM_RSRC2:TGID_X_EN: 1
; COMPUTE_PGM_RSRC2:TGID_Y_EN: 0
; COMPUTE_PGM_RSRC2:TGID_Z_EN: 0
; COMPUTE_PGM_RSRC2:TIDIG_COMP_CNT: 0
; COMPUTE_PGM_RSRC3_GFX90A:ACCUM_OFFSET: 12
; COMPUTE_PGM_RSRC3_GFX90A:TG_SPLIT: 0
	.section	.text._ZN9rocsparseL18bsrxmvn_3x3_kernelILj256ELj4EdllfddEEvT3_20rocsparse_direction_NS_24const_host_device_scalarIT1_EES1_PKS1_PKT2_SA_S7_PKT4_PKT5_S5_PT6_21rocsparse_index_base_b,"axG",@progbits,_ZN9rocsparseL18bsrxmvn_3x3_kernelILj256ELj4EdllfddEEvT3_20rocsparse_direction_NS_24const_host_device_scalarIT1_EES1_PKS1_PKT2_SA_S7_PKT4_PKT5_S5_PT6_21rocsparse_index_base_b,comdat
	.globl	_ZN9rocsparseL18bsrxmvn_3x3_kernelILj256ELj4EdllfddEEvT3_20rocsparse_direction_NS_24const_host_device_scalarIT1_EES1_PKS1_PKT2_SA_S7_PKT4_PKT5_S5_PT6_21rocsparse_index_base_b ; -- Begin function _ZN9rocsparseL18bsrxmvn_3x3_kernelILj256ELj4EdllfddEEvT3_20rocsparse_direction_NS_24const_host_device_scalarIT1_EES1_PKS1_PKT2_SA_S7_PKT4_PKT5_S5_PT6_21rocsparse_index_base_b
	.p2align	8
	.type	_ZN9rocsparseL18bsrxmvn_3x3_kernelILj256ELj4EdllfddEEvT3_20rocsparse_direction_NS_24const_host_device_scalarIT1_EES1_PKS1_PKT2_SA_S7_PKT4_PKT5_S5_PT6_21rocsparse_index_base_b,@function
_ZN9rocsparseL18bsrxmvn_3x3_kernelILj256ELj4EdllfddEEvT3_20rocsparse_direction_NS_24const_host_device_scalarIT1_EES1_PKS1_PKT2_SA_S7_PKT4_PKT5_S5_PT6_21rocsparse_index_base_b: ; @_ZN9rocsparseL18bsrxmvn_3x3_kernelILj256ELj4EdllfddEEvT3_20rocsparse_direction_NS_24const_host_device_scalarIT1_EES1_PKS1_PKT2_SA_S7_PKT4_PKT5_S5_PT6_21rocsparse_index_base_b
; %bb.0:
	s_load_dwordx2 s[12:13], s[0:1], 0x60
	s_load_dwordx4 s[4:7], s[0:1], 0x10
	s_load_dwordx2 s[8:9], s[0:1], 0x50
	s_waitcnt lgkmcnt(0)
	s_bitcmp1_b32 s13, 0
	s_cselect_b64 s[14:15], -1, 0
	s_xor_b64 s[10:11], s[14:15], -1
	s_and_b64 vcc, exec, s[14:15]
	v_mov_b64_e32 v[6:7], s[4:5]
	s_cbranch_vccnz .LBB160_2
; %bb.1:
	v_mov_b64_e32 v[2:3], s[4:5]
	flat_load_dwordx2 v[6:7], v[2:3]
.LBB160_2:
	s_andn2_b64 vcc, exec, s[10:11]
	v_mov_b64_e32 v[4:5], s[8:9]
	s_cbranch_vccnz .LBB160_4
; %bb.3:
	v_mov_b64_e32 v[2:3], s[8:9]
	flat_load_dwordx2 v[4:5], v[2:3]
.LBB160_4:
	s_waitcnt vmcnt(0) lgkmcnt(0)
	v_cmp_neq_f64_e32 vcc, 0, v[6:7]
	v_cmp_neq_f64_e64 s[4:5], 1.0, v[4:5]
	s_mov_b64 s[8:9], 0
	s_or_b64 s[4:5], vcc, s[4:5]
	s_and_saveexec_b64 s[10:11], s[4:5]
	s_cbranch_execz .LBB160_10
; %bb.5:
	s_load_dwordx2 s[4:5], s[0:1], 0x20
	v_lshrrev_b32_e32 v1, 2, v0
	v_lshl_or_b32 v2, s2, 6, v1
	v_mov_b32_e32 v3, 0
	s_mov_b64 s[2:3], 0
	s_waitcnt lgkmcnt(0)
	s_cmp_lg_u64 s[4:5], 0
	s_cbranch_scc0 .LBB160_11
; %bb.6:
	v_cmp_gt_i64_e32 vcc, s[6:7], v[2:3]
                                        ; implicit-def: $vgpr8_vgpr9
	s_and_saveexec_b64 s[6:7], vcc
	s_xor_b64 s[6:7], exec, s[6:7]
                                        ; implicit-def: $sgpr14_sgpr15
	s_cbranch_execz .LBB160_8
; %bb.7:
	v_lshl_add_u64 v[8:9], v[2:3], 3, s[4:5]
	global_load_dwordx2 v[8:9], v[8:9], off
	s_mov_b64 s[2:3], exec
	s_mov_b32 s15, 0
	s_waitcnt vmcnt(0)
	v_subrev_co_u32_e32 v8, vcc, s12, v8
	s_nop 1
	v_subbrev_co_u32_e32 v9, vcc, 0, v9, vcc
.LBB160_8:
	s_or_b64 exec, exec, s[6:7]
	s_mov_b64 s[8:9], s[2:3]
.LBB160_9:
	s_and_b64 exec, exec, s[8:9]
	s_cbranch_execnz .LBB160_15
.LBB160_10:
	s_endpgm
.LBB160_11:
                                        ; implicit-def: $vgpr8_vgpr9
                                        ; implicit-def: $sgpr14_sgpr15
	s_cbranch_execz .LBB160_9
; %bb.12:
	s_load_dwordx2 s[2:3], s[0:1], 0x0
                                        ; implicit-def: $vgpr8_vgpr9
	s_waitcnt lgkmcnt(0)
	v_cmp_gt_i64_e32 vcc, s[2:3], v[2:3]
	s_and_saveexec_b64 s[2:3], vcc
                                        ; implicit-def: $sgpr14_sgpr15
; %bb.13:
	s_mov_b32 s15, 0
	s_or_b64 s[8:9], s[8:9], exec
	v_mov_b64_e32 v[8:9], v[2:3]
; %bb.14:
	s_or_b64 exec, exec, s[2:3]
	s_and_b64 exec, exec, s[8:9]
	s_cbranch_execz .LBB160_10
.LBB160_15:
	s_load_dwordx8 s[4:11], s[0:1], 0x28
	v_lshlrev_b64 v[2:3], 3, v[8:9]
	v_mov_b32_e32 v14, s15
	v_and_b32_e32 v0, 3, v0
	v_mov_b32_e32 v1, 0
	s_waitcnt lgkmcnt(0)
	v_lshl_add_u64 v[10:11], s[4:5], 0, v[2:3]
	s_cmp_eq_u64 s[6:7], 0
	v_lshl_add_u64 v[2:3], s[6:7], 0, v[2:3]
	global_load_dwordx2 v[12:13], v[10:11], off
	v_lshl_add_u64 v[10:11], v[10:11], 0, 8
	s_cselect_b64 vcc, -1, 0
	v_cndmask_b32_e32 v3, v3, v11, vcc
	v_cndmask_b32_e32 v2, v2, v10, vcc
	global_load_dwordx2 v[2:3], v[2:3], off
	s_load_dword s2, s[0:1], 0x8
	s_load_dwordx2 s[4:5], s[0:1], 0x48
	s_waitcnt lgkmcnt(0)
	s_cmp_eq_u32 s2, 1
	s_waitcnt vmcnt(1)
	v_subrev_co_u32_e32 v10, vcc, s12, v12
	s_nop 1
	v_subb_co_u32_e32 v11, vcc, v13, v14, vcc
	v_lshl_add_u64 v[10:11], v[10:11], 0, v[0:1]
	s_waitcnt vmcnt(0)
	v_subrev_co_u32_e32 v12, vcc, s12, v2
	s_nop 1
	v_subb_co_u32_e32 v13, vcc, v3, v14, vcc
	v_mad_u64_u32 v[14:15], s[2:3], v10, 36, s[10:11]
	v_mov_b32_e32 v2, v15
	v_mad_u64_u32 v[2:3], s[2:3], v11, 36, v[2:3]
	v_mov_b32_e32 v15, v2
	v_cmp_lt_i64_e64 s[2:3], v[10:11], v[12:13]
	s_cbranch_scc1 .LBB160_21
; %bb.16:
	v_mov_b64_e32 v[2:3], 0
	s_mov_b64 s[6:7], 0
	v_mov_b64_e32 v[16:17], v[2:3]
	v_mov_b64_e32 v[18:19], v[2:3]
	s_and_saveexec_b64 s[10:11], s[2:3]
	s_cbranch_execz .LBB160_20
; %bb.17:
	v_mov_b64_e32 v[2:3], 0
	v_lshl_add_u64 v[20:21], v[10:11], 3, s[8:9]
	s_mov_b64 s[16:17], 0
	v_mov_b32_e32 v1, s15
	s_mov_b64 s[18:19], 0x90
	v_mov_b64_e32 v[22:23], v[14:15]
	v_mov_b64_e32 v[24:25], v[10:11]
	v_mov_b64_e32 v[16:17], v[2:3]
	v_mov_b64_e32 v[18:19], v[2:3]
.LBB160_18:                             ; =>This Inner Loop Header: Depth=1
	global_load_dwordx2 v[34:35], v[20:21], off
	global_load_dwordx4 v[26:29], v[22:23], off offset:16
	global_load_dwordx4 v[30:33], v[22:23], off
	v_lshl_add_u64 v[24:25], v[24:25], 0, 4
	v_lshl_add_u64 v[20:21], v[20:21], 0, 32
	s_waitcnt vmcnt(2)
	v_subrev_co_u32_e32 v34, vcc, s12, v34
	v_mad_u64_u32 v[38:39], s[20:21], v34, 24, s[4:5]
	s_nop 0
	v_subb_co_u32_e32 v35, vcc, v35, v1, vcc
	v_mov_b32_e32 v34, v39
	v_mad_u64_u32 v[34:35], s[20:21], v35, 24, v[34:35]
	v_mov_b32_e32 v39, v34
	global_load_dwordx2 v[40:41], v[38:39], off offset:16
	global_load_dwordx4 v[34:37], v[38:39], off
	global_load_dword v48, v[22:23], off offset:32
	s_waitcnt vmcnt(3)
	v_cvt_f64_f32_e32 v[38:39], v30
	v_cvt_f64_f32_e32 v[42:43], v32
	;; [unrolled: 1-line block ×7, first 2 shown]
	v_cmp_ge_i64_e32 vcc, v[24:25], v[12:13]
	v_cvt_f64_f32_e32 v[26:27], v27
	v_lshl_add_u64 v[22:23], v[22:23], 0, s[18:19]
	s_or_b64 s[16:17], vcc, s[16:17]
	s_waitcnt vmcnt(1)
	v_fmac_f64_e32 v[18:19], v[38:39], v[34:35]
	v_fmac_f64_e32 v[16:17], v[32:33], v[34:35]
	v_fmac_f64_e32 v[2:3], v[46:47], v[34:35]
	s_waitcnt vmcnt(0)
	v_cvt_f64_f32_e32 v[48:49], v48
	v_fmac_f64_e32 v[18:19], v[30:31], v[36:37]
	v_fmac_f64_e32 v[16:17], v[44:45], v[36:37]
	;; [unrolled: 1-line block ×6, first 2 shown]
	s_andn2_b64 exec, exec, s[16:17]
	s_cbranch_execnz .LBB160_18
; %bb.19:
	s_or_b64 exec, exec, s[16:17]
.LBB160_20:
	s_or_b64 exec, exec, s[10:11]
	s_andn2_b64 vcc, exec, s[6:7]
	s_cbranch_vccz .LBB160_22
	s_branch .LBB160_27
.LBB160_21:
                                        ; implicit-def: $vgpr2_vgpr3
                                        ; implicit-def: $vgpr16_vgpr17
                                        ; implicit-def: $vgpr18_vgpr19
.LBB160_22:
	v_mov_b64_e32 v[2:3], 0
	v_mov_b64_e32 v[16:17], v[2:3]
	;; [unrolled: 1-line block ×3, first 2 shown]
	s_and_saveexec_b64 s[6:7], s[2:3]
	s_cbranch_execz .LBB160_26
; %bb.23:
	v_mov_b64_e32 v[2:3], 0
	v_lshl_add_u64 v[20:21], v[10:11], 3, s[8:9]
	s_mov_b64 s[2:3], 0
	v_mov_b32_e32 v1, s15
	s_mov_b64 s[8:9], 0x90
	v_mov_b64_e32 v[16:17], v[2:3]
	v_mov_b64_e32 v[18:19], v[2:3]
.LBB160_24:                             ; =>This Inner Loop Header: Depth=1
	global_load_dwordx2 v[30:31], v[20:21], off
	global_load_dwordx4 v[22:25], v[14:15], off offset:16
	global_load_dwordx4 v[26:29], v[14:15], off
	v_lshl_add_u64 v[10:11], v[10:11], 0, 4
	v_lshl_add_u64 v[20:21], v[20:21], 0, 32
	s_waitcnt vmcnt(2)
	v_subrev_co_u32_e32 v30, vcc, s12, v30
	v_mad_u64_u32 v[34:35], s[10:11], v30, 24, s[4:5]
	s_nop 0
	v_subb_co_u32_e32 v31, vcc, v31, v1, vcc
	v_mov_b32_e32 v30, v35
	v_mad_u64_u32 v[30:31], s[10:11], v31, 24, v[30:31]
	v_mov_b32_e32 v35, v30
	global_load_dwordx2 v[36:37], v[34:35], off offset:16
	global_load_dwordx4 v[30:33], v[34:35], off
	global_load_dword v44, v[14:15], off offset:32
	s_waitcnt vmcnt(3)
	v_cvt_f64_f32_e32 v[34:35], v26
	v_cvt_f64_f32_e32 v[26:27], v27
	;; [unrolled: 1-line block ×6, first 2 shown]
	v_cmp_ge_i64_e32 vcc, v[10:11], v[12:13]
	v_cvt_f64_f32_e32 v[42:43], v24
	v_cvt_f64_f32_e32 v[24:25], v25
	v_lshl_add_u64 v[14:15], v[14:15], 0, s[8:9]
	s_or_b64 s[2:3], vcc, s[2:3]
	s_waitcnt vmcnt(1)
	v_fmac_f64_e32 v[18:19], v[34:35], v[30:31]
	v_fmac_f64_e32 v[16:17], v[26:27], v[30:31]
	;; [unrolled: 1-line block ×3, first 2 shown]
	s_waitcnt vmcnt(0)
	v_cvt_f64_f32_e32 v[44:45], v44
	v_fmac_f64_e32 v[18:19], v[28:29], v[32:33]
	v_fmac_f64_e32 v[16:17], v[40:41], v[32:33]
	;; [unrolled: 1-line block ×6, first 2 shown]
	s_andn2_b64 exec, exec, s[2:3]
	s_cbranch_execnz .LBB160_24
; %bb.25:
	s_or_b64 exec, exec, s[2:3]
.LBB160_26:
	s_or_b64 exec, exec, s[6:7]
.LBB160_27:
	v_mov_b32_dpp v10, v18 row_shr:1 row_mask:0xf bank_mask:0xf
	v_mov_b32_dpp v11, v19 row_shr:1 row_mask:0xf bank_mask:0xf
	v_add_f64 v[10:11], v[18:19], v[10:11]
	v_mov_b32_dpp v14, v16 row_shr:1 row_mask:0xf bank_mask:0xf
	v_mov_b32_dpp v15, v17 row_shr:1 row_mask:0xf bank_mask:0xf
	;; [unrolled: 1-line block ×4, first 2 shown]
	v_add_f64 v[14:15], v[16:17], v[14:15]
	v_add_f64 v[2:3], v[2:3], v[18:19]
	v_mov_b32_dpp v12, v10 row_shr:2 row_mask:0xf bank_mask:0xf
	v_mov_b32_dpp v13, v11 row_shr:2 row_mask:0xf bank_mask:0xf
	;; [unrolled: 1-line block ×6, first 2 shown]
	v_cmp_eq_u32_e32 vcc, 3, v0
	s_and_b64 exec, exec, vcc
	s_cbranch_execz .LBB160_10
; %bb.28:
	s_load_dwordx2 s[0:1], s[0:1], 0x58
	v_add_f64 v[0:1], v[10:11], v[12:13]
	v_add_f64 v[10:11], v[14:15], v[16:17]
	;; [unrolled: 1-line block ×3, first 2 shown]
	v_cmp_eq_f64_e32 vcc, 0, v[4:5]
	v_mul_f64 v[0:1], v[6:7], v[0:1]
	v_mul_f64 v[2:3], v[6:7], v[10:11]
	;; [unrolled: 1-line block ×3, first 2 shown]
	s_and_saveexec_b64 s[2:3], vcc
	s_xor_b64 s[2:3], exec, s[2:3]
	s_cbranch_execz .LBB160_30
; %bb.29:
	s_waitcnt lgkmcnt(0)
	v_mad_u64_u32 v[4:5], s[4:5], v8, 24, s[0:1]
	v_mov_b32_e32 v8, v5
	v_mad_u64_u32 v[8:9], s[4:5], v9, 24, v[8:9]
	v_mov_b32_e32 v5, v8
	global_store_dwordx4 v[4:5], v[0:3], off
	global_store_dwordx2 v[4:5], v[6:7], off offset:16
                                        ; implicit-def: $vgpr8_vgpr9
                                        ; implicit-def: $vgpr4_vgpr5
                                        ; implicit-def: $vgpr0_vgpr1
                                        ; implicit-def: $vgpr6_vgpr7
.LBB160_30:
	s_andn2_saveexec_b64 s[2:3], s[2:3]
	s_cbranch_execz .LBB160_10
; %bb.31:
	s_waitcnt lgkmcnt(0)
	v_mad_u64_u32 v[12:13], s[0:1], v8, 24, s[0:1]
	v_mov_b32_e32 v8, v13
	v_mad_u64_u32 v[8:9], s[0:1], v9, 24, v[8:9]
	v_mov_b32_e32 v13, v8
	global_load_dwordx4 v[8:11], v[12:13], off
	global_load_dwordx2 v[14:15], v[12:13], off offset:16
	s_waitcnt vmcnt(1)
	v_fmac_f64_e32 v[0:1], v[4:5], v[8:9]
	v_fmac_f64_e32 v[2:3], v[4:5], v[10:11]
	s_waitcnt vmcnt(0)
	v_fmac_f64_e32 v[6:7], v[4:5], v[14:15]
	global_store_dwordx4 v[12:13], v[0:3], off
	global_store_dwordx2 v[12:13], v[6:7], off offset:16
	s_endpgm
	.section	.rodata,"a",@progbits
	.p2align	6, 0x0
	.amdhsa_kernel _ZN9rocsparseL18bsrxmvn_3x3_kernelILj256ELj4EdllfddEEvT3_20rocsparse_direction_NS_24const_host_device_scalarIT1_EES1_PKS1_PKT2_SA_S7_PKT4_PKT5_S5_PT6_21rocsparse_index_base_b
		.amdhsa_group_segment_fixed_size 0
		.amdhsa_private_segment_fixed_size 0
		.amdhsa_kernarg_size 104
		.amdhsa_user_sgpr_count 2
		.amdhsa_user_sgpr_dispatch_ptr 0
		.amdhsa_user_sgpr_queue_ptr 0
		.amdhsa_user_sgpr_kernarg_segment_ptr 1
		.amdhsa_user_sgpr_dispatch_id 0
		.amdhsa_user_sgpr_kernarg_preload_length 0
		.amdhsa_user_sgpr_kernarg_preload_offset 0
		.amdhsa_user_sgpr_private_segment_size 0
		.amdhsa_uses_dynamic_stack 0
		.amdhsa_enable_private_segment 0
		.amdhsa_system_sgpr_workgroup_id_x 1
		.amdhsa_system_sgpr_workgroup_id_y 0
		.amdhsa_system_sgpr_workgroup_id_z 0
		.amdhsa_system_sgpr_workgroup_info 0
		.amdhsa_system_vgpr_workitem_id 0
		.amdhsa_next_free_vgpr 50
		.amdhsa_next_free_sgpr 22
		.amdhsa_accum_offset 52
		.amdhsa_reserve_vcc 1
		.amdhsa_float_round_mode_32 0
		.amdhsa_float_round_mode_16_64 0
		.amdhsa_float_denorm_mode_32 3
		.amdhsa_float_denorm_mode_16_64 3
		.amdhsa_dx10_clamp 1
		.amdhsa_ieee_mode 1
		.amdhsa_fp16_overflow 0
		.amdhsa_tg_split 0
		.amdhsa_exception_fp_ieee_invalid_op 0
		.amdhsa_exception_fp_denorm_src 0
		.amdhsa_exception_fp_ieee_div_zero 0
		.amdhsa_exception_fp_ieee_overflow 0
		.amdhsa_exception_fp_ieee_underflow 0
		.amdhsa_exception_fp_ieee_inexact 0
		.amdhsa_exception_int_div_zero 0
	.end_amdhsa_kernel
	.section	.text._ZN9rocsparseL18bsrxmvn_3x3_kernelILj256ELj4EdllfddEEvT3_20rocsparse_direction_NS_24const_host_device_scalarIT1_EES1_PKS1_PKT2_SA_S7_PKT4_PKT5_S5_PT6_21rocsparse_index_base_b,"axG",@progbits,_ZN9rocsparseL18bsrxmvn_3x3_kernelILj256ELj4EdllfddEEvT3_20rocsparse_direction_NS_24const_host_device_scalarIT1_EES1_PKS1_PKT2_SA_S7_PKT4_PKT5_S5_PT6_21rocsparse_index_base_b,comdat
.Lfunc_end160:
	.size	_ZN9rocsparseL18bsrxmvn_3x3_kernelILj256ELj4EdllfddEEvT3_20rocsparse_direction_NS_24const_host_device_scalarIT1_EES1_PKS1_PKT2_SA_S7_PKT4_PKT5_S5_PT6_21rocsparse_index_base_b, .Lfunc_end160-_ZN9rocsparseL18bsrxmvn_3x3_kernelILj256ELj4EdllfddEEvT3_20rocsparse_direction_NS_24const_host_device_scalarIT1_EES1_PKS1_PKT2_SA_S7_PKT4_PKT5_S5_PT6_21rocsparse_index_base_b
                                        ; -- End function
	.section	.AMDGPU.csdata,"",@progbits
; Kernel info:
; codeLenInByte = 1388
; NumSgprs: 28
; NumVgprs: 50
; NumAgprs: 0
; TotalNumVgprs: 50
; ScratchSize: 0
; MemoryBound: 0
; FloatMode: 240
; IeeeMode: 1
; LDSByteSize: 0 bytes/workgroup (compile time only)
; SGPRBlocks: 3
; VGPRBlocks: 6
; NumSGPRsForWavesPerEU: 28
; NumVGPRsForWavesPerEU: 50
; AccumOffset: 52
; Occupancy: 8
; WaveLimiterHint : 1
; COMPUTE_PGM_RSRC2:SCRATCH_EN: 0
; COMPUTE_PGM_RSRC2:USER_SGPR: 2
; COMPUTE_PGM_RSRC2:TRAP_HANDLER: 0
; COMPUTE_PGM_RSRC2:TGID_X_EN: 1
; COMPUTE_PGM_RSRC2:TGID_Y_EN: 0
; COMPUTE_PGM_RSRC2:TGID_Z_EN: 0
; COMPUTE_PGM_RSRC2:TIDIG_COMP_CNT: 0
; COMPUTE_PGM_RSRC3_GFX90A:ACCUM_OFFSET: 12
; COMPUTE_PGM_RSRC3_GFX90A:TG_SPLIT: 0
	.section	.text._ZN9rocsparseL18bsrxmvn_3x3_kernelILj256ELj8EdllfddEEvT3_20rocsparse_direction_NS_24const_host_device_scalarIT1_EES1_PKS1_PKT2_SA_S7_PKT4_PKT5_S5_PT6_21rocsparse_index_base_b,"axG",@progbits,_ZN9rocsparseL18bsrxmvn_3x3_kernelILj256ELj8EdllfddEEvT3_20rocsparse_direction_NS_24const_host_device_scalarIT1_EES1_PKS1_PKT2_SA_S7_PKT4_PKT5_S5_PT6_21rocsparse_index_base_b,comdat
	.globl	_ZN9rocsparseL18bsrxmvn_3x3_kernelILj256ELj8EdllfddEEvT3_20rocsparse_direction_NS_24const_host_device_scalarIT1_EES1_PKS1_PKT2_SA_S7_PKT4_PKT5_S5_PT6_21rocsparse_index_base_b ; -- Begin function _ZN9rocsparseL18bsrxmvn_3x3_kernelILj256ELj8EdllfddEEvT3_20rocsparse_direction_NS_24const_host_device_scalarIT1_EES1_PKS1_PKT2_SA_S7_PKT4_PKT5_S5_PT6_21rocsparse_index_base_b
	.p2align	8
	.type	_ZN9rocsparseL18bsrxmvn_3x3_kernelILj256ELj8EdllfddEEvT3_20rocsparse_direction_NS_24const_host_device_scalarIT1_EES1_PKS1_PKT2_SA_S7_PKT4_PKT5_S5_PT6_21rocsparse_index_base_b,@function
_ZN9rocsparseL18bsrxmvn_3x3_kernelILj256ELj8EdllfddEEvT3_20rocsparse_direction_NS_24const_host_device_scalarIT1_EES1_PKS1_PKT2_SA_S7_PKT4_PKT5_S5_PT6_21rocsparse_index_base_b: ; @_ZN9rocsparseL18bsrxmvn_3x3_kernelILj256ELj8EdllfddEEvT3_20rocsparse_direction_NS_24const_host_device_scalarIT1_EES1_PKS1_PKT2_SA_S7_PKT4_PKT5_S5_PT6_21rocsparse_index_base_b
; %bb.0:
	s_load_dwordx2 s[12:13], s[0:1], 0x60
	s_load_dwordx4 s[4:7], s[0:1], 0x10
	s_load_dwordx2 s[8:9], s[0:1], 0x50
	s_waitcnt lgkmcnt(0)
	s_bitcmp1_b32 s13, 0
	s_cselect_b64 s[14:15], -1, 0
	s_xor_b64 s[10:11], s[14:15], -1
	s_and_b64 vcc, exec, s[14:15]
	v_mov_b64_e32 v[6:7], s[4:5]
	s_cbranch_vccnz .LBB161_2
; %bb.1:
	v_mov_b64_e32 v[2:3], s[4:5]
	flat_load_dwordx2 v[6:7], v[2:3]
.LBB161_2:
	s_andn2_b64 vcc, exec, s[10:11]
	v_mov_b64_e32 v[4:5], s[8:9]
	s_cbranch_vccnz .LBB161_4
; %bb.3:
	v_mov_b64_e32 v[2:3], s[8:9]
	flat_load_dwordx2 v[4:5], v[2:3]
.LBB161_4:
	s_waitcnt vmcnt(0) lgkmcnt(0)
	v_cmp_neq_f64_e32 vcc, 0, v[6:7]
	v_cmp_neq_f64_e64 s[4:5], 1.0, v[4:5]
	s_mov_b64 s[8:9], 0
	s_or_b64 s[4:5], vcc, s[4:5]
	s_and_saveexec_b64 s[10:11], s[4:5]
	s_cbranch_execz .LBB161_10
; %bb.5:
	s_load_dwordx2 s[4:5], s[0:1], 0x20
	v_lshrrev_b32_e32 v1, 3, v0
	v_lshl_or_b32 v2, s2, 5, v1
	v_mov_b32_e32 v3, 0
	s_mov_b64 s[2:3], 0
	s_waitcnt lgkmcnt(0)
	s_cmp_lg_u64 s[4:5], 0
	s_cbranch_scc0 .LBB161_11
; %bb.6:
	v_cmp_gt_i64_e32 vcc, s[6:7], v[2:3]
                                        ; implicit-def: $vgpr8_vgpr9
	s_and_saveexec_b64 s[6:7], vcc
	s_xor_b64 s[6:7], exec, s[6:7]
                                        ; implicit-def: $sgpr14_sgpr15
	s_cbranch_execz .LBB161_8
; %bb.7:
	v_lshl_add_u64 v[8:9], v[2:3], 3, s[4:5]
	global_load_dwordx2 v[8:9], v[8:9], off
	s_mov_b64 s[2:3], exec
	s_mov_b32 s15, 0
	s_waitcnt vmcnt(0)
	v_subrev_co_u32_e32 v8, vcc, s12, v8
	s_nop 1
	v_subbrev_co_u32_e32 v9, vcc, 0, v9, vcc
.LBB161_8:
	s_or_b64 exec, exec, s[6:7]
	s_mov_b64 s[8:9], s[2:3]
.LBB161_9:
	s_and_b64 exec, exec, s[8:9]
	s_cbranch_execnz .LBB161_15
.LBB161_10:
	s_endpgm
.LBB161_11:
                                        ; implicit-def: $vgpr8_vgpr9
                                        ; implicit-def: $sgpr14_sgpr15
	s_cbranch_execz .LBB161_9
; %bb.12:
	s_load_dwordx2 s[2:3], s[0:1], 0x0
                                        ; implicit-def: $vgpr8_vgpr9
	s_waitcnt lgkmcnt(0)
	v_cmp_gt_i64_e32 vcc, s[2:3], v[2:3]
	s_and_saveexec_b64 s[2:3], vcc
                                        ; implicit-def: $sgpr14_sgpr15
; %bb.13:
	s_mov_b32 s15, 0
	s_or_b64 s[8:9], s[8:9], exec
	v_mov_b64_e32 v[8:9], v[2:3]
; %bb.14:
	s_or_b64 exec, exec, s[2:3]
	s_and_b64 exec, exec, s[8:9]
	s_cbranch_execz .LBB161_10
.LBB161_15:
	s_load_dwordx8 s[4:11], s[0:1], 0x28
	v_lshlrev_b64 v[2:3], 3, v[8:9]
	v_mov_b32_e32 v14, s15
	v_and_b32_e32 v0, 7, v0
	v_mov_b32_e32 v1, 0
	s_waitcnt lgkmcnt(0)
	v_lshl_add_u64 v[10:11], s[4:5], 0, v[2:3]
	s_cmp_eq_u64 s[6:7], 0
	v_lshl_add_u64 v[2:3], s[6:7], 0, v[2:3]
	global_load_dwordx2 v[12:13], v[10:11], off
	v_lshl_add_u64 v[10:11], v[10:11], 0, 8
	s_cselect_b64 vcc, -1, 0
	v_cndmask_b32_e32 v3, v3, v11, vcc
	v_cndmask_b32_e32 v2, v2, v10, vcc
	global_load_dwordx2 v[2:3], v[2:3], off
	s_load_dword s2, s[0:1], 0x8
	s_load_dwordx2 s[4:5], s[0:1], 0x48
	s_waitcnt lgkmcnt(0)
	s_cmp_eq_u32 s2, 1
	s_waitcnt vmcnt(1)
	v_subrev_co_u32_e32 v10, vcc, s12, v12
	s_nop 1
	v_subb_co_u32_e32 v11, vcc, v13, v14, vcc
	v_lshl_add_u64 v[10:11], v[10:11], 0, v[0:1]
	s_waitcnt vmcnt(0)
	v_subrev_co_u32_e32 v12, vcc, s12, v2
	s_nop 1
	v_subb_co_u32_e32 v13, vcc, v3, v14, vcc
	v_mad_u64_u32 v[14:15], s[2:3], v10, 36, s[10:11]
	v_mov_b32_e32 v2, v15
	v_mad_u64_u32 v[2:3], s[2:3], v11, 36, v[2:3]
	v_mov_b32_e32 v15, v2
	v_cmp_lt_i64_e64 s[2:3], v[10:11], v[12:13]
	s_cbranch_scc1 .LBB161_21
; %bb.16:
	v_mov_b64_e32 v[2:3], 0
	s_mov_b64 s[6:7], 0
	v_mov_b64_e32 v[16:17], v[2:3]
	v_mov_b64_e32 v[18:19], v[2:3]
	s_and_saveexec_b64 s[10:11], s[2:3]
	s_cbranch_execz .LBB161_20
; %bb.17:
	v_mov_b64_e32 v[2:3], 0
	v_lshl_add_u64 v[20:21], v[10:11], 3, s[8:9]
	s_mov_b64 s[16:17], 0
	v_mov_b32_e32 v1, s15
	s_mov_b64 s[18:19], 0x120
	v_mov_b64_e32 v[22:23], v[14:15]
	v_mov_b64_e32 v[24:25], v[10:11]
	;; [unrolled: 1-line block ×4, first 2 shown]
.LBB161_18:                             ; =>This Inner Loop Header: Depth=1
	global_load_dwordx2 v[34:35], v[20:21], off
	global_load_dwordx4 v[26:29], v[22:23], off offset:16
	global_load_dwordx4 v[30:33], v[22:23], off
	v_lshl_add_u64 v[24:25], v[24:25], 0, 8
	v_lshl_add_u64 v[20:21], v[20:21], 0, 64
	s_waitcnt vmcnt(2)
	v_subrev_co_u32_e32 v34, vcc, s12, v34
	v_mad_u64_u32 v[38:39], s[20:21], v34, 24, s[4:5]
	s_nop 0
	v_subb_co_u32_e32 v35, vcc, v35, v1, vcc
	v_mov_b32_e32 v34, v39
	v_mad_u64_u32 v[34:35], s[20:21], v35, 24, v[34:35]
	v_mov_b32_e32 v39, v34
	global_load_dwordx2 v[40:41], v[38:39], off offset:16
	global_load_dwordx4 v[34:37], v[38:39], off
	global_load_dword v48, v[22:23], off offset:32
	s_waitcnt vmcnt(3)
	v_cvt_f64_f32_e32 v[38:39], v30
	v_cvt_f64_f32_e32 v[42:43], v32
	;; [unrolled: 1-line block ×7, first 2 shown]
	v_cmp_ge_i64_e32 vcc, v[24:25], v[12:13]
	v_cvt_f64_f32_e32 v[26:27], v27
	v_lshl_add_u64 v[22:23], v[22:23], 0, s[18:19]
	s_or_b64 s[16:17], vcc, s[16:17]
	s_waitcnt vmcnt(1)
	v_fmac_f64_e32 v[18:19], v[38:39], v[34:35]
	v_fmac_f64_e32 v[16:17], v[32:33], v[34:35]
	;; [unrolled: 1-line block ×3, first 2 shown]
	s_waitcnt vmcnt(0)
	v_cvt_f64_f32_e32 v[48:49], v48
	v_fmac_f64_e32 v[18:19], v[30:31], v[36:37]
	v_fmac_f64_e32 v[16:17], v[44:45], v[36:37]
	;; [unrolled: 1-line block ×6, first 2 shown]
	s_andn2_b64 exec, exec, s[16:17]
	s_cbranch_execnz .LBB161_18
; %bb.19:
	s_or_b64 exec, exec, s[16:17]
.LBB161_20:
	s_or_b64 exec, exec, s[10:11]
	s_andn2_b64 vcc, exec, s[6:7]
	s_cbranch_vccz .LBB161_22
	s_branch .LBB161_27
.LBB161_21:
                                        ; implicit-def: $vgpr2_vgpr3
                                        ; implicit-def: $vgpr16_vgpr17
                                        ; implicit-def: $vgpr18_vgpr19
.LBB161_22:
	v_mov_b64_e32 v[2:3], 0
	v_mov_b64_e32 v[16:17], v[2:3]
	;; [unrolled: 1-line block ×3, first 2 shown]
	s_and_saveexec_b64 s[6:7], s[2:3]
	s_cbranch_execz .LBB161_26
; %bb.23:
	v_mov_b64_e32 v[2:3], 0
	v_lshl_add_u64 v[20:21], v[10:11], 3, s[8:9]
	s_mov_b64 s[2:3], 0
	v_mov_b32_e32 v1, s15
	s_mov_b64 s[8:9], 0x120
	v_mov_b64_e32 v[16:17], v[2:3]
	v_mov_b64_e32 v[18:19], v[2:3]
.LBB161_24:                             ; =>This Inner Loop Header: Depth=1
	global_load_dwordx2 v[30:31], v[20:21], off
	global_load_dwordx4 v[22:25], v[14:15], off offset:16
	global_load_dwordx4 v[26:29], v[14:15], off
	v_lshl_add_u64 v[10:11], v[10:11], 0, 8
	v_lshl_add_u64 v[20:21], v[20:21], 0, 64
	s_waitcnt vmcnt(2)
	v_subrev_co_u32_e32 v30, vcc, s12, v30
	v_mad_u64_u32 v[34:35], s[10:11], v30, 24, s[4:5]
	s_nop 0
	v_subb_co_u32_e32 v31, vcc, v31, v1, vcc
	v_mov_b32_e32 v30, v35
	v_mad_u64_u32 v[30:31], s[10:11], v31, 24, v[30:31]
	v_mov_b32_e32 v35, v30
	global_load_dwordx2 v[36:37], v[34:35], off offset:16
	global_load_dwordx4 v[30:33], v[34:35], off
	global_load_dword v44, v[14:15], off offset:32
	s_waitcnt vmcnt(3)
	v_cvt_f64_f32_e32 v[34:35], v26
	v_cvt_f64_f32_e32 v[26:27], v27
	;; [unrolled: 1-line block ×6, first 2 shown]
	v_cmp_ge_i64_e32 vcc, v[10:11], v[12:13]
	v_cvt_f64_f32_e32 v[42:43], v24
	v_cvt_f64_f32_e32 v[24:25], v25
	v_lshl_add_u64 v[14:15], v[14:15], 0, s[8:9]
	s_or_b64 s[2:3], vcc, s[2:3]
	s_waitcnt vmcnt(1)
	v_fmac_f64_e32 v[18:19], v[34:35], v[30:31]
	v_fmac_f64_e32 v[16:17], v[26:27], v[30:31]
	;; [unrolled: 1-line block ×3, first 2 shown]
	s_waitcnt vmcnt(0)
	v_cvt_f64_f32_e32 v[44:45], v44
	v_fmac_f64_e32 v[18:19], v[28:29], v[32:33]
	v_fmac_f64_e32 v[16:17], v[40:41], v[32:33]
	;; [unrolled: 1-line block ×6, first 2 shown]
	s_andn2_b64 exec, exec, s[2:3]
	s_cbranch_execnz .LBB161_24
; %bb.25:
	s_or_b64 exec, exec, s[2:3]
.LBB161_26:
	s_or_b64 exec, exec, s[6:7]
.LBB161_27:
	v_mov_b32_dpp v10, v18 row_shr:1 row_mask:0xf bank_mask:0xf
	v_mov_b32_dpp v11, v19 row_shr:1 row_mask:0xf bank_mask:0xf
	v_add_f64 v[10:11], v[18:19], v[10:11]
	v_mov_b32_dpp v14, v16 row_shr:1 row_mask:0xf bank_mask:0xf
	v_mov_b32_dpp v15, v17 row_shr:1 row_mask:0xf bank_mask:0xf
	v_mov_b32_dpp v18, v2 row_shr:1 row_mask:0xf bank_mask:0xf
	v_mov_b32_dpp v19, v3 row_shr:1 row_mask:0xf bank_mask:0xf
	v_add_f64 v[14:15], v[16:17], v[14:15]
	v_add_f64 v[2:3], v[2:3], v[18:19]
	v_mov_b32_dpp v12, v10 row_shr:2 row_mask:0xf bank_mask:0xf
	v_mov_b32_dpp v13, v11 row_shr:2 row_mask:0xf bank_mask:0xf
	;; [unrolled: 1-line block ×6, first 2 shown]
	v_add_f64 v[10:11], v[10:11], v[12:13]
	v_add_f64 v[14:15], v[14:15], v[16:17]
	;; [unrolled: 1-line block ×3, first 2 shown]
	v_mov_b32_dpp v12, v10 row_shr:4 row_mask:0xf bank_mask:0xe
	v_mov_b32_dpp v13, v11 row_shr:4 row_mask:0xf bank_mask:0xe
	;; [unrolled: 1-line block ×6, first 2 shown]
	v_cmp_eq_u32_e32 vcc, 7, v0
	s_and_b64 exec, exec, vcc
	s_cbranch_execz .LBB161_10
; %bb.28:
	s_load_dwordx2 s[0:1], s[0:1], 0x58
	v_add_f64 v[0:1], v[10:11], v[12:13]
	v_add_f64 v[10:11], v[14:15], v[16:17]
	v_add_f64 v[12:13], v[2:3], v[18:19]
	v_cmp_eq_f64_e32 vcc, 0, v[4:5]
	v_mul_f64 v[0:1], v[6:7], v[0:1]
	v_mul_f64 v[2:3], v[6:7], v[10:11]
	;; [unrolled: 1-line block ×3, first 2 shown]
	s_and_saveexec_b64 s[2:3], vcc
	s_xor_b64 s[2:3], exec, s[2:3]
	s_cbranch_execz .LBB161_30
; %bb.29:
	s_waitcnt lgkmcnt(0)
	v_mad_u64_u32 v[4:5], s[4:5], v8, 24, s[0:1]
	v_mov_b32_e32 v8, v5
	v_mad_u64_u32 v[8:9], s[4:5], v9, 24, v[8:9]
	v_mov_b32_e32 v5, v8
	global_store_dwordx4 v[4:5], v[0:3], off
	global_store_dwordx2 v[4:5], v[6:7], off offset:16
                                        ; implicit-def: $vgpr8_vgpr9
                                        ; implicit-def: $vgpr4_vgpr5
                                        ; implicit-def: $vgpr0_vgpr1
                                        ; implicit-def: $vgpr6_vgpr7
.LBB161_30:
	s_andn2_saveexec_b64 s[2:3], s[2:3]
	s_cbranch_execz .LBB161_10
; %bb.31:
	s_waitcnt lgkmcnt(0)
	v_mad_u64_u32 v[12:13], s[0:1], v8, 24, s[0:1]
	v_mov_b32_e32 v8, v13
	v_mad_u64_u32 v[8:9], s[0:1], v9, 24, v[8:9]
	v_mov_b32_e32 v13, v8
	global_load_dwordx4 v[8:11], v[12:13], off
	global_load_dwordx2 v[14:15], v[12:13], off offset:16
	s_waitcnt vmcnt(1)
	v_fmac_f64_e32 v[0:1], v[4:5], v[8:9]
	v_fmac_f64_e32 v[2:3], v[4:5], v[10:11]
	s_waitcnt vmcnt(0)
	v_fmac_f64_e32 v[6:7], v[4:5], v[14:15]
	global_store_dwordx4 v[12:13], v[0:3], off
	global_store_dwordx2 v[12:13], v[6:7], off offset:16
	s_endpgm
	.section	.rodata,"a",@progbits
	.p2align	6, 0x0
	.amdhsa_kernel _ZN9rocsparseL18bsrxmvn_3x3_kernelILj256ELj8EdllfddEEvT3_20rocsparse_direction_NS_24const_host_device_scalarIT1_EES1_PKS1_PKT2_SA_S7_PKT4_PKT5_S5_PT6_21rocsparse_index_base_b
		.amdhsa_group_segment_fixed_size 0
		.amdhsa_private_segment_fixed_size 0
		.amdhsa_kernarg_size 104
		.amdhsa_user_sgpr_count 2
		.amdhsa_user_sgpr_dispatch_ptr 0
		.amdhsa_user_sgpr_queue_ptr 0
		.amdhsa_user_sgpr_kernarg_segment_ptr 1
		.amdhsa_user_sgpr_dispatch_id 0
		.amdhsa_user_sgpr_kernarg_preload_length 0
		.amdhsa_user_sgpr_kernarg_preload_offset 0
		.amdhsa_user_sgpr_private_segment_size 0
		.amdhsa_uses_dynamic_stack 0
		.amdhsa_enable_private_segment 0
		.amdhsa_system_sgpr_workgroup_id_x 1
		.amdhsa_system_sgpr_workgroup_id_y 0
		.amdhsa_system_sgpr_workgroup_id_z 0
		.amdhsa_system_sgpr_workgroup_info 0
		.amdhsa_system_vgpr_workitem_id 0
		.amdhsa_next_free_vgpr 50
		.amdhsa_next_free_sgpr 22
		.amdhsa_accum_offset 52
		.amdhsa_reserve_vcc 1
		.amdhsa_float_round_mode_32 0
		.amdhsa_float_round_mode_16_64 0
		.amdhsa_float_denorm_mode_32 3
		.amdhsa_float_denorm_mode_16_64 3
		.amdhsa_dx10_clamp 1
		.amdhsa_ieee_mode 1
		.amdhsa_fp16_overflow 0
		.amdhsa_tg_split 0
		.amdhsa_exception_fp_ieee_invalid_op 0
		.amdhsa_exception_fp_denorm_src 0
		.amdhsa_exception_fp_ieee_div_zero 0
		.amdhsa_exception_fp_ieee_overflow 0
		.amdhsa_exception_fp_ieee_underflow 0
		.amdhsa_exception_fp_ieee_inexact 0
		.amdhsa_exception_int_div_zero 0
	.end_amdhsa_kernel
	.section	.text._ZN9rocsparseL18bsrxmvn_3x3_kernelILj256ELj8EdllfddEEvT3_20rocsparse_direction_NS_24const_host_device_scalarIT1_EES1_PKS1_PKT2_SA_S7_PKT4_PKT5_S5_PT6_21rocsparse_index_base_b,"axG",@progbits,_ZN9rocsparseL18bsrxmvn_3x3_kernelILj256ELj8EdllfddEEvT3_20rocsparse_direction_NS_24const_host_device_scalarIT1_EES1_PKS1_PKT2_SA_S7_PKT4_PKT5_S5_PT6_21rocsparse_index_base_b,comdat
.Lfunc_end161:
	.size	_ZN9rocsparseL18bsrxmvn_3x3_kernelILj256ELj8EdllfddEEvT3_20rocsparse_direction_NS_24const_host_device_scalarIT1_EES1_PKS1_PKT2_SA_S7_PKT4_PKT5_S5_PT6_21rocsparse_index_base_b, .Lfunc_end161-_ZN9rocsparseL18bsrxmvn_3x3_kernelILj256ELj8EdllfddEEvT3_20rocsparse_direction_NS_24const_host_device_scalarIT1_EES1_PKS1_PKT2_SA_S7_PKT4_PKT5_S5_PT6_21rocsparse_index_base_b
                                        ; -- End function
	.section	.AMDGPU.csdata,"",@progbits
; Kernel info:
; codeLenInByte = 1460
; NumSgprs: 28
; NumVgprs: 50
; NumAgprs: 0
; TotalNumVgprs: 50
; ScratchSize: 0
; MemoryBound: 0
; FloatMode: 240
; IeeeMode: 1
; LDSByteSize: 0 bytes/workgroup (compile time only)
; SGPRBlocks: 3
; VGPRBlocks: 6
; NumSGPRsForWavesPerEU: 28
; NumVGPRsForWavesPerEU: 50
; AccumOffset: 52
; Occupancy: 8
; WaveLimiterHint : 1
; COMPUTE_PGM_RSRC2:SCRATCH_EN: 0
; COMPUTE_PGM_RSRC2:USER_SGPR: 2
; COMPUTE_PGM_RSRC2:TRAP_HANDLER: 0
; COMPUTE_PGM_RSRC2:TGID_X_EN: 1
; COMPUTE_PGM_RSRC2:TGID_Y_EN: 0
; COMPUTE_PGM_RSRC2:TGID_Z_EN: 0
; COMPUTE_PGM_RSRC2:TIDIG_COMP_CNT: 0
; COMPUTE_PGM_RSRC3_GFX90A:ACCUM_OFFSET: 12
; COMPUTE_PGM_RSRC3_GFX90A:TG_SPLIT: 0
	.section	.text._ZN9rocsparseL18bsrxmvn_3x3_kernelILj256ELj16EdllfddEEvT3_20rocsparse_direction_NS_24const_host_device_scalarIT1_EES1_PKS1_PKT2_SA_S7_PKT4_PKT5_S5_PT6_21rocsparse_index_base_b,"axG",@progbits,_ZN9rocsparseL18bsrxmvn_3x3_kernelILj256ELj16EdllfddEEvT3_20rocsparse_direction_NS_24const_host_device_scalarIT1_EES1_PKS1_PKT2_SA_S7_PKT4_PKT5_S5_PT6_21rocsparse_index_base_b,comdat
	.globl	_ZN9rocsparseL18bsrxmvn_3x3_kernelILj256ELj16EdllfddEEvT3_20rocsparse_direction_NS_24const_host_device_scalarIT1_EES1_PKS1_PKT2_SA_S7_PKT4_PKT5_S5_PT6_21rocsparse_index_base_b ; -- Begin function _ZN9rocsparseL18bsrxmvn_3x3_kernelILj256ELj16EdllfddEEvT3_20rocsparse_direction_NS_24const_host_device_scalarIT1_EES1_PKS1_PKT2_SA_S7_PKT4_PKT5_S5_PT6_21rocsparse_index_base_b
	.p2align	8
	.type	_ZN9rocsparseL18bsrxmvn_3x3_kernelILj256ELj16EdllfddEEvT3_20rocsparse_direction_NS_24const_host_device_scalarIT1_EES1_PKS1_PKT2_SA_S7_PKT4_PKT5_S5_PT6_21rocsparse_index_base_b,@function
_ZN9rocsparseL18bsrxmvn_3x3_kernelILj256ELj16EdllfddEEvT3_20rocsparse_direction_NS_24const_host_device_scalarIT1_EES1_PKS1_PKT2_SA_S7_PKT4_PKT5_S5_PT6_21rocsparse_index_base_b: ; @_ZN9rocsparseL18bsrxmvn_3x3_kernelILj256ELj16EdllfddEEvT3_20rocsparse_direction_NS_24const_host_device_scalarIT1_EES1_PKS1_PKT2_SA_S7_PKT4_PKT5_S5_PT6_21rocsparse_index_base_b
; %bb.0:
	s_load_dwordx2 s[12:13], s[0:1], 0x60
	s_load_dwordx4 s[4:7], s[0:1], 0x10
	s_load_dwordx2 s[8:9], s[0:1], 0x50
	s_waitcnt lgkmcnt(0)
	s_bitcmp1_b32 s13, 0
	s_cselect_b64 s[14:15], -1, 0
	s_xor_b64 s[10:11], s[14:15], -1
	s_and_b64 vcc, exec, s[14:15]
	v_mov_b64_e32 v[6:7], s[4:5]
	s_cbranch_vccnz .LBB162_2
; %bb.1:
	v_mov_b64_e32 v[2:3], s[4:5]
	flat_load_dwordx2 v[6:7], v[2:3]
.LBB162_2:
	s_andn2_b64 vcc, exec, s[10:11]
	v_mov_b64_e32 v[4:5], s[8:9]
	s_cbranch_vccnz .LBB162_4
; %bb.3:
	v_mov_b64_e32 v[2:3], s[8:9]
	flat_load_dwordx2 v[4:5], v[2:3]
.LBB162_4:
	s_waitcnt vmcnt(0) lgkmcnt(0)
	v_cmp_neq_f64_e32 vcc, 0, v[6:7]
	v_cmp_neq_f64_e64 s[4:5], 1.0, v[4:5]
	s_mov_b64 s[8:9], 0
	s_or_b64 s[4:5], vcc, s[4:5]
	s_and_saveexec_b64 s[10:11], s[4:5]
	s_cbranch_execz .LBB162_10
; %bb.5:
	s_load_dwordx2 s[4:5], s[0:1], 0x20
	v_lshrrev_b32_e32 v1, 4, v0
	v_lshl_or_b32 v2, s2, 4, v1
	v_mov_b32_e32 v3, 0
	s_mov_b64 s[2:3], 0
	s_waitcnt lgkmcnt(0)
	s_cmp_lg_u64 s[4:5], 0
	s_cbranch_scc0 .LBB162_11
; %bb.6:
	v_cmp_gt_i64_e32 vcc, s[6:7], v[2:3]
                                        ; implicit-def: $vgpr8_vgpr9
	s_and_saveexec_b64 s[6:7], vcc
	s_xor_b64 s[6:7], exec, s[6:7]
                                        ; implicit-def: $sgpr14_sgpr15
	s_cbranch_execz .LBB162_8
; %bb.7:
	v_lshl_add_u64 v[8:9], v[2:3], 3, s[4:5]
	global_load_dwordx2 v[8:9], v[8:9], off
	s_mov_b64 s[2:3], exec
	s_mov_b32 s15, 0
	s_waitcnt vmcnt(0)
	v_subrev_co_u32_e32 v8, vcc, s12, v8
	s_nop 1
	v_subbrev_co_u32_e32 v9, vcc, 0, v9, vcc
.LBB162_8:
	s_or_b64 exec, exec, s[6:7]
	s_mov_b64 s[8:9], s[2:3]
.LBB162_9:
	s_and_b64 exec, exec, s[8:9]
	s_cbranch_execnz .LBB162_15
.LBB162_10:
	s_endpgm
.LBB162_11:
                                        ; implicit-def: $vgpr8_vgpr9
                                        ; implicit-def: $sgpr14_sgpr15
	s_cbranch_execz .LBB162_9
; %bb.12:
	s_load_dwordx2 s[2:3], s[0:1], 0x0
                                        ; implicit-def: $vgpr8_vgpr9
	s_waitcnt lgkmcnt(0)
	v_cmp_gt_i64_e32 vcc, s[2:3], v[2:3]
	s_and_saveexec_b64 s[2:3], vcc
                                        ; implicit-def: $sgpr14_sgpr15
; %bb.13:
	s_mov_b32 s15, 0
	s_or_b64 s[8:9], s[8:9], exec
	v_mov_b64_e32 v[8:9], v[2:3]
; %bb.14:
	s_or_b64 exec, exec, s[2:3]
	s_and_b64 exec, exec, s[8:9]
	s_cbranch_execz .LBB162_10
.LBB162_15:
	s_load_dwordx8 s[4:11], s[0:1], 0x28
	v_lshlrev_b64 v[2:3], 3, v[8:9]
	v_mov_b32_e32 v14, s15
	v_and_b32_e32 v0, 15, v0
	v_mov_b32_e32 v1, 0
	s_waitcnt lgkmcnt(0)
	v_lshl_add_u64 v[10:11], s[4:5], 0, v[2:3]
	s_cmp_eq_u64 s[6:7], 0
	v_lshl_add_u64 v[2:3], s[6:7], 0, v[2:3]
	global_load_dwordx2 v[12:13], v[10:11], off
	v_lshl_add_u64 v[10:11], v[10:11], 0, 8
	s_cselect_b64 vcc, -1, 0
	v_cndmask_b32_e32 v3, v3, v11, vcc
	v_cndmask_b32_e32 v2, v2, v10, vcc
	global_load_dwordx2 v[2:3], v[2:3], off
	s_load_dword s2, s[0:1], 0x8
	s_load_dwordx2 s[4:5], s[0:1], 0x48
	s_waitcnt lgkmcnt(0)
	s_cmp_eq_u32 s2, 1
	s_waitcnt vmcnt(1)
	v_subrev_co_u32_e32 v10, vcc, s12, v12
	s_nop 1
	v_subb_co_u32_e32 v11, vcc, v13, v14, vcc
	v_lshl_add_u64 v[10:11], v[10:11], 0, v[0:1]
	s_waitcnt vmcnt(0)
	v_subrev_co_u32_e32 v12, vcc, s12, v2
	s_nop 1
	v_subb_co_u32_e32 v13, vcc, v3, v14, vcc
	v_mad_u64_u32 v[14:15], s[2:3], v10, 36, s[10:11]
	v_mov_b32_e32 v2, v15
	v_mad_u64_u32 v[2:3], s[2:3], v11, 36, v[2:3]
	v_mov_b32_e32 v15, v2
	v_cmp_lt_i64_e64 s[2:3], v[10:11], v[12:13]
	s_cbranch_scc1 .LBB162_21
; %bb.16:
	v_mov_b64_e32 v[2:3], 0
	s_mov_b64 s[6:7], 0
	v_mov_b64_e32 v[16:17], v[2:3]
	v_mov_b64_e32 v[18:19], v[2:3]
	s_and_saveexec_b64 s[10:11], s[2:3]
	s_cbranch_execz .LBB162_20
; %bb.17:
	v_mov_b64_e32 v[2:3], 0
	v_lshl_add_u64 v[20:21], v[10:11], 3, s[8:9]
	s_mov_b64 s[16:17], 0
	v_mov_b32_e32 v1, s15
	s_mov_b64 s[18:19], 0x240
	s_mov_b64 s[20:21], 0x80
	v_mov_b64_e32 v[22:23], v[14:15]
	v_mov_b64_e32 v[24:25], v[10:11]
	;; [unrolled: 1-line block ×4, first 2 shown]
.LBB162_18:                             ; =>This Inner Loop Header: Depth=1
	global_load_dwordx2 v[34:35], v[20:21], off
	global_load_dwordx4 v[26:29], v[22:23], off offset:16
	global_load_dwordx4 v[30:33], v[22:23], off
	v_lshl_add_u64 v[24:25], v[24:25], 0, 16
	v_lshl_add_u64 v[20:21], v[20:21], 0, s[20:21]
	s_waitcnt vmcnt(2)
	v_subrev_co_u32_e32 v34, vcc, s12, v34
	v_mad_u64_u32 v[38:39], s[22:23], v34, 24, s[4:5]
	s_nop 0
	v_subb_co_u32_e32 v35, vcc, v35, v1, vcc
	v_mov_b32_e32 v34, v39
	v_mad_u64_u32 v[34:35], s[22:23], v35, 24, v[34:35]
	v_mov_b32_e32 v39, v34
	global_load_dwordx2 v[40:41], v[38:39], off offset:16
	global_load_dwordx4 v[34:37], v[38:39], off
	global_load_dword v48, v[22:23], off offset:32
	s_waitcnt vmcnt(3)
	v_cvt_f64_f32_e32 v[38:39], v30
	v_cvt_f64_f32_e32 v[42:43], v32
	;; [unrolled: 1-line block ×7, first 2 shown]
	v_cmp_ge_i64_e32 vcc, v[24:25], v[12:13]
	v_cvt_f64_f32_e32 v[26:27], v27
	v_lshl_add_u64 v[22:23], v[22:23], 0, s[18:19]
	s_or_b64 s[16:17], vcc, s[16:17]
	s_waitcnt vmcnt(1)
	v_fmac_f64_e32 v[18:19], v[38:39], v[34:35]
	v_fmac_f64_e32 v[16:17], v[32:33], v[34:35]
	;; [unrolled: 1-line block ×3, first 2 shown]
	s_waitcnt vmcnt(0)
	v_cvt_f64_f32_e32 v[48:49], v48
	v_fmac_f64_e32 v[18:19], v[30:31], v[36:37]
	v_fmac_f64_e32 v[16:17], v[44:45], v[36:37]
	;; [unrolled: 1-line block ×6, first 2 shown]
	s_andn2_b64 exec, exec, s[16:17]
	s_cbranch_execnz .LBB162_18
; %bb.19:
	s_or_b64 exec, exec, s[16:17]
.LBB162_20:
	s_or_b64 exec, exec, s[10:11]
	s_andn2_b64 vcc, exec, s[6:7]
	s_cbranch_vccz .LBB162_22
	s_branch .LBB162_27
.LBB162_21:
                                        ; implicit-def: $vgpr2_vgpr3
                                        ; implicit-def: $vgpr16_vgpr17
                                        ; implicit-def: $vgpr18_vgpr19
.LBB162_22:
	v_mov_b64_e32 v[2:3], 0
	v_mov_b64_e32 v[16:17], v[2:3]
	;; [unrolled: 1-line block ×3, first 2 shown]
	s_and_saveexec_b64 s[6:7], s[2:3]
	s_cbranch_execz .LBB162_26
; %bb.23:
	v_mov_b64_e32 v[2:3], 0
	v_lshl_add_u64 v[20:21], v[10:11], 3, s[8:9]
	s_mov_b64 s[2:3], 0
	v_mov_b32_e32 v1, s15
	s_mov_b64 s[8:9], 0x240
	s_mov_b64 s[10:11], 0x80
	v_mov_b64_e32 v[16:17], v[2:3]
	v_mov_b64_e32 v[18:19], v[2:3]
.LBB162_24:                             ; =>This Inner Loop Header: Depth=1
	global_load_dwordx2 v[30:31], v[20:21], off
	global_load_dwordx4 v[22:25], v[14:15], off offset:16
	global_load_dwordx4 v[26:29], v[14:15], off
	v_lshl_add_u64 v[10:11], v[10:11], 0, 16
	v_lshl_add_u64 v[20:21], v[20:21], 0, s[10:11]
	s_waitcnt vmcnt(2)
	v_subrev_co_u32_e32 v30, vcc, s12, v30
	v_mad_u64_u32 v[34:35], s[14:15], v30, 24, s[4:5]
	s_nop 0
	v_subb_co_u32_e32 v31, vcc, v31, v1, vcc
	v_mov_b32_e32 v30, v35
	v_mad_u64_u32 v[30:31], s[14:15], v31, 24, v[30:31]
	v_mov_b32_e32 v35, v30
	global_load_dwordx2 v[36:37], v[34:35], off offset:16
	global_load_dwordx4 v[30:33], v[34:35], off
	global_load_dword v44, v[14:15], off offset:32
	s_waitcnt vmcnt(3)
	v_cvt_f64_f32_e32 v[34:35], v26
	v_cvt_f64_f32_e32 v[26:27], v27
	;; [unrolled: 1-line block ×6, first 2 shown]
	v_cmp_ge_i64_e32 vcc, v[10:11], v[12:13]
	v_cvt_f64_f32_e32 v[42:43], v24
	v_cvt_f64_f32_e32 v[24:25], v25
	v_lshl_add_u64 v[14:15], v[14:15], 0, s[8:9]
	s_or_b64 s[2:3], vcc, s[2:3]
	s_waitcnt vmcnt(1)
	v_fmac_f64_e32 v[18:19], v[34:35], v[30:31]
	v_fmac_f64_e32 v[16:17], v[26:27], v[30:31]
	;; [unrolled: 1-line block ×3, first 2 shown]
	s_waitcnt vmcnt(0)
	v_cvt_f64_f32_e32 v[44:45], v44
	v_fmac_f64_e32 v[18:19], v[28:29], v[32:33]
	v_fmac_f64_e32 v[16:17], v[40:41], v[32:33]
	;; [unrolled: 1-line block ×6, first 2 shown]
	s_andn2_b64 exec, exec, s[2:3]
	s_cbranch_execnz .LBB162_24
; %bb.25:
	s_or_b64 exec, exec, s[2:3]
.LBB162_26:
	s_or_b64 exec, exec, s[6:7]
.LBB162_27:
	v_mov_b32_dpp v10, v18 row_shr:1 row_mask:0xf bank_mask:0xf
	v_mov_b32_dpp v11, v19 row_shr:1 row_mask:0xf bank_mask:0xf
	v_add_f64 v[10:11], v[18:19], v[10:11]
	v_mov_b32_dpp v14, v16 row_shr:1 row_mask:0xf bank_mask:0xf
	v_mov_b32_dpp v15, v17 row_shr:1 row_mask:0xf bank_mask:0xf
	;; [unrolled: 1-line block ×4, first 2 shown]
	v_add_f64 v[14:15], v[16:17], v[14:15]
	v_add_f64 v[2:3], v[2:3], v[18:19]
	v_mov_b32_dpp v12, v10 row_shr:2 row_mask:0xf bank_mask:0xf
	v_mov_b32_dpp v13, v11 row_shr:2 row_mask:0xf bank_mask:0xf
	v_mov_b32_dpp v16, v14 row_shr:2 row_mask:0xf bank_mask:0xf
	v_mov_b32_dpp v17, v15 row_shr:2 row_mask:0xf bank_mask:0xf
	v_mov_b32_dpp v18, v2 row_shr:2 row_mask:0xf bank_mask:0xf
	v_mov_b32_dpp v19, v3 row_shr:2 row_mask:0xf bank_mask:0xf
	v_add_f64 v[10:11], v[10:11], v[12:13]
	v_add_f64 v[14:15], v[14:15], v[16:17]
	v_add_f64 v[2:3], v[2:3], v[18:19]
	v_mov_b32_dpp v12, v10 row_shr:4 row_mask:0xf bank_mask:0xe
	v_mov_b32_dpp v13, v11 row_shr:4 row_mask:0xf bank_mask:0xe
	;; [unrolled: 1-line block ×6, first 2 shown]
	v_add_f64 v[10:11], v[10:11], v[12:13]
	v_add_f64 v[14:15], v[14:15], v[16:17]
	;; [unrolled: 1-line block ×3, first 2 shown]
	v_mov_b32_dpp v12, v10 row_shr:8 row_mask:0xf bank_mask:0xc
	v_mov_b32_dpp v13, v11 row_shr:8 row_mask:0xf bank_mask:0xc
	;; [unrolled: 1-line block ×6, first 2 shown]
	v_cmp_eq_u32_e32 vcc, 15, v0
	s_and_b64 exec, exec, vcc
	s_cbranch_execz .LBB162_10
; %bb.28:
	s_load_dwordx2 s[0:1], s[0:1], 0x58
	v_add_f64 v[0:1], v[10:11], v[12:13]
	v_add_f64 v[10:11], v[14:15], v[16:17]
	;; [unrolled: 1-line block ×3, first 2 shown]
	v_cmp_eq_f64_e32 vcc, 0, v[4:5]
	v_mul_f64 v[0:1], v[6:7], v[0:1]
	v_mul_f64 v[2:3], v[6:7], v[10:11]
	;; [unrolled: 1-line block ×3, first 2 shown]
	s_and_saveexec_b64 s[2:3], vcc
	s_xor_b64 s[2:3], exec, s[2:3]
	s_cbranch_execz .LBB162_30
; %bb.29:
	s_waitcnt lgkmcnt(0)
	v_mad_u64_u32 v[4:5], s[4:5], v8, 24, s[0:1]
	v_mov_b32_e32 v8, v5
	v_mad_u64_u32 v[8:9], s[4:5], v9, 24, v[8:9]
	v_mov_b32_e32 v5, v8
	global_store_dwordx4 v[4:5], v[0:3], off
	global_store_dwordx2 v[4:5], v[6:7], off offset:16
                                        ; implicit-def: $vgpr8_vgpr9
                                        ; implicit-def: $vgpr4_vgpr5
                                        ; implicit-def: $vgpr0_vgpr1
                                        ; implicit-def: $vgpr6_vgpr7
.LBB162_30:
	s_andn2_saveexec_b64 s[2:3], s[2:3]
	s_cbranch_execz .LBB162_10
; %bb.31:
	s_waitcnt lgkmcnt(0)
	v_mad_u64_u32 v[12:13], s[0:1], v8, 24, s[0:1]
	v_mov_b32_e32 v8, v13
	v_mad_u64_u32 v[8:9], s[0:1], v9, 24, v[8:9]
	v_mov_b32_e32 v13, v8
	global_load_dwordx4 v[8:11], v[12:13], off
	global_load_dwordx2 v[14:15], v[12:13], off offset:16
	s_waitcnt vmcnt(1)
	v_fmac_f64_e32 v[0:1], v[4:5], v[8:9]
	v_fmac_f64_e32 v[2:3], v[4:5], v[10:11]
	s_waitcnt vmcnt(0)
	v_fmac_f64_e32 v[6:7], v[4:5], v[14:15]
	global_store_dwordx4 v[12:13], v[0:3], off
	global_store_dwordx2 v[12:13], v[6:7], off offset:16
	s_endpgm
	.section	.rodata,"a",@progbits
	.p2align	6, 0x0
	.amdhsa_kernel _ZN9rocsparseL18bsrxmvn_3x3_kernelILj256ELj16EdllfddEEvT3_20rocsparse_direction_NS_24const_host_device_scalarIT1_EES1_PKS1_PKT2_SA_S7_PKT4_PKT5_S5_PT6_21rocsparse_index_base_b
		.amdhsa_group_segment_fixed_size 0
		.amdhsa_private_segment_fixed_size 0
		.amdhsa_kernarg_size 104
		.amdhsa_user_sgpr_count 2
		.amdhsa_user_sgpr_dispatch_ptr 0
		.amdhsa_user_sgpr_queue_ptr 0
		.amdhsa_user_sgpr_kernarg_segment_ptr 1
		.amdhsa_user_sgpr_dispatch_id 0
		.amdhsa_user_sgpr_kernarg_preload_length 0
		.amdhsa_user_sgpr_kernarg_preload_offset 0
		.amdhsa_user_sgpr_private_segment_size 0
		.amdhsa_uses_dynamic_stack 0
		.amdhsa_enable_private_segment 0
		.amdhsa_system_sgpr_workgroup_id_x 1
		.amdhsa_system_sgpr_workgroup_id_y 0
		.amdhsa_system_sgpr_workgroup_id_z 0
		.amdhsa_system_sgpr_workgroup_info 0
		.amdhsa_system_vgpr_workitem_id 0
		.amdhsa_next_free_vgpr 50
		.amdhsa_next_free_sgpr 24
		.amdhsa_accum_offset 52
		.amdhsa_reserve_vcc 1
		.amdhsa_float_round_mode_32 0
		.amdhsa_float_round_mode_16_64 0
		.amdhsa_float_denorm_mode_32 3
		.amdhsa_float_denorm_mode_16_64 3
		.amdhsa_dx10_clamp 1
		.amdhsa_ieee_mode 1
		.amdhsa_fp16_overflow 0
		.amdhsa_tg_split 0
		.amdhsa_exception_fp_ieee_invalid_op 0
		.amdhsa_exception_fp_denorm_src 0
		.amdhsa_exception_fp_ieee_div_zero 0
		.amdhsa_exception_fp_ieee_overflow 0
		.amdhsa_exception_fp_ieee_underflow 0
		.amdhsa_exception_fp_ieee_inexact 0
		.amdhsa_exception_int_div_zero 0
	.end_amdhsa_kernel
	.section	.text._ZN9rocsparseL18bsrxmvn_3x3_kernelILj256ELj16EdllfddEEvT3_20rocsparse_direction_NS_24const_host_device_scalarIT1_EES1_PKS1_PKT2_SA_S7_PKT4_PKT5_S5_PT6_21rocsparse_index_base_b,"axG",@progbits,_ZN9rocsparseL18bsrxmvn_3x3_kernelILj256ELj16EdllfddEEvT3_20rocsparse_direction_NS_24const_host_device_scalarIT1_EES1_PKS1_PKT2_SA_S7_PKT4_PKT5_S5_PT6_21rocsparse_index_base_b,comdat
.Lfunc_end162:
	.size	_ZN9rocsparseL18bsrxmvn_3x3_kernelILj256ELj16EdllfddEEvT3_20rocsparse_direction_NS_24const_host_device_scalarIT1_EES1_PKS1_PKT2_SA_S7_PKT4_PKT5_S5_PT6_21rocsparse_index_base_b, .Lfunc_end162-_ZN9rocsparseL18bsrxmvn_3x3_kernelILj256ELj16EdllfddEEvT3_20rocsparse_direction_NS_24const_host_device_scalarIT1_EES1_PKS1_PKT2_SA_S7_PKT4_PKT5_S5_PT6_21rocsparse_index_base_b
                                        ; -- End function
	.section	.AMDGPU.csdata,"",@progbits
; Kernel info:
; codeLenInByte = 1548
; NumSgprs: 30
; NumVgprs: 50
; NumAgprs: 0
; TotalNumVgprs: 50
; ScratchSize: 0
; MemoryBound: 0
; FloatMode: 240
; IeeeMode: 1
; LDSByteSize: 0 bytes/workgroup (compile time only)
; SGPRBlocks: 3
; VGPRBlocks: 6
; NumSGPRsForWavesPerEU: 30
; NumVGPRsForWavesPerEU: 50
; AccumOffset: 52
; Occupancy: 8
; WaveLimiterHint : 1
; COMPUTE_PGM_RSRC2:SCRATCH_EN: 0
; COMPUTE_PGM_RSRC2:USER_SGPR: 2
; COMPUTE_PGM_RSRC2:TRAP_HANDLER: 0
; COMPUTE_PGM_RSRC2:TGID_X_EN: 1
; COMPUTE_PGM_RSRC2:TGID_Y_EN: 0
; COMPUTE_PGM_RSRC2:TGID_Z_EN: 0
; COMPUTE_PGM_RSRC2:TIDIG_COMP_CNT: 0
; COMPUTE_PGM_RSRC3_GFX90A:ACCUM_OFFSET: 12
; COMPUTE_PGM_RSRC3_GFX90A:TG_SPLIT: 0
	.section	.text._ZN9rocsparseL18bsrxmvn_3x3_kernelILj256ELj32EdllfddEEvT3_20rocsparse_direction_NS_24const_host_device_scalarIT1_EES1_PKS1_PKT2_SA_S7_PKT4_PKT5_S5_PT6_21rocsparse_index_base_b,"axG",@progbits,_ZN9rocsparseL18bsrxmvn_3x3_kernelILj256ELj32EdllfddEEvT3_20rocsparse_direction_NS_24const_host_device_scalarIT1_EES1_PKS1_PKT2_SA_S7_PKT4_PKT5_S5_PT6_21rocsparse_index_base_b,comdat
	.globl	_ZN9rocsparseL18bsrxmvn_3x3_kernelILj256ELj32EdllfddEEvT3_20rocsparse_direction_NS_24const_host_device_scalarIT1_EES1_PKS1_PKT2_SA_S7_PKT4_PKT5_S5_PT6_21rocsparse_index_base_b ; -- Begin function _ZN9rocsparseL18bsrxmvn_3x3_kernelILj256ELj32EdllfddEEvT3_20rocsparse_direction_NS_24const_host_device_scalarIT1_EES1_PKS1_PKT2_SA_S7_PKT4_PKT5_S5_PT6_21rocsparse_index_base_b
	.p2align	8
	.type	_ZN9rocsparseL18bsrxmvn_3x3_kernelILj256ELj32EdllfddEEvT3_20rocsparse_direction_NS_24const_host_device_scalarIT1_EES1_PKS1_PKT2_SA_S7_PKT4_PKT5_S5_PT6_21rocsparse_index_base_b,@function
_ZN9rocsparseL18bsrxmvn_3x3_kernelILj256ELj32EdllfddEEvT3_20rocsparse_direction_NS_24const_host_device_scalarIT1_EES1_PKS1_PKT2_SA_S7_PKT4_PKT5_S5_PT6_21rocsparse_index_base_b: ; @_ZN9rocsparseL18bsrxmvn_3x3_kernelILj256ELj32EdllfddEEvT3_20rocsparse_direction_NS_24const_host_device_scalarIT1_EES1_PKS1_PKT2_SA_S7_PKT4_PKT5_S5_PT6_21rocsparse_index_base_b
; %bb.0:
	s_load_dwordx2 s[12:13], s[0:1], 0x60
	s_load_dwordx4 s[4:7], s[0:1], 0x10
	s_load_dwordx2 s[8:9], s[0:1], 0x50
	s_waitcnt lgkmcnt(0)
	s_bitcmp1_b32 s13, 0
	s_cselect_b64 s[14:15], -1, 0
	s_xor_b64 s[10:11], s[14:15], -1
	s_and_b64 vcc, exec, s[14:15]
	v_mov_b64_e32 v[6:7], s[4:5]
	s_cbranch_vccnz .LBB163_2
; %bb.1:
	v_mov_b64_e32 v[2:3], s[4:5]
	flat_load_dwordx2 v[6:7], v[2:3]
.LBB163_2:
	s_andn2_b64 vcc, exec, s[10:11]
	v_mov_b64_e32 v[4:5], s[8:9]
	s_cbranch_vccnz .LBB163_4
; %bb.3:
	v_mov_b64_e32 v[2:3], s[8:9]
	flat_load_dwordx2 v[4:5], v[2:3]
.LBB163_4:
	s_waitcnt vmcnt(0) lgkmcnt(0)
	v_cmp_neq_f64_e32 vcc, 0, v[6:7]
	v_cmp_neq_f64_e64 s[4:5], 1.0, v[4:5]
	s_mov_b64 s[8:9], 0
	s_or_b64 s[4:5], vcc, s[4:5]
	s_and_saveexec_b64 s[10:11], s[4:5]
	s_cbranch_execz .LBB163_10
; %bb.5:
	s_load_dwordx2 s[4:5], s[0:1], 0x20
	v_lshrrev_b32_e32 v1, 5, v0
	v_lshl_or_b32 v2, s2, 3, v1
	v_mov_b32_e32 v3, 0
	s_mov_b64 s[2:3], 0
	s_waitcnt lgkmcnt(0)
	s_cmp_lg_u64 s[4:5], 0
	s_cbranch_scc0 .LBB163_11
; %bb.6:
	v_cmp_gt_i64_e32 vcc, s[6:7], v[2:3]
                                        ; implicit-def: $vgpr8_vgpr9
	s_and_saveexec_b64 s[6:7], vcc
	s_xor_b64 s[6:7], exec, s[6:7]
                                        ; implicit-def: $sgpr14_sgpr15
	s_cbranch_execz .LBB163_8
; %bb.7:
	v_lshl_add_u64 v[8:9], v[2:3], 3, s[4:5]
	global_load_dwordx2 v[8:9], v[8:9], off
	s_mov_b64 s[2:3], exec
	s_mov_b32 s15, 0
	s_waitcnt vmcnt(0)
	v_subrev_co_u32_e32 v8, vcc, s12, v8
	s_nop 1
	v_subbrev_co_u32_e32 v9, vcc, 0, v9, vcc
.LBB163_8:
	s_or_b64 exec, exec, s[6:7]
	s_mov_b64 s[8:9], s[2:3]
.LBB163_9:
	s_and_b64 exec, exec, s[8:9]
	s_cbranch_execnz .LBB163_15
.LBB163_10:
	s_endpgm
.LBB163_11:
                                        ; implicit-def: $vgpr8_vgpr9
                                        ; implicit-def: $sgpr14_sgpr15
	s_cbranch_execz .LBB163_9
; %bb.12:
	s_load_dwordx2 s[2:3], s[0:1], 0x0
                                        ; implicit-def: $vgpr8_vgpr9
	s_waitcnt lgkmcnt(0)
	v_cmp_gt_i64_e32 vcc, s[2:3], v[2:3]
	s_and_saveexec_b64 s[2:3], vcc
                                        ; implicit-def: $sgpr14_sgpr15
; %bb.13:
	s_mov_b32 s15, 0
	s_or_b64 s[8:9], s[8:9], exec
	v_mov_b64_e32 v[8:9], v[2:3]
; %bb.14:
	s_or_b64 exec, exec, s[2:3]
	s_and_b64 exec, exec, s[8:9]
	s_cbranch_execz .LBB163_10
.LBB163_15:
	s_load_dwordx8 s[4:11], s[0:1], 0x28
	v_lshlrev_b64 v[2:3], 3, v[8:9]
	v_mov_b32_e32 v15, s15
	v_and_b32_e32 v0, 31, v0
	v_mov_b32_e32 v1, 0
	s_waitcnt lgkmcnt(0)
	v_lshl_add_u64 v[10:11], s[4:5], 0, v[2:3]
	global_load_dwordx2 v[12:13], v[10:11], off
	s_cmp_eq_u64 s[6:7], 0
	v_lshl_add_u64 v[2:3], s[6:7], 0, v[2:3]
	v_lshl_add_u64 v[10:11], v[10:11], 0, 8
	s_cselect_b64 vcc, -1, 0
	v_cndmask_b32_e32 v3, v3, v11, vcc
	v_cndmask_b32_e32 v2, v2, v10, vcc
	global_load_dwordx2 v[2:3], v[2:3], off
	s_load_dword s2, s[0:1], 0x8
	s_load_dwordx2 s[4:5], s[0:1], 0x48
	s_waitcnt lgkmcnt(0)
	s_cmp_eq_u32 s2, 1
	s_waitcnt vmcnt(1)
	v_subrev_co_u32_e32 v10, vcc, s12, v12
	s_nop 1
	v_subb_co_u32_e32 v11, vcc, v13, v15, vcc
	v_lshl_add_u64 v[12:13], v[10:11], 0, v[0:1]
	v_mad_u64_u32 v[16:17], s[2:3], v12, 36, s[10:11]
	s_waitcnt vmcnt(0)
	v_subrev_co_u32_e32 v14, vcc, s12, v2
	v_mov_b32_e32 v2, v17
	s_nop 0
	v_subb_co_u32_e32 v15, vcc, v3, v15, vcc
	v_mad_u64_u32 v[2:3], s[2:3], v13, 36, v[2:3]
	v_mov_b32_e32 v17, v2
	v_cmp_lt_i64_e64 s[2:3], v[12:13], v[14:15]
	s_cbranch_scc1 .LBB163_21
; %bb.16:
	v_mov_b64_e32 v[2:3], 0
	s_mov_b64 s[6:7], 0
	v_mov_b64_e32 v[10:11], v[2:3]
	v_mov_b64_e32 v[18:19], v[2:3]
	s_and_saveexec_b64 s[10:11], s[2:3]
	s_cbranch_execz .LBB163_20
; %bb.17:
	v_mov_b64_e32 v[2:3], 0
	v_lshl_add_u64 v[20:21], v[12:13], 3, s[8:9]
	s_mov_b64 s[16:17], 0
	v_mov_b32_e32 v1, s15
	s_mov_b64 s[18:19], 0x480
	s_mov_b64 s[20:21], 0x100
	v_mov_b64_e32 v[22:23], v[16:17]
	v_mov_b64_e32 v[24:25], v[12:13]
	;; [unrolled: 1-line block ×4, first 2 shown]
.LBB163_18:                             ; =>This Inner Loop Header: Depth=1
	global_load_dwordx2 v[34:35], v[20:21], off
	global_load_dwordx4 v[26:29], v[22:23], off offset:16
	global_load_dwordx4 v[30:33], v[22:23], off
	v_lshl_add_u64 v[24:25], v[24:25], 0, 32
	v_lshl_add_u64 v[20:21], v[20:21], 0, s[20:21]
	s_waitcnt vmcnt(2)
	v_subrev_co_u32_e32 v34, vcc, s12, v34
	v_mad_u64_u32 v[38:39], s[22:23], v34, 24, s[4:5]
	s_nop 0
	v_subb_co_u32_e32 v35, vcc, v35, v1, vcc
	v_mov_b32_e32 v34, v39
	v_mad_u64_u32 v[34:35], s[22:23], v35, 24, v[34:35]
	v_mov_b32_e32 v39, v34
	global_load_dwordx2 v[40:41], v[38:39], off offset:16
	global_load_dwordx4 v[34:37], v[38:39], off
	global_load_dword v48, v[22:23], off offset:32
	s_waitcnt vmcnt(3)
	v_cvt_f64_f32_e32 v[38:39], v30
	v_cvt_f64_f32_e32 v[42:43], v32
	;; [unrolled: 1-line block ×7, first 2 shown]
	v_cmp_ge_i64_e32 vcc, v[24:25], v[14:15]
	v_cvt_f64_f32_e32 v[26:27], v27
	v_lshl_add_u64 v[22:23], v[22:23], 0, s[18:19]
	s_or_b64 s[16:17], vcc, s[16:17]
	s_waitcnt vmcnt(1)
	v_fmac_f64_e32 v[18:19], v[38:39], v[34:35]
	v_fmac_f64_e32 v[10:11], v[32:33], v[34:35]
	;; [unrolled: 1-line block ×3, first 2 shown]
	s_waitcnt vmcnt(0)
	v_cvt_f64_f32_e32 v[48:49], v48
	v_fmac_f64_e32 v[18:19], v[30:31], v[36:37]
	v_fmac_f64_e32 v[10:11], v[44:45], v[36:37]
	;; [unrolled: 1-line block ×6, first 2 shown]
	s_andn2_b64 exec, exec, s[16:17]
	s_cbranch_execnz .LBB163_18
; %bb.19:
	s_or_b64 exec, exec, s[16:17]
.LBB163_20:
	s_or_b64 exec, exec, s[10:11]
	s_andn2_b64 vcc, exec, s[6:7]
	s_cbranch_vccz .LBB163_22
	s_branch .LBB163_27
.LBB163_21:
                                        ; implicit-def: $vgpr2_vgpr3
                                        ; implicit-def: $vgpr10_vgpr11
                                        ; implicit-def: $vgpr18_vgpr19
.LBB163_22:
	v_mov_b64_e32 v[2:3], 0
	v_mov_b64_e32 v[10:11], v[2:3]
	;; [unrolled: 1-line block ×3, first 2 shown]
	s_and_saveexec_b64 s[6:7], s[2:3]
	s_cbranch_execz .LBB163_26
; %bb.23:
	v_mov_b64_e32 v[2:3], 0
	v_lshl_add_u64 v[20:21], v[12:13], 3, s[8:9]
	s_mov_b64 s[2:3], 0
	v_mov_b32_e32 v1, s15
	s_mov_b64 s[8:9], 0x480
	s_mov_b64 s[10:11], 0x100
	v_mov_b64_e32 v[10:11], v[2:3]
	v_mov_b64_e32 v[18:19], v[2:3]
.LBB163_24:                             ; =>This Inner Loop Header: Depth=1
	global_load_dwordx2 v[30:31], v[20:21], off
	global_load_dwordx4 v[22:25], v[16:17], off offset:16
	global_load_dwordx4 v[26:29], v[16:17], off
	v_lshl_add_u64 v[12:13], v[12:13], 0, 32
	v_lshl_add_u64 v[20:21], v[20:21], 0, s[10:11]
	s_waitcnt vmcnt(2)
	v_subrev_co_u32_e32 v30, vcc, s12, v30
	v_mad_u64_u32 v[34:35], s[14:15], v30, 24, s[4:5]
	s_nop 0
	v_subb_co_u32_e32 v31, vcc, v31, v1, vcc
	v_mov_b32_e32 v30, v35
	v_mad_u64_u32 v[30:31], s[14:15], v31, 24, v[30:31]
	v_mov_b32_e32 v35, v30
	global_load_dwordx2 v[36:37], v[34:35], off offset:16
	global_load_dwordx4 v[30:33], v[34:35], off
	global_load_dword v44, v[16:17], off offset:32
	s_waitcnt vmcnt(3)
	v_cvt_f64_f32_e32 v[34:35], v26
	v_cvt_f64_f32_e32 v[26:27], v27
	;; [unrolled: 1-line block ×6, first 2 shown]
	v_cmp_ge_i64_e32 vcc, v[12:13], v[14:15]
	v_cvt_f64_f32_e32 v[42:43], v24
	v_cvt_f64_f32_e32 v[24:25], v25
	v_lshl_add_u64 v[16:17], v[16:17], 0, s[8:9]
	s_or_b64 s[2:3], vcc, s[2:3]
	s_waitcnt vmcnt(1)
	v_fmac_f64_e32 v[18:19], v[34:35], v[30:31]
	v_fmac_f64_e32 v[10:11], v[26:27], v[30:31]
	;; [unrolled: 1-line block ×3, first 2 shown]
	s_waitcnt vmcnt(0)
	v_cvt_f64_f32_e32 v[44:45], v44
	v_fmac_f64_e32 v[18:19], v[28:29], v[32:33]
	v_fmac_f64_e32 v[10:11], v[40:41], v[32:33]
	;; [unrolled: 1-line block ×6, first 2 shown]
	s_andn2_b64 exec, exec, s[2:3]
	s_cbranch_execnz .LBB163_24
; %bb.25:
	s_or_b64 exec, exec, s[2:3]
.LBB163_26:
	s_or_b64 exec, exec, s[6:7]
.LBB163_27:
	v_mov_b32_dpp v12, v18 row_shr:1 row_mask:0xf bank_mask:0xf
	v_mov_b32_dpp v13, v19 row_shr:1 row_mask:0xf bank_mask:0xf
	v_add_f64 v[12:13], v[18:19], v[12:13]
	v_mov_b32_dpp v16, v10 row_shr:1 row_mask:0xf bank_mask:0xf
	v_mov_b32_dpp v17, v11 row_shr:1 row_mask:0xf bank_mask:0xf
	;; [unrolled: 1-line block ×4, first 2 shown]
	v_add_f64 v[10:11], v[10:11], v[16:17]
	v_add_f64 v[2:3], v[2:3], v[18:19]
	v_mov_b32_dpp v14, v12 row_shr:2 row_mask:0xf bank_mask:0xf
	v_mov_b32_dpp v15, v13 row_shr:2 row_mask:0xf bank_mask:0xf
	v_mov_b32_dpp v16, v10 row_shr:2 row_mask:0xf bank_mask:0xf
	v_mov_b32_dpp v17, v11 row_shr:2 row_mask:0xf bank_mask:0xf
	v_mov_b32_dpp v18, v2 row_shr:2 row_mask:0xf bank_mask:0xf
	v_mov_b32_dpp v19, v3 row_shr:2 row_mask:0xf bank_mask:0xf
	v_add_f64 v[12:13], v[12:13], v[14:15]
	v_add_f64 v[10:11], v[10:11], v[16:17]
	v_add_f64 v[2:3], v[2:3], v[18:19]
	v_mov_b32_dpp v14, v12 row_shr:4 row_mask:0xf bank_mask:0xe
	v_mov_b32_dpp v15, v13 row_shr:4 row_mask:0xf bank_mask:0xe
	v_mov_b32_dpp v16, v10 row_shr:4 row_mask:0xf bank_mask:0xe
	v_mov_b32_dpp v17, v11 row_shr:4 row_mask:0xf bank_mask:0xe
	v_mov_b32_dpp v18, v2 row_shr:4 row_mask:0xf bank_mask:0xe
	v_mov_b32_dpp v19, v3 row_shr:4 row_mask:0xf bank_mask:0xe
	v_add_f64 v[12:13], v[12:13], v[14:15]
	;; [unrolled: 9-line block ×3, first 2 shown]
	v_add_f64 v[10:11], v[10:11], v[16:17]
	v_add_f64 v[2:3], v[2:3], v[18:19]
	v_mov_b32_dpp v14, v12 row_bcast:15 row_mask:0xa bank_mask:0xf
	v_mov_b32_dpp v15, v13 row_bcast:15 row_mask:0xa bank_mask:0xf
	;; [unrolled: 1-line block ×6, first 2 shown]
	v_cmp_eq_u32_e32 vcc, 31, v0
	s_and_b64 exec, exec, vcc
	s_cbranch_execz .LBB163_10
; %bb.28:
	s_load_dwordx2 s[0:1], s[0:1], 0x58
	v_add_f64 v[0:1], v[12:13], v[14:15]
	v_add_f64 v[10:11], v[10:11], v[16:17]
	;; [unrolled: 1-line block ×3, first 2 shown]
	v_cmp_eq_f64_e32 vcc, 0, v[4:5]
	v_mul_f64 v[0:1], v[6:7], v[0:1]
	v_mul_f64 v[2:3], v[6:7], v[10:11]
	;; [unrolled: 1-line block ×3, first 2 shown]
	s_and_saveexec_b64 s[2:3], vcc
	s_xor_b64 s[2:3], exec, s[2:3]
	s_cbranch_execz .LBB163_30
; %bb.29:
	s_waitcnt lgkmcnt(0)
	v_mad_u64_u32 v[4:5], s[4:5], v8, 24, s[0:1]
	v_mov_b32_e32 v8, v5
	v_mad_u64_u32 v[8:9], s[4:5], v9, 24, v[8:9]
	v_mov_b32_e32 v5, v8
	global_store_dwordx4 v[4:5], v[0:3], off
	global_store_dwordx2 v[4:5], v[6:7], off offset:16
                                        ; implicit-def: $vgpr8_vgpr9
                                        ; implicit-def: $vgpr4_vgpr5
                                        ; implicit-def: $vgpr0_vgpr1
                                        ; implicit-def: $vgpr6_vgpr7
.LBB163_30:
	s_andn2_saveexec_b64 s[2:3], s[2:3]
	s_cbranch_execz .LBB163_10
; %bb.31:
	s_waitcnt lgkmcnt(0)
	v_mad_u64_u32 v[12:13], s[0:1], v8, 24, s[0:1]
	v_mov_b32_e32 v8, v13
	v_mad_u64_u32 v[8:9], s[0:1], v9, 24, v[8:9]
	v_mov_b32_e32 v13, v8
	global_load_dwordx4 v[8:11], v[12:13], off
	global_load_dwordx2 v[14:15], v[12:13], off offset:16
	s_waitcnt vmcnt(1)
	v_fmac_f64_e32 v[0:1], v[4:5], v[8:9]
	v_fmac_f64_e32 v[2:3], v[4:5], v[10:11]
	s_waitcnt vmcnt(0)
	v_fmac_f64_e32 v[6:7], v[4:5], v[14:15]
	global_store_dwordx4 v[12:13], v[0:3], off
	global_store_dwordx2 v[12:13], v[6:7], off offset:16
	s_endpgm
	.section	.rodata,"a",@progbits
	.p2align	6, 0x0
	.amdhsa_kernel _ZN9rocsparseL18bsrxmvn_3x3_kernelILj256ELj32EdllfddEEvT3_20rocsparse_direction_NS_24const_host_device_scalarIT1_EES1_PKS1_PKT2_SA_S7_PKT4_PKT5_S5_PT6_21rocsparse_index_base_b
		.amdhsa_group_segment_fixed_size 0
		.amdhsa_private_segment_fixed_size 0
		.amdhsa_kernarg_size 104
		.amdhsa_user_sgpr_count 2
		.amdhsa_user_sgpr_dispatch_ptr 0
		.amdhsa_user_sgpr_queue_ptr 0
		.amdhsa_user_sgpr_kernarg_segment_ptr 1
		.amdhsa_user_sgpr_dispatch_id 0
		.amdhsa_user_sgpr_kernarg_preload_length 0
		.amdhsa_user_sgpr_kernarg_preload_offset 0
		.amdhsa_user_sgpr_private_segment_size 0
		.amdhsa_uses_dynamic_stack 0
		.amdhsa_enable_private_segment 0
		.amdhsa_system_sgpr_workgroup_id_x 1
		.amdhsa_system_sgpr_workgroup_id_y 0
		.amdhsa_system_sgpr_workgroup_id_z 0
		.amdhsa_system_sgpr_workgroup_info 0
		.amdhsa_system_vgpr_workitem_id 0
		.amdhsa_next_free_vgpr 50
		.amdhsa_next_free_sgpr 24
		.amdhsa_accum_offset 52
		.amdhsa_reserve_vcc 1
		.amdhsa_float_round_mode_32 0
		.amdhsa_float_round_mode_16_64 0
		.amdhsa_float_denorm_mode_32 3
		.amdhsa_float_denorm_mode_16_64 3
		.amdhsa_dx10_clamp 1
		.amdhsa_ieee_mode 1
		.amdhsa_fp16_overflow 0
		.amdhsa_tg_split 0
		.amdhsa_exception_fp_ieee_invalid_op 0
		.amdhsa_exception_fp_denorm_src 0
		.amdhsa_exception_fp_ieee_div_zero 0
		.amdhsa_exception_fp_ieee_overflow 0
		.amdhsa_exception_fp_ieee_underflow 0
		.amdhsa_exception_fp_ieee_inexact 0
		.amdhsa_exception_int_div_zero 0
	.end_amdhsa_kernel
	.section	.text._ZN9rocsparseL18bsrxmvn_3x3_kernelILj256ELj32EdllfddEEvT3_20rocsparse_direction_NS_24const_host_device_scalarIT1_EES1_PKS1_PKT2_SA_S7_PKT4_PKT5_S5_PT6_21rocsparse_index_base_b,"axG",@progbits,_ZN9rocsparseL18bsrxmvn_3x3_kernelILj256ELj32EdllfddEEvT3_20rocsparse_direction_NS_24const_host_device_scalarIT1_EES1_PKS1_PKT2_SA_S7_PKT4_PKT5_S5_PT6_21rocsparse_index_base_b,comdat
.Lfunc_end163:
	.size	_ZN9rocsparseL18bsrxmvn_3x3_kernelILj256ELj32EdllfddEEvT3_20rocsparse_direction_NS_24const_host_device_scalarIT1_EES1_PKS1_PKT2_SA_S7_PKT4_PKT5_S5_PT6_21rocsparse_index_base_b, .Lfunc_end163-_ZN9rocsparseL18bsrxmvn_3x3_kernelILj256ELj32EdllfddEEvT3_20rocsparse_direction_NS_24const_host_device_scalarIT1_EES1_PKS1_PKT2_SA_S7_PKT4_PKT5_S5_PT6_21rocsparse_index_base_b
                                        ; -- End function
	.section	.AMDGPU.csdata,"",@progbits
; Kernel info:
; codeLenInByte = 1620
; NumSgprs: 30
; NumVgprs: 50
; NumAgprs: 0
; TotalNumVgprs: 50
; ScratchSize: 0
; MemoryBound: 0
; FloatMode: 240
; IeeeMode: 1
; LDSByteSize: 0 bytes/workgroup (compile time only)
; SGPRBlocks: 3
; VGPRBlocks: 6
; NumSGPRsForWavesPerEU: 30
; NumVGPRsForWavesPerEU: 50
; AccumOffset: 52
; Occupancy: 8
; WaveLimiterHint : 1
; COMPUTE_PGM_RSRC2:SCRATCH_EN: 0
; COMPUTE_PGM_RSRC2:USER_SGPR: 2
; COMPUTE_PGM_RSRC2:TRAP_HANDLER: 0
; COMPUTE_PGM_RSRC2:TGID_X_EN: 1
; COMPUTE_PGM_RSRC2:TGID_Y_EN: 0
; COMPUTE_PGM_RSRC2:TGID_Z_EN: 0
; COMPUTE_PGM_RSRC2:TIDIG_COMP_CNT: 0
; COMPUTE_PGM_RSRC3_GFX90A:ACCUM_OFFSET: 12
; COMPUTE_PGM_RSRC3_GFX90A:TG_SPLIT: 0
	.section	.text._ZN9rocsparseL18bsrxmvn_3x3_kernelILj256ELj64EdllfddEEvT3_20rocsparse_direction_NS_24const_host_device_scalarIT1_EES1_PKS1_PKT2_SA_S7_PKT4_PKT5_S5_PT6_21rocsparse_index_base_b,"axG",@progbits,_ZN9rocsparseL18bsrxmvn_3x3_kernelILj256ELj64EdllfddEEvT3_20rocsparse_direction_NS_24const_host_device_scalarIT1_EES1_PKS1_PKT2_SA_S7_PKT4_PKT5_S5_PT6_21rocsparse_index_base_b,comdat
	.globl	_ZN9rocsparseL18bsrxmvn_3x3_kernelILj256ELj64EdllfddEEvT3_20rocsparse_direction_NS_24const_host_device_scalarIT1_EES1_PKS1_PKT2_SA_S7_PKT4_PKT5_S5_PT6_21rocsparse_index_base_b ; -- Begin function _ZN9rocsparseL18bsrxmvn_3x3_kernelILj256ELj64EdllfddEEvT3_20rocsparse_direction_NS_24const_host_device_scalarIT1_EES1_PKS1_PKT2_SA_S7_PKT4_PKT5_S5_PT6_21rocsparse_index_base_b
	.p2align	8
	.type	_ZN9rocsparseL18bsrxmvn_3x3_kernelILj256ELj64EdllfddEEvT3_20rocsparse_direction_NS_24const_host_device_scalarIT1_EES1_PKS1_PKT2_SA_S7_PKT4_PKT5_S5_PT6_21rocsparse_index_base_b,@function
_ZN9rocsparseL18bsrxmvn_3x3_kernelILj256ELj64EdllfddEEvT3_20rocsparse_direction_NS_24const_host_device_scalarIT1_EES1_PKS1_PKT2_SA_S7_PKT4_PKT5_S5_PT6_21rocsparse_index_base_b: ; @_ZN9rocsparseL18bsrxmvn_3x3_kernelILj256ELj64EdllfddEEvT3_20rocsparse_direction_NS_24const_host_device_scalarIT1_EES1_PKS1_PKT2_SA_S7_PKT4_PKT5_S5_PT6_21rocsparse_index_base_b
; %bb.0:
	s_load_dwordx2 s[12:13], s[0:1], 0x60
	s_load_dwordx4 s[4:7], s[0:1], 0x10
	s_load_dwordx2 s[8:9], s[0:1], 0x50
	s_waitcnt lgkmcnt(0)
	s_bitcmp1_b32 s13, 0
	s_cselect_b64 s[14:15], -1, 0
	s_xor_b64 s[10:11], s[14:15], -1
	s_and_b64 vcc, exec, s[14:15]
	v_mov_b64_e32 v[6:7], s[4:5]
	s_cbranch_vccnz .LBB164_2
; %bb.1:
	v_mov_b64_e32 v[2:3], s[4:5]
	flat_load_dwordx2 v[6:7], v[2:3]
.LBB164_2:
	s_andn2_b64 vcc, exec, s[10:11]
	v_mov_b64_e32 v[4:5], s[8:9]
	s_cbranch_vccnz .LBB164_4
; %bb.3:
	v_mov_b64_e32 v[2:3], s[8:9]
	flat_load_dwordx2 v[4:5], v[2:3]
.LBB164_4:
	s_waitcnt vmcnt(0) lgkmcnt(0)
	v_cmp_neq_f64_e32 vcc, 0, v[6:7]
	v_cmp_neq_f64_e64 s[4:5], 1.0, v[4:5]
	s_mov_b64 s[8:9], 0
	s_or_b64 s[4:5], vcc, s[4:5]
	s_and_saveexec_b64 s[10:11], s[4:5]
	s_cbranch_execz .LBB164_10
; %bb.5:
	s_load_dwordx2 s[4:5], s[0:1], 0x20
	v_lshrrev_b32_e32 v1, 6, v0
	v_lshl_or_b32 v2, s2, 2, v1
	v_mov_b32_e32 v3, 0
	s_mov_b64 s[2:3], 0
	s_waitcnt lgkmcnt(0)
	s_cmp_lg_u64 s[4:5], 0
	s_cbranch_scc0 .LBB164_11
; %bb.6:
	v_cmp_gt_i64_e32 vcc, s[6:7], v[2:3]
                                        ; implicit-def: $vgpr8_vgpr9
	s_and_saveexec_b64 s[6:7], vcc
	s_xor_b64 s[6:7], exec, s[6:7]
                                        ; implicit-def: $sgpr14_sgpr15
	s_cbranch_execz .LBB164_8
; %bb.7:
	v_lshl_add_u64 v[8:9], v[2:3], 3, s[4:5]
	global_load_dwordx2 v[8:9], v[8:9], off
	s_mov_b64 s[2:3], exec
	s_mov_b32 s15, 0
	s_waitcnt vmcnt(0)
	v_subrev_co_u32_e32 v8, vcc, s12, v8
	s_nop 1
	v_subbrev_co_u32_e32 v9, vcc, 0, v9, vcc
.LBB164_8:
	s_or_b64 exec, exec, s[6:7]
	s_mov_b64 s[8:9], s[2:3]
.LBB164_9:
	s_and_b64 exec, exec, s[8:9]
	s_cbranch_execnz .LBB164_15
.LBB164_10:
	s_endpgm
.LBB164_11:
                                        ; implicit-def: $vgpr8_vgpr9
                                        ; implicit-def: $sgpr14_sgpr15
	s_cbranch_execz .LBB164_9
; %bb.12:
	s_load_dwordx2 s[2:3], s[0:1], 0x0
                                        ; implicit-def: $vgpr8_vgpr9
	s_waitcnt lgkmcnt(0)
	v_cmp_gt_i64_e32 vcc, s[2:3], v[2:3]
	s_and_saveexec_b64 s[2:3], vcc
                                        ; implicit-def: $sgpr14_sgpr15
; %bb.13:
	s_mov_b32 s15, 0
	s_or_b64 s[8:9], s[8:9], exec
	v_mov_b64_e32 v[8:9], v[2:3]
; %bb.14:
	s_or_b64 exec, exec, s[2:3]
	s_and_b64 exec, exec, s[8:9]
	s_cbranch_execz .LBB164_10
.LBB164_15:
	s_load_dwordx8 s[4:11], s[0:1], 0x28
	v_lshlrev_b64 v[2:3], 3, v[8:9]
	v_mov_b32_e32 v15, s15
	v_and_b32_e32 v0, 63, v0
	v_mov_b32_e32 v1, 0
	s_waitcnt lgkmcnt(0)
	v_lshl_add_u64 v[10:11], s[4:5], 0, v[2:3]
	global_load_dwordx2 v[12:13], v[10:11], off
	s_cmp_eq_u64 s[6:7], 0
	v_lshl_add_u64 v[2:3], s[6:7], 0, v[2:3]
	v_lshl_add_u64 v[10:11], v[10:11], 0, 8
	s_cselect_b64 vcc, -1, 0
	v_cndmask_b32_e32 v3, v3, v11, vcc
	v_cndmask_b32_e32 v2, v2, v10, vcc
	global_load_dwordx2 v[2:3], v[2:3], off
	s_load_dword s2, s[0:1], 0x8
	s_load_dwordx2 s[4:5], s[0:1], 0x48
	s_waitcnt lgkmcnt(0)
	s_cmp_eq_u32 s2, 1
	s_waitcnt vmcnt(1)
	v_subrev_co_u32_e32 v10, vcc, s12, v12
	s_nop 1
	v_subb_co_u32_e32 v11, vcc, v13, v15, vcc
	v_lshl_add_u64 v[12:13], v[10:11], 0, v[0:1]
	v_mad_u64_u32 v[16:17], s[2:3], v12, 36, s[10:11]
	s_waitcnt vmcnt(0)
	v_subrev_co_u32_e32 v14, vcc, s12, v2
	v_mov_b32_e32 v2, v17
	s_nop 0
	v_subb_co_u32_e32 v15, vcc, v3, v15, vcc
	v_mad_u64_u32 v[2:3], s[2:3], v13, 36, v[2:3]
	v_mov_b32_e32 v17, v2
	v_cmp_lt_i64_e64 s[2:3], v[12:13], v[14:15]
	s_cbranch_scc1 .LBB164_21
; %bb.16:
	v_mov_b64_e32 v[2:3], 0
	s_mov_b64 s[6:7], 0
	v_mov_b64_e32 v[10:11], v[2:3]
	v_mov_b64_e32 v[18:19], v[2:3]
	s_and_saveexec_b64 s[10:11], s[2:3]
	s_cbranch_execz .LBB164_20
; %bb.17:
	v_mov_b64_e32 v[2:3], 0
	v_lshl_add_u64 v[20:21], v[12:13], 3, s[8:9]
	s_mov_b64 s[16:17], 0
	v_mov_b32_e32 v1, s15
	s_mov_b64 s[18:19], 0x900
	s_mov_b64 s[20:21], 0x200
	v_mov_b64_e32 v[22:23], v[16:17]
	v_mov_b64_e32 v[24:25], v[12:13]
	;; [unrolled: 1-line block ×4, first 2 shown]
.LBB164_18:                             ; =>This Inner Loop Header: Depth=1
	global_load_dwordx2 v[34:35], v[20:21], off
	global_load_dwordx4 v[26:29], v[22:23], off offset:16
	global_load_dwordx4 v[30:33], v[22:23], off
	v_lshl_add_u64 v[24:25], v[24:25], 0, 64
	v_lshl_add_u64 v[20:21], v[20:21], 0, s[20:21]
	s_waitcnt vmcnt(2)
	v_subrev_co_u32_e32 v34, vcc, s12, v34
	v_mad_u64_u32 v[38:39], s[22:23], v34, 24, s[4:5]
	s_nop 0
	v_subb_co_u32_e32 v35, vcc, v35, v1, vcc
	v_mov_b32_e32 v34, v39
	v_mad_u64_u32 v[34:35], s[22:23], v35, 24, v[34:35]
	v_mov_b32_e32 v39, v34
	global_load_dwordx2 v[40:41], v[38:39], off offset:16
	global_load_dwordx4 v[34:37], v[38:39], off
	global_load_dword v48, v[22:23], off offset:32
	s_waitcnt vmcnt(3)
	v_cvt_f64_f32_e32 v[38:39], v30
	v_cvt_f64_f32_e32 v[42:43], v32
	;; [unrolled: 1-line block ×7, first 2 shown]
	v_cmp_ge_i64_e32 vcc, v[24:25], v[14:15]
	v_cvt_f64_f32_e32 v[26:27], v27
	v_lshl_add_u64 v[22:23], v[22:23], 0, s[18:19]
	s_or_b64 s[16:17], vcc, s[16:17]
	s_waitcnt vmcnt(1)
	v_fmac_f64_e32 v[18:19], v[38:39], v[34:35]
	v_fmac_f64_e32 v[10:11], v[32:33], v[34:35]
	;; [unrolled: 1-line block ×3, first 2 shown]
	s_waitcnt vmcnt(0)
	v_cvt_f64_f32_e32 v[48:49], v48
	v_fmac_f64_e32 v[18:19], v[30:31], v[36:37]
	v_fmac_f64_e32 v[10:11], v[44:45], v[36:37]
	;; [unrolled: 1-line block ×6, first 2 shown]
	s_andn2_b64 exec, exec, s[16:17]
	s_cbranch_execnz .LBB164_18
; %bb.19:
	s_or_b64 exec, exec, s[16:17]
.LBB164_20:
	s_or_b64 exec, exec, s[10:11]
	s_andn2_b64 vcc, exec, s[6:7]
	s_cbranch_vccz .LBB164_22
	s_branch .LBB164_27
.LBB164_21:
                                        ; implicit-def: $vgpr2_vgpr3
                                        ; implicit-def: $vgpr10_vgpr11
                                        ; implicit-def: $vgpr18_vgpr19
.LBB164_22:
	v_mov_b64_e32 v[2:3], 0
	v_mov_b64_e32 v[10:11], v[2:3]
	;; [unrolled: 1-line block ×3, first 2 shown]
	s_and_saveexec_b64 s[6:7], s[2:3]
	s_cbranch_execz .LBB164_26
; %bb.23:
	v_mov_b64_e32 v[2:3], 0
	v_lshl_add_u64 v[20:21], v[12:13], 3, s[8:9]
	s_mov_b64 s[2:3], 0
	v_mov_b32_e32 v1, s15
	s_mov_b64 s[8:9], 0x900
	s_mov_b64 s[10:11], 0x200
	v_mov_b64_e32 v[10:11], v[2:3]
	v_mov_b64_e32 v[18:19], v[2:3]
.LBB164_24:                             ; =>This Inner Loop Header: Depth=1
	global_load_dwordx2 v[30:31], v[20:21], off
	global_load_dwordx4 v[22:25], v[16:17], off offset:16
	global_load_dwordx4 v[26:29], v[16:17], off
	v_lshl_add_u64 v[12:13], v[12:13], 0, 64
	v_lshl_add_u64 v[20:21], v[20:21], 0, s[10:11]
	s_waitcnt vmcnt(2)
	v_subrev_co_u32_e32 v30, vcc, s12, v30
	v_mad_u64_u32 v[34:35], s[14:15], v30, 24, s[4:5]
	s_nop 0
	v_subb_co_u32_e32 v31, vcc, v31, v1, vcc
	v_mov_b32_e32 v30, v35
	v_mad_u64_u32 v[30:31], s[14:15], v31, 24, v[30:31]
	v_mov_b32_e32 v35, v30
	global_load_dwordx2 v[36:37], v[34:35], off offset:16
	global_load_dwordx4 v[30:33], v[34:35], off
	global_load_dword v44, v[16:17], off offset:32
	s_waitcnt vmcnt(3)
	v_cvt_f64_f32_e32 v[34:35], v26
	v_cvt_f64_f32_e32 v[26:27], v27
	;; [unrolled: 1-line block ×6, first 2 shown]
	v_cmp_ge_i64_e32 vcc, v[12:13], v[14:15]
	v_cvt_f64_f32_e32 v[42:43], v24
	v_cvt_f64_f32_e32 v[24:25], v25
	v_lshl_add_u64 v[16:17], v[16:17], 0, s[8:9]
	s_or_b64 s[2:3], vcc, s[2:3]
	s_waitcnt vmcnt(1)
	v_fmac_f64_e32 v[18:19], v[34:35], v[30:31]
	v_fmac_f64_e32 v[10:11], v[26:27], v[30:31]
	;; [unrolled: 1-line block ×3, first 2 shown]
	s_waitcnt vmcnt(0)
	v_cvt_f64_f32_e32 v[44:45], v44
	v_fmac_f64_e32 v[18:19], v[28:29], v[32:33]
	v_fmac_f64_e32 v[10:11], v[40:41], v[32:33]
	;; [unrolled: 1-line block ×6, first 2 shown]
	s_andn2_b64 exec, exec, s[2:3]
	s_cbranch_execnz .LBB164_24
; %bb.25:
	s_or_b64 exec, exec, s[2:3]
.LBB164_26:
	s_or_b64 exec, exec, s[6:7]
.LBB164_27:
	v_mov_b32_dpp v12, v18 row_shr:1 row_mask:0xf bank_mask:0xf
	v_mov_b32_dpp v13, v19 row_shr:1 row_mask:0xf bank_mask:0xf
	v_add_f64 v[12:13], v[18:19], v[12:13]
	v_mov_b32_dpp v16, v10 row_shr:1 row_mask:0xf bank_mask:0xf
	v_mov_b32_dpp v17, v11 row_shr:1 row_mask:0xf bank_mask:0xf
	;; [unrolled: 1-line block ×4, first 2 shown]
	v_add_f64 v[10:11], v[10:11], v[16:17]
	v_add_f64 v[2:3], v[2:3], v[18:19]
	v_mov_b32_dpp v14, v12 row_shr:2 row_mask:0xf bank_mask:0xf
	v_mov_b32_dpp v15, v13 row_shr:2 row_mask:0xf bank_mask:0xf
	v_mov_b32_dpp v16, v10 row_shr:2 row_mask:0xf bank_mask:0xf
	v_mov_b32_dpp v17, v11 row_shr:2 row_mask:0xf bank_mask:0xf
	v_mov_b32_dpp v18, v2 row_shr:2 row_mask:0xf bank_mask:0xf
	v_mov_b32_dpp v19, v3 row_shr:2 row_mask:0xf bank_mask:0xf
	v_add_f64 v[12:13], v[12:13], v[14:15]
	v_add_f64 v[10:11], v[10:11], v[16:17]
	v_add_f64 v[2:3], v[2:3], v[18:19]
	v_mov_b32_dpp v14, v12 row_shr:4 row_mask:0xf bank_mask:0xe
	v_mov_b32_dpp v15, v13 row_shr:4 row_mask:0xf bank_mask:0xe
	v_mov_b32_dpp v16, v10 row_shr:4 row_mask:0xf bank_mask:0xe
	v_mov_b32_dpp v17, v11 row_shr:4 row_mask:0xf bank_mask:0xe
	v_mov_b32_dpp v18, v2 row_shr:4 row_mask:0xf bank_mask:0xe
	v_mov_b32_dpp v19, v3 row_shr:4 row_mask:0xf bank_mask:0xe
	v_add_f64 v[12:13], v[12:13], v[14:15]
	;; [unrolled: 9-line block ×3, first 2 shown]
	v_add_f64 v[10:11], v[10:11], v[16:17]
	v_add_f64 v[2:3], v[2:3], v[18:19]
	v_mov_b32_dpp v14, v12 row_bcast:15 row_mask:0xa bank_mask:0xf
	v_mov_b32_dpp v15, v13 row_bcast:15 row_mask:0xa bank_mask:0xf
	;; [unrolled: 1-line block ×6, first 2 shown]
	v_add_f64 v[12:13], v[12:13], v[14:15]
	v_add_f64 v[10:11], v[10:11], v[16:17]
	;; [unrolled: 1-line block ×3, first 2 shown]
	v_mov_b32_dpp v14, v12 row_bcast:31 row_mask:0xc bank_mask:0xf
	v_mov_b32_dpp v15, v13 row_bcast:31 row_mask:0xc bank_mask:0xf
	;; [unrolled: 1-line block ×6, first 2 shown]
	v_cmp_eq_u32_e32 vcc, 63, v0
	s_and_b64 exec, exec, vcc
	s_cbranch_execz .LBB164_10
; %bb.28:
	s_load_dwordx2 s[0:1], s[0:1], 0x58
	v_add_f64 v[0:1], v[12:13], v[14:15]
	v_add_f64 v[10:11], v[10:11], v[16:17]
	;; [unrolled: 1-line block ×3, first 2 shown]
	v_cmp_eq_f64_e32 vcc, 0, v[4:5]
	v_mul_f64 v[0:1], v[6:7], v[0:1]
	v_mul_f64 v[2:3], v[6:7], v[10:11]
	;; [unrolled: 1-line block ×3, first 2 shown]
	s_and_saveexec_b64 s[2:3], vcc
	s_xor_b64 s[2:3], exec, s[2:3]
	s_cbranch_execz .LBB164_30
; %bb.29:
	s_waitcnt lgkmcnt(0)
	v_mad_u64_u32 v[4:5], s[4:5], v8, 24, s[0:1]
	v_mov_b32_e32 v8, v5
	v_mad_u64_u32 v[8:9], s[4:5], v9, 24, v[8:9]
	v_mov_b32_e32 v5, v8
	global_store_dwordx4 v[4:5], v[0:3], off
	global_store_dwordx2 v[4:5], v[6:7], off offset:16
                                        ; implicit-def: $vgpr8_vgpr9
                                        ; implicit-def: $vgpr4_vgpr5
                                        ; implicit-def: $vgpr0_vgpr1
                                        ; implicit-def: $vgpr6_vgpr7
.LBB164_30:
	s_andn2_saveexec_b64 s[2:3], s[2:3]
	s_cbranch_execz .LBB164_10
; %bb.31:
	s_waitcnt lgkmcnt(0)
	v_mad_u64_u32 v[12:13], s[0:1], v8, 24, s[0:1]
	v_mov_b32_e32 v8, v13
	v_mad_u64_u32 v[8:9], s[0:1], v9, 24, v[8:9]
	v_mov_b32_e32 v13, v8
	global_load_dwordx4 v[8:11], v[12:13], off
	global_load_dwordx2 v[14:15], v[12:13], off offset:16
	s_waitcnt vmcnt(1)
	v_fmac_f64_e32 v[0:1], v[4:5], v[8:9]
	v_fmac_f64_e32 v[2:3], v[4:5], v[10:11]
	s_waitcnt vmcnt(0)
	v_fmac_f64_e32 v[6:7], v[4:5], v[14:15]
	global_store_dwordx4 v[12:13], v[0:3], off
	global_store_dwordx2 v[12:13], v[6:7], off offset:16
	s_endpgm
	.section	.rodata,"a",@progbits
	.p2align	6, 0x0
	.amdhsa_kernel _ZN9rocsparseL18bsrxmvn_3x3_kernelILj256ELj64EdllfddEEvT3_20rocsparse_direction_NS_24const_host_device_scalarIT1_EES1_PKS1_PKT2_SA_S7_PKT4_PKT5_S5_PT6_21rocsparse_index_base_b
		.amdhsa_group_segment_fixed_size 0
		.amdhsa_private_segment_fixed_size 0
		.amdhsa_kernarg_size 104
		.amdhsa_user_sgpr_count 2
		.amdhsa_user_sgpr_dispatch_ptr 0
		.amdhsa_user_sgpr_queue_ptr 0
		.amdhsa_user_sgpr_kernarg_segment_ptr 1
		.amdhsa_user_sgpr_dispatch_id 0
		.amdhsa_user_sgpr_kernarg_preload_length 0
		.amdhsa_user_sgpr_kernarg_preload_offset 0
		.amdhsa_user_sgpr_private_segment_size 0
		.amdhsa_uses_dynamic_stack 0
		.amdhsa_enable_private_segment 0
		.amdhsa_system_sgpr_workgroup_id_x 1
		.amdhsa_system_sgpr_workgroup_id_y 0
		.amdhsa_system_sgpr_workgroup_id_z 0
		.amdhsa_system_sgpr_workgroup_info 0
		.amdhsa_system_vgpr_workitem_id 0
		.amdhsa_next_free_vgpr 50
		.amdhsa_next_free_sgpr 24
		.amdhsa_accum_offset 52
		.amdhsa_reserve_vcc 1
		.amdhsa_float_round_mode_32 0
		.amdhsa_float_round_mode_16_64 0
		.amdhsa_float_denorm_mode_32 3
		.amdhsa_float_denorm_mode_16_64 3
		.amdhsa_dx10_clamp 1
		.amdhsa_ieee_mode 1
		.amdhsa_fp16_overflow 0
		.amdhsa_tg_split 0
		.amdhsa_exception_fp_ieee_invalid_op 0
		.amdhsa_exception_fp_denorm_src 0
		.amdhsa_exception_fp_ieee_div_zero 0
		.amdhsa_exception_fp_ieee_overflow 0
		.amdhsa_exception_fp_ieee_underflow 0
		.amdhsa_exception_fp_ieee_inexact 0
		.amdhsa_exception_int_div_zero 0
	.end_amdhsa_kernel
	.section	.text._ZN9rocsparseL18bsrxmvn_3x3_kernelILj256ELj64EdllfddEEvT3_20rocsparse_direction_NS_24const_host_device_scalarIT1_EES1_PKS1_PKT2_SA_S7_PKT4_PKT5_S5_PT6_21rocsparse_index_base_b,"axG",@progbits,_ZN9rocsparseL18bsrxmvn_3x3_kernelILj256ELj64EdllfddEEvT3_20rocsparse_direction_NS_24const_host_device_scalarIT1_EES1_PKS1_PKT2_SA_S7_PKT4_PKT5_S5_PT6_21rocsparse_index_base_b,comdat
.Lfunc_end164:
	.size	_ZN9rocsparseL18bsrxmvn_3x3_kernelILj256ELj64EdllfddEEvT3_20rocsparse_direction_NS_24const_host_device_scalarIT1_EES1_PKS1_PKT2_SA_S7_PKT4_PKT5_S5_PT6_21rocsparse_index_base_b, .Lfunc_end164-_ZN9rocsparseL18bsrxmvn_3x3_kernelILj256ELj64EdllfddEEvT3_20rocsparse_direction_NS_24const_host_device_scalarIT1_EES1_PKS1_PKT2_SA_S7_PKT4_PKT5_S5_PT6_21rocsparse_index_base_b
                                        ; -- End function
	.section	.AMDGPU.csdata,"",@progbits
; Kernel info:
; codeLenInByte = 1692
; NumSgprs: 30
; NumVgprs: 50
; NumAgprs: 0
; TotalNumVgprs: 50
; ScratchSize: 0
; MemoryBound: 0
; FloatMode: 240
; IeeeMode: 1
; LDSByteSize: 0 bytes/workgroup (compile time only)
; SGPRBlocks: 3
; VGPRBlocks: 6
; NumSGPRsForWavesPerEU: 30
; NumVGPRsForWavesPerEU: 50
; AccumOffset: 52
; Occupancy: 8
; WaveLimiterHint : 1
; COMPUTE_PGM_RSRC2:SCRATCH_EN: 0
; COMPUTE_PGM_RSRC2:USER_SGPR: 2
; COMPUTE_PGM_RSRC2:TRAP_HANDLER: 0
; COMPUTE_PGM_RSRC2:TGID_X_EN: 1
; COMPUTE_PGM_RSRC2:TGID_Y_EN: 0
; COMPUTE_PGM_RSRC2:TGID_Z_EN: 0
; COMPUTE_PGM_RSRC2:TIDIG_COMP_CNT: 0
; COMPUTE_PGM_RSRC3_GFX90A:ACCUM_OFFSET: 12
; COMPUTE_PGM_RSRC3_GFX90A:TG_SPLIT: 0
	.section	.text._ZN9rocsparseL18bsrxmvn_3x3_kernelILj256ELj4E21rocsparse_complex_numIdEiiS1_IfES2_S2_EEvT3_20rocsparse_direction_NS_24const_host_device_scalarIT1_EES4_PKS4_PKT2_SD_SA_PKT4_PKT5_S8_PT6_21rocsparse_index_base_b,"axG",@progbits,_ZN9rocsparseL18bsrxmvn_3x3_kernelILj256ELj4E21rocsparse_complex_numIdEiiS1_IfES2_S2_EEvT3_20rocsparse_direction_NS_24const_host_device_scalarIT1_EES4_PKS4_PKT2_SD_SA_PKT4_PKT5_S8_PT6_21rocsparse_index_base_b,comdat
	.globl	_ZN9rocsparseL18bsrxmvn_3x3_kernelILj256ELj4E21rocsparse_complex_numIdEiiS1_IfES2_S2_EEvT3_20rocsparse_direction_NS_24const_host_device_scalarIT1_EES4_PKS4_PKT2_SD_SA_PKT4_PKT5_S8_PT6_21rocsparse_index_base_b ; -- Begin function _ZN9rocsparseL18bsrxmvn_3x3_kernelILj256ELj4E21rocsparse_complex_numIdEiiS1_IfES2_S2_EEvT3_20rocsparse_direction_NS_24const_host_device_scalarIT1_EES4_PKS4_PKT2_SD_SA_PKT4_PKT5_S8_PT6_21rocsparse_index_base_b
	.p2align	8
	.type	_ZN9rocsparseL18bsrxmvn_3x3_kernelILj256ELj4E21rocsparse_complex_numIdEiiS1_IfES2_S2_EEvT3_20rocsparse_direction_NS_24const_host_device_scalarIT1_EES4_PKS4_PKT2_SD_SA_PKT4_PKT5_S8_PT6_21rocsparse_index_base_b,@function
_ZN9rocsparseL18bsrxmvn_3x3_kernelILj256ELj4E21rocsparse_complex_numIdEiiS1_IfES2_S2_EEvT3_20rocsparse_direction_NS_24const_host_device_scalarIT1_EES4_PKS4_PKT2_SD_SA_PKT4_PKT5_S8_PT6_21rocsparse_index_base_b: ; @_ZN9rocsparseL18bsrxmvn_3x3_kernelILj256ELj4E21rocsparse_complex_numIdEiiS1_IfES2_S2_EEvT3_20rocsparse_direction_NS_24const_host_device_scalarIT1_EES4_PKS4_PKT2_SD_SA_PKT4_PKT5_S8_PT6_21rocsparse_index_base_b
; %bb.0:
	s_load_dwordx2 s[16:17], s[2:3], 0x68
	s_load_dwordx4 s[8:11], s[2:3], 0x8
	s_load_dwordx2 s[18:19], s[0:1], 0x4
	s_load_dwordx4 s[12:15], s[2:3], 0x50
	s_mov_b64 s[6:7], src_shared_base
	v_and_b32_e32 v2, 0x3ff, v0
	s_waitcnt lgkmcnt(0)
	s_bitcmp1_b32 s17, 0
	s_cselect_b64 s[0:1], -1, 0
	s_and_b64 vcc, s[0:1], exec
	s_cselect_b32 s5, s7, s9
	s_lshr_b32 s6, s18, 16
	s_mul_i32 s6, s6, s19
	v_mul_lo_u32 v3, s6, v2
	v_bfe_u32 v4, v0, 10, 10
	v_mad_u32_u24 v3, v4, s19, v3
	v_bfe_u32 v0, v0, 20, 10
	v_add_lshl_u32 v0, v3, v0, 3
	v_mov_b32_e32 v1, s8
	v_add_u32_e32 v3, 0x800, v0
	v_mov_b64_e32 v[4:5], s[8:9]
	v_mov_b64_e32 v[6:7], s[12:13]
	ds_write2st64_b64 v0, v[6:7], v[4:5] offset1:4
	v_cndmask_b32_e64 v4, v1, v3, s[0:1]
	v_mov_b32_e32 v5, s5
	flat_load_dwordx2 v[16:17], v[4:5]
	s_xor_b64 s[18:19], s[0:1], -1
	v_mov_b64_e32 v[18:19], s[10:11]
	s_cbranch_vccnz .LBB165_2
; %bb.1:
	v_mov_b64_e32 v[4:5], s[8:9]
	flat_load_dwordx2 v[18:19], v[4:5] offset:8
.LBB165_2:
	s_and_b64 s[8:9], s[0:1], exec
	s_cselect_b32 s5, s7, s13
	v_mov_b32_e32 v1, s12
	v_cndmask_b32_e64 v0, v1, v0, s[0:1]
	v_mov_b32_e32 v1, s5
	flat_load_dwordx2 v[12:13], v[0:1]
	s_andn2_b64 vcc, exec, s[18:19]
	v_mov_b64_e32 v[14:15], s[14:15]
	s_cbranch_vccnz .LBB165_4
; %bb.3:
	v_mov_b64_e32 v[0:1], s[12:13]
	flat_load_dwordx2 v[14:15], v[0:1] offset:8
.LBB165_4:
	s_waitcnt vmcnt(0) lgkmcnt(0)
	v_cmp_eq_f64_e32 vcc, 0, v[16:17]
	v_cmp_eq_f64_e64 s[0:1], 0, v[18:19]
	s_and_b64 s[8:9], vcc, s[0:1]
	s_mov_b64 s[0:1], -1
	s_and_saveexec_b64 s[6:7], s[8:9]
; %bb.5:
	v_cmp_neq_f64_e32 vcc, 1.0, v[12:13]
	v_cmp_neq_f64_e64 s[0:1], 0, v[14:15]
	s_or_b64 s[0:1], vcc, s[0:1]
	s_orn2_b64 s[0:1], s[0:1], exec
; %bb.6:
	s_or_b64 exec, exec, s[6:7]
	s_and_saveexec_b64 s[6:7], s[0:1]
	s_cbranch_execz .LBB165_12
; %bb.7:
	s_load_dwordx2 s[6:7], s[2:3], 0x20
	s_load_dwordx2 s[0:1], s[2:3], 0x0
	v_lshrrev_b32_e32 v0, 2, v2
	v_lshl_or_b32 v0, s4, 6, v0
	s_mov_b64 s[4:5], 0
	s_waitcnt lgkmcnt(0)
	s_cmp_lg_u64 s[6:7], 0
	s_cbranch_scc0 .LBB165_13
; %bb.8:
	s_load_dword s8, s[2:3], 0x18
                                        ; implicit-def: $vgpr1
	s_waitcnt lgkmcnt(0)
	v_cmp_gt_i32_e32 vcc, s8, v0
	s_and_saveexec_b64 s[8:9], vcc
	s_xor_b64 s[8:9], exec, s[8:9]
	s_cbranch_execz .LBB165_10
; %bb.9:
	v_ashrrev_i32_e32 v1, 31, v0
	v_lshl_add_u64 v[4:5], v[0:1], 2, s[6:7]
	global_load_dword v1, v[4:5], off
	s_mov_b64 s[4:5], exec
	s_waitcnt vmcnt(0)
	v_subrev_u32_e32 v1, s16, v1
.LBB165_10:
	s_or_b64 exec, exec, s[8:9]
	s_branch .LBB165_14
.LBB165_11:
	v_cmp_gt_i32_e32 vcc, s0, v0
	s_andn2_b64 s[4:5], s[4:5], exec
	s_and_b64 s[6:7], vcc, exec
	s_or_b64 s[4:5], s[4:5], s[6:7]
	s_and_b64 exec, exec, s[4:5]
	s_cbranch_execnz .LBB165_15
.LBB165_12:
	s_endpgm
.LBB165_13:
                                        ; implicit-def: $vgpr1
	s_cbranch_execnz .LBB165_11
.LBB165_14:
	v_mov_b32_e32 v0, v1
	s_and_b64 exec, exec, s[4:5]
	s_cbranch_execz .LBB165_12
.LBB165_15:
	s_load_dwordx8 s[4:11], s[2:3], 0x28
	v_ashrrev_i32_e32 v1, 31, v0
	v_lshlrev_b64 v[4:5], 2, v[0:1]
	v_and_b32_e32 v1, 3, v2
	s_movk_i32 s0, 0x48
	s_waitcnt lgkmcnt(0)
	v_lshl_add_u64 v[6:7], s[4:5], 0, v[4:5]
	s_cmp_eq_u64 s[6:7], 0
	global_load_dword v8, v[6:7], off
	v_lshl_add_u64 v[6:7], v[6:7], 0, 4
	v_lshl_add_u64 v[4:5], s[6:7], 0, v[4:5]
	s_cselect_b64 vcc, -1, 0
	v_cndmask_b32_e32 v5, v5, v7, vcc
	v_cndmask_b32_e32 v4, v4, v6, vcc
	global_load_dword v4, v[4:5], off
	s_load_dwordx2 s[4:5], s[2:3], 0x48
	v_mov_b64_e32 v[2:3], s[10:11]
	s_cmp_eq_u32 s1, 1
	s_waitcnt vmcnt(1)
	v_subrev_u32_e32 v5, s16, v8
	v_add_u32_e32 v8, v5, v1
	v_mad_i64_i32 v[10:11], s[6:7], v8, s0, v[2:3]
	s_waitcnt vmcnt(0)
	v_subrev_u32_e32 v30, s16, v4
	v_cmp_lt_i32_e64 s[0:1], v8, v30
	s_cbranch_scc1 .LBB165_21
; %bb.16:
	v_mov_b64_e32 v[2:3], 0
	s_mov_b64 s[6:7], 0
	v_mov_b64_e32 v[24:25], v[2:3]
	v_mov_b64_e32 v[6:7], v[2:3]
	;; [unrolled: 1-line block ×5, first 2 shown]
	s_and_saveexec_b64 s[10:11], s[0:1]
	s_cbranch_execz .LBB165_20
; %bb.17:
	v_mov_b64_e32 v[2:3], 0
	s_mov_b64 s[12:13], 0
	s_mov_b64 s[14:15], 0x120
	v_mov_b32_e32 v26, v8
	v_mov_b64_e32 v[28:29], v[10:11]
	v_mov_b64_e32 v[24:25], v[2:3]
	;; [unrolled: 1-line block ×6, first 2 shown]
.LBB165_18:                             ; =>This Inner Loop Header: Depth=1
	v_ashrrev_i32_e32 v27, 31, v26
	v_lshl_add_u64 v[48:49], v[26:27], 2, s[8:9]
	global_load_dword v9, v[48:49], off
	global_load_dwordx4 v[32:35], v[28:29], off
	global_load_dwordx4 v[36:39], v[28:29], off offset:16
	global_load_dwordx4 v[40:43], v[28:29], off offset:32
	;; [unrolled: 1-line block ×3, first 2 shown]
	global_load_dwordx2 v[60:61], v[28:29], off offset:64
	v_add_u32_e32 v26, 4, v26
	v_cmp_ge_i32_e32 vcc, v26, v30
	v_lshl_add_u64 v[28:29], v[28:29], 0, s[14:15]
	s_or_b64 s[12:13], vcc, s[12:13]
	s_waitcnt vmcnt(5)
	v_subrev_u32_e32 v9, s16, v9
	v_lshl_add_u32 v48, v9, 1, v9
	v_ashrrev_i32_e32 v49, 31, v48
	s_waitcnt lgkmcnt(0)
	v_lshl_add_u64 v[62:63], v[48:49], 4, s[4:5]
	global_load_dwordx4 v[48:51], v[62:63], off
	global_load_dwordx4 v[52:55], v[62:63], off offset:16
	global_load_dwordx4 v[56:59], v[62:63], off offset:32
	s_waitcnt vmcnt(7)
	v_cvt_f64_f32_e32 v[62:63], v32
	v_cvt_f64_f32_e32 v[32:33], v33
	s_waitcnt vmcnt(6)
	v_cvt_f64_f32_e32 v[68:69], v38
	v_cvt_f64_f32_e32 v[38:39], v39
	;; [unrolled: 3-line block ×3, first 2 shown]
	v_cvt_f64_f32_e32 v[64:65], v34
	v_cvt_f64_f32_e32 v[34:35], v35
	v_cvt_f64_f32_e32 v[70:71], v40
	v_cvt_f64_f32_e32 v[40:41], v41
	v_cvt_f64_f32_e32 v[76:77], v46
	v_cvt_f64_f32_e32 v[46:47], v47
	v_cvt_f64_f32_e32 v[66:67], v36
	v_cvt_f64_f32_e32 v[36:37], v37
	v_cvt_f64_f32_e32 v[72:73], v42
	v_cvt_f64_f32_e32 v[42:43], v43
	s_waitcnt vmcnt(3)
	v_cvt_f64_f32_e32 v[78:79], v60
	v_cvt_f64_f32_e32 v[60:61], v61
	s_waitcnt vmcnt(2)
	v_fmac_f64_e32 v[24:25], v[62:63], v[48:49]
	v_fmac_f64_e32 v[2:3], v[32:33], v[48:49]
	v_fmac_f64_e32 v[22:23], v[68:69], v[48:49]
	v_fmac_f64_e32 v[6:7], v[38:39], v[48:49]
	v_fmac_f64_e32 v[20:21], v[74:75], v[48:49]
	v_fmac_f64_e32 v[4:5], v[44:45], v[48:49]
	v_fma_f64 v[24:25], -v[32:33], v[50:51], v[24:25]
	v_fmac_f64_e32 v[2:3], v[62:63], v[50:51]
	v_fma_f64 v[22:23], -v[38:39], v[50:51], v[22:23]
	v_fmac_f64_e32 v[6:7], v[68:69], v[50:51]
	v_fma_f64 v[20:21], -v[44:45], v[50:51], v[20:21]
	v_fmac_f64_e32 v[4:5], v[74:75], v[50:51]
	s_waitcnt vmcnt(1)
	v_fmac_f64_e32 v[24:25], v[64:65], v[52:53]
	v_fmac_f64_e32 v[2:3], v[34:35], v[52:53]
	v_fmac_f64_e32 v[22:23], v[70:71], v[52:53]
	v_fmac_f64_e32 v[6:7], v[40:41], v[52:53]
	v_fmac_f64_e32 v[20:21], v[76:77], v[52:53]
	v_fmac_f64_e32 v[4:5], v[46:47], v[52:53]
	v_fma_f64 v[24:25], -v[34:35], v[54:55], v[24:25]
	v_fmac_f64_e32 v[2:3], v[64:65], v[54:55]
	v_fma_f64 v[22:23], -v[40:41], v[54:55], v[22:23]
	v_fmac_f64_e32 v[6:7], v[70:71], v[54:55]
	v_fma_f64 v[20:21], -v[46:47], v[54:55], v[20:21]
	v_fmac_f64_e32 v[4:5], v[76:77], v[54:55]
	;; [unrolled: 13-line block ×3, first 2 shown]
	s_andn2_b64 exec, exec, s[12:13]
	s_cbranch_execnz .LBB165_18
; %bb.19:
	s_or_b64 exec, exec, s[12:13]
.LBB165_20:
	s_or_b64 exec, exec, s[10:11]
	s_andn2_b64 vcc, exec, s[6:7]
	s_cbranch_vccz .LBB165_22
	s_branch .LBB165_27
.LBB165_21:
                                        ; implicit-def: $vgpr2_vgpr3
                                        ; implicit-def: $vgpr24_vgpr25
                                        ; implicit-def: $vgpr6_vgpr7
                                        ; implicit-def: $vgpr22_vgpr23
                                        ; implicit-def: $vgpr4_vgpr5
                                        ; implicit-def: $vgpr20_vgpr21
.LBB165_22:
	v_mov_b64_e32 v[2:3], 0
	v_mov_b64_e32 v[24:25], v[2:3]
	;; [unrolled: 1-line block ×6, first 2 shown]
	s_and_saveexec_b64 s[6:7], s[0:1]
	s_cbranch_execz .LBB165_26
; %bb.23:
	v_mov_b64_e32 v[2:3], 0
	s_mov_b64 s[0:1], 0
	s_mov_b64 s[10:11], 0x120
	v_mov_b64_e32 v[24:25], v[2:3]
	v_mov_b64_e32 v[6:7], v[2:3]
	;; [unrolled: 1-line block ×5, first 2 shown]
.LBB165_24:                             ; =>This Inner Loop Header: Depth=1
	v_ashrrev_i32_e32 v9, 31, v8
	v_lshl_add_u64 v[44:45], v[8:9], 2, s[8:9]
	global_load_dword v9, v[44:45], off
	global_load_dwordx4 v[26:29], v[10:11], off
	global_load_dwordx4 v[32:35], v[10:11], off offset:16
	global_load_dwordx4 v[36:39], v[10:11], off offset:32
	;; [unrolled: 1-line block ×3, first 2 shown]
	global_load_dwordx2 v[56:57], v[10:11], off offset:64
	v_add_u32_e32 v8, 4, v8
	v_cmp_ge_i32_e32 vcc, v8, v30
	v_lshl_add_u64 v[10:11], v[10:11], 0, s[10:11]
	s_or_b64 s[0:1], vcc, s[0:1]
	s_waitcnt vmcnt(5)
	v_subrev_u32_e32 v9, s16, v9
	v_lshl_add_u32 v44, v9, 1, v9
	v_ashrrev_i32_e32 v45, 31, v44
	s_waitcnt lgkmcnt(0)
	v_lshl_add_u64 v[58:59], v[44:45], 4, s[4:5]
	global_load_dwordx4 v[44:47], v[58:59], off
	global_load_dwordx4 v[48:51], v[58:59], off offset:16
	global_load_dwordx4 v[52:55], v[58:59], off offset:32
	s_waitcnt vmcnt(7)
	v_cvt_f64_f32_e32 v[58:59], v26
	v_cvt_f64_f32_e32 v[26:27], v27
	v_cvt_f64_f32_e32 v[60:61], v28
	v_cvt_f64_f32_e32 v[28:29], v29
	s_waitcnt vmcnt(6)
	v_cvt_f64_f32_e32 v[62:63], v32
	v_cvt_f64_f32_e32 v[32:33], v33
	v_cvt_f64_f32_e32 v[64:65], v34
	v_cvt_f64_f32_e32 v[34:35], v35
	s_waitcnt vmcnt(5)
	v_cvt_f64_f32_e32 v[66:67], v36
	v_cvt_f64_f32_e32 v[36:37], v37
	v_cvt_f64_f32_e32 v[68:69], v38
	v_cvt_f64_f32_e32 v[38:39], v39
	s_waitcnt vmcnt(4)
	v_cvt_f64_f32_e32 v[70:71], v40
	v_cvt_f64_f32_e32 v[40:41], v41
	v_cvt_f64_f32_e32 v[72:73], v42
	v_cvt_f64_f32_e32 v[42:43], v43
	s_waitcnt vmcnt(3)
	v_cvt_f64_f32_e32 v[74:75], v56
	v_cvt_f64_f32_e32 v[56:57], v57
	s_waitcnt vmcnt(2)
	v_fmac_f64_e32 v[24:25], v[58:59], v[44:45]
	v_fmac_f64_e32 v[2:3], v[26:27], v[44:45]
	v_fmac_f64_e32 v[22:23], v[60:61], v[44:45]
	v_fmac_f64_e32 v[6:7], v[28:29], v[44:45]
	v_fmac_f64_e32 v[20:21], v[62:63], v[44:45]
	v_fmac_f64_e32 v[4:5], v[32:33], v[44:45]
	v_fma_f64 v[24:25], -v[26:27], v[46:47], v[24:25]
	v_fmac_f64_e32 v[2:3], v[58:59], v[46:47]
	v_fma_f64 v[22:23], -v[28:29], v[46:47], v[22:23]
	v_fmac_f64_e32 v[6:7], v[60:61], v[46:47]
	v_fma_f64 v[20:21], -v[32:33], v[46:47], v[20:21]
	v_fmac_f64_e32 v[4:5], v[62:63], v[46:47]
	s_waitcnt vmcnt(1)
	v_fmac_f64_e32 v[24:25], v[64:65], v[48:49]
	v_fmac_f64_e32 v[2:3], v[34:35], v[48:49]
	v_fmac_f64_e32 v[22:23], v[66:67], v[48:49]
	v_fmac_f64_e32 v[6:7], v[36:37], v[48:49]
	v_fmac_f64_e32 v[20:21], v[68:69], v[48:49]
	v_fmac_f64_e32 v[4:5], v[38:39], v[48:49]
	v_fma_f64 v[24:25], -v[34:35], v[50:51], v[24:25]
	v_fmac_f64_e32 v[2:3], v[64:65], v[50:51]
	v_fma_f64 v[22:23], -v[36:37], v[50:51], v[22:23]
	v_fmac_f64_e32 v[6:7], v[66:67], v[50:51]
	v_fma_f64 v[20:21], -v[38:39], v[50:51], v[20:21]
	v_fmac_f64_e32 v[4:5], v[68:69], v[50:51]
	;; [unrolled: 13-line block ×3, first 2 shown]
	s_andn2_b64 exec, exec, s[0:1]
	s_cbranch_execnz .LBB165_24
; %bb.25:
	s_or_b64 exec, exec, s[0:1]
.LBB165_26:
	s_or_b64 exec, exec, s[6:7]
.LBB165_27:
	v_mov_b32_dpp v8, v24 row_shr:1 row_mask:0xf bank_mask:0xf
	v_mov_b32_dpp v9, v25 row_shr:1 row_mask:0xf bank_mask:0xf
	v_add_f64 v[8:9], v[24:25], v[8:9]
	v_mov_b32_dpp v24, v2 row_shr:1 row_mask:0xf bank_mask:0xf
	v_mov_b32_dpp v25, v3 row_shr:1 row_mask:0xf bank_mask:0xf
	;; [unrolled: 1-line block ×10, first 2 shown]
	v_add_f64 v[2:3], v[2:3], v[24:25]
	v_add_f64 v[22:23], v[22:23], v[26:27]
	;; [unrolled: 1-line block ×5, first 2 shown]
	v_mov_b32_dpp v10, v8 row_shr:2 row_mask:0xf bank_mask:0xf
	v_mov_b32_dpp v11, v9 row_shr:2 row_mask:0xf bank_mask:0xf
	;; [unrolled: 1-line block ×12, first 2 shown]
	v_cmp_eq_u32_e32 vcc, 3, v1
	s_and_b64 exec, exec, vcc
	s_cbranch_execz .LBB165_12
; %bb.28:
	s_load_dwordx2 s[2:3], s[2:3], 0x60
	v_add_f64 v[2:3], v[2:3], v[24:25]
	v_add_f64 v[22:23], v[22:23], v[26:27]
	;; [unrolled: 1-line block ×6, first 2 shown]
	v_cmp_eq_f64_e32 vcc, 0, v[12:13]
	v_cmp_eq_f64_e64 s[0:1], 0, v[14:15]
	v_mul_f64 v[8:9], v[2:3], -v[18:19]
	v_mul_f64 v[10:11], v[16:17], v[2:3]
	v_lshl_add_u32 v20, v0, 1, v0
	v_mul_f64 v[4:5], v[6:7], -v[18:19]
	v_mul_f64 v[6:7], v[16:17], v[6:7]
	v_mul_f64 v[0:1], v[26:27], -v[18:19]
	v_mul_f64 v[2:3], v[16:17], v[26:27]
	s_and_b64 s[0:1], vcc, s[0:1]
	v_fmac_f64_e32 v[8:9], v[16:17], v[34:35]
	v_fmac_f64_e32 v[10:11], v[18:19], v[34:35]
	v_ashrrev_i32_e32 v21, 31, v20
	v_fmac_f64_e32 v[4:5], v[16:17], v[22:23]
	v_fmac_f64_e32 v[6:7], v[18:19], v[22:23]
	v_fmac_f64_e32 v[0:1], v[16:17], v[24:25]
	v_fmac_f64_e32 v[2:3], v[18:19], v[24:25]
	s_waitcnt lgkmcnt(0)
	s_and_saveexec_b64 s[4:5], s[0:1]
	s_xor_b64 s[0:1], exec, s[4:5]
	s_cbranch_execz .LBB165_30
; %bb.29:
	v_lshl_add_u64 v[12:13], v[20:21], 4, s[2:3]
	global_store_dwordx4 v[12:13], v[8:11], off
	global_store_dwordx4 v[12:13], v[4:7], off offset:16
	global_store_dwordx4 v[12:13], v[0:3], off offset:32
                                        ; implicit-def: $vgpr12_vgpr13
                                        ; implicit-def: $vgpr14_vgpr15
                                        ; implicit-def: $vgpr20
                                        ; implicit-def: $vgpr8_vgpr9
                                        ; implicit-def: $vgpr4_vgpr5
                                        ; implicit-def: $vgpr0_vgpr1
.LBB165_30:
	s_andn2_saveexec_b64 s[0:1], s[0:1]
	s_cbranch_execz .LBB165_12
; %bb.31:
	v_lshl_add_u64 v[28:29], v[20:21], 4, s[2:3]
	global_load_dwordx4 v[16:19], v[28:29], off
	global_load_dwordx4 v[20:23], v[28:29], off offset:16
	global_load_dwordx4 v[24:27], v[28:29], off offset:32
	s_waitcnt vmcnt(2)
	v_fmac_f64_e32 v[8:9], v[12:13], v[16:17]
	v_fmac_f64_e32 v[10:11], v[14:15], v[16:17]
	s_waitcnt vmcnt(1)
	v_fmac_f64_e32 v[4:5], v[12:13], v[20:21]
	v_fmac_f64_e32 v[6:7], v[14:15], v[20:21]
	;; [unrolled: 3-line block ×3, first 2 shown]
	v_fma_f64 v[8:9], -v[14:15], v[18:19], v[8:9]
	v_fmac_f64_e32 v[10:11], v[12:13], v[18:19]
	v_fma_f64 v[4:5], -v[14:15], v[22:23], v[4:5]
	v_fmac_f64_e32 v[6:7], v[12:13], v[22:23]
	;; [unrolled: 2-line block ×3, first 2 shown]
	global_store_dwordx4 v[28:29], v[8:11], off
	global_store_dwordx4 v[28:29], v[4:7], off offset:16
	global_store_dwordx4 v[28:29], v[0:3], off offset:32
	s_endpgm
	.section	.rodata,"a",@progbits
	.p2align	6, 0x0
	.amdhsa_kernel _ZN9rocsparseL18bsrxmvn_3x3_kernelILj256ELj4E21rocsparse_complex_numIdEiiS1_IfES2_S2_EEvT3_20rocsparse_direction_NS_24const_host_device_scalarIT1_EES4_PKS4_PKT2_SD_SA_PKT4_PKT5_S8_PT6_21rocsparse_index_base_b
		.amdhsa_group_segment_fixed_size 4096
		.amdhsa_private_segment_fixed_size 0
		.amdhsa_kernarg_size 112
		.amdhsa_user_sgpr_count 4
		.amdhsa_user_sgpr_dispatch_ptr 1
		.amdhsa_user_sgpr_queue_ptr 0
		.amdhsa_user_sgpr_kernarg_segment_ptr 1
		.amdhsa_user_sgpr_dispatch_id 0
		.amdhsa_user_sgpr_kernarg_preload_length 0
		.amdhsa_user_sgpr_kernarg_preload_offset 0
		.amdhsa_user_sgpr_private_segment_size 0
		.amdhsa_uses_dynamic_stack 0
		.amdhsa_enable_private_segment 0
		.amdhsa_system_sgpr_workgroup_id_x 1
		.amdhsa_system_sgpr_workgroup_id_y 0
		.amdhsa_system_sgpr_workgroup_id_z 0
		.amdhsa_system_sgpr_workgroup_info 0
		.amdhsa_system_vgpr_workitem_id 2
		.amdhsa_next_free_vgpr 80
		.amdhsa_next_free_sgpr 20
		.amdhsa_accum_offset 80
		.amdhsa_reserve_vcc 1
		.amdhsa_float_round_mode_32 0
		.amdhsa_float_round_mode_16_64 0
		.amdhsa_float_denorm_mode_32 3
		.amdhsa_float_denorm_mode_16_64 3
		.amdhsa_dx10_clamp 1
		.amdhsa_ieee_mode 1
		.amdhsa_fp16_overflow 0
		.amdhsa_tg_split 0
		.amdhsa_exception_fp_ieee_invalid_op 0
		.amdhsa_exception_fp_denorm_src 0
		.amdhsa_exception_fp_ieee_div_zero 0
		.amdhsa_exception_fp_ieee_overflow 0
		.amdhsa_exception_fp_ieee_underflow 0
		.amdhsa_exception_fp_ieee_inexact 0
		.amdhsa_exception_int_div_zero 0
	.end_amdhsa_kernel
	.section	.text._ZN9rocsparseL18bsrxmvn_3x3_kernelILj256ELj4E21rocsparse_complex_numIdEiiS1_IfES2_S2_EEvT3_20rocsparse_direction_NS_24const_host_device_scalarIT1_EES4_PKS4_PKT2_SD_SA_PKT4_PKT5_S8_PT6_21rocsparse_index_base_b,"axG",@progbits,_ZN9rocsparseL18bsrxmvn_3x3_kernelILj256ELj4E21rocsparse_complex_numIdEiiS1_IfES2_S2_EEvT3_20rocsparse_direction_NS_24const_host_device_scalarIT1_EES4_PKS4_PKT2_SD_SA_PKT4_PKT5_S8_PT6_21rocsparse_index_base_b,comdat
.Lfunc_end165:
	.size	_ZN9rocsparseL18bsrxmvn_3x3_kernelILj256ELj4E21rocsparse_complex_numIdEiiS1_IfES2_S2_EEvT3_20rocsparse_direction_NS_24const_host_device_scalarIT1_EES4_PKS4_PKT2_SD_SA_PKT4_PKT5_S8_PT6_21rocsparse_index_base_b, .Lfunc_end165-_ZN9rocsparseL18bsrxmvn_3x3_kernelILj256ELj4E21rocsparse_complex_numIdEiiS1_IfES2_S2_EEvT3_20rocsparse_direction_NS_24const_host_device_scalarIT1_EES4_PKS4_PKT2_SD_SA_PKT4_PKT5_S8_PT6_21rocsparse_index_base_b
                                        ; -- End function
	.section	.AMDGPU.csdata,"",@progbits
; Kernel info:
; codeLenInByte = 2224
; NumSgprs: 26
; NumVgprs: 80
; NumAgprs: 0
; TotalNumVgprs: 80
; ScratchSize: 0
; MemoryBound: 0
; FloatMode: 240
; IeeeMode: 1
; LDSByteSize: 4096 bytes/workgroup (compile time only)
; SGPRBlocks: 3
; VGPRBlocks: 9
; NumSGPRsForWavesPerEU: 26
; NumVGPRsForWavesPerEU: 80
; AccumOffset: 80
; Occupancy: 6
; WaveLimiterHint : 1
; COMPUTE_PGM_RSRC2:SCRATCH_EN: 0
; COMPUTE_PGM_RSRC2:USER_SGPR: 4
; COMPUTE_PGM_RSRC2:TRAP_HANDLER: 0
; COMPUTE_PGM_RSRC2:TGID_X_EN: 1
; COMPUTE_PGM_RSRC2:TGID_Y_EN: 0
; COMPUTE_PGM_RSRC2:TGID_Z_EN: 0
; COMPUTE_PGM_RSRC2:TIDIG_COMP_CNT: 2
; COMPUTE_PGM_RSRC3_GFX90A:ACCUM_OFFSET: 19
; COMPUTE_PGM_RSRC3_GFX90A:TG_SPLIT: 0
	.section	.text._ZN9rocsparseL18bsrxmvn_3x3_kernelILj256ELj8E21rocsparse_complex_numIdEiiS1_IfES2_S2_EEvT3_20rocsparse_direction_NS_24const_host_device_scalarIT1_EES4_PKS4_PKT2_SD_SA_PKT4_PKT5_S8_PT6_21rocsparse_index_base_b,"axG",@progbits,_ZN9rocsparseL18bsrxmvn_3x3_kernelILj256ELj8E21rocsparse_complex_numIdEiiS1_IfES2_S2_EEvT3_20rocsparse_direction_NS_24const_host_device_scalarIT1_EES4_PKS4_PKT2_SD_SA_PKT4_PKT5_S8_PT6_21rocsparse_index_base_b,comdat
	.globl	_ZN9rocsparseL18bsrxmvn_3x3_kernelILj256ELj8E21rocsparse_complex_numIdEiiS1_IfES2_S2_EEvT3_20rocsparse_direction_NS_24const_host_device_scalarIT1_EES4_PKS4_PKT2_SD_SA_PKT4_PKT5_S8_PT6_21rocsparse_index_base_b ; -- Begin function _ZN9rocsparseL18bsrxmvn_3x3_kernelILj256ELj8E21rocsparse_complex_numIdEiiS1_IfES2_S2_EEvT3_20rocsparse_direction_NS_24const_host_device_scalarIT1_EES4_PKS4_PKT2_SD_SA_PKT4_PKT5_S8_PT6_21rocsparse_index_base_b
	.p2align	8
	.type	_ZN9rocsparseL18bsrxmvn_3x3_kernelILj256ELj8E21rocsparse_complex_numIdEiiS1_IfES2_S2_EEvT3_20rocsparse_direction_NS_24const_host_device_scalarIT1_EES4_PKS4_PKT2_SD_SA_PKT4_PKT5_S8_PT6_21rocsparse_index_base_b,@function
_ZN9rocsparseL18bsrxmvn_3x3_kernelILj256ELj8E21rocsparse_complex_numIdEiiS1_IfES2_S2_EEvT3_20rocsparse_direction_NS_24const_host_device_scalarIT1_EES4_PKS4_PKT2_SD_SA_PKT4_PKT5_S8_PT6_21rocsparse_index_base_b: ; @_ZN9rocsparseL18bsrxmvn_3x3_kernelILj256ELj8E21rocsparse_complex_numIdEiiS1_IfES2_S2_EEvT3_20rocsparse_direction_NS_24const_host_device_scalarIT1_EES4_PKS4_PKT2_SD_SA_PKT4_PKT5_S8_PT6_21rocsparse_index_base_b
; %bb.0:
	s_load_dwordx2 s[16:17], s[2:3], 0x68
	s_load_dwordx4 s[8:11], s[2:3], 0x8
	s_load_dwordx2 s[18:19], s[0:1], 0x4
	s_load_dwordx4 s[12:15], s[2:3], 0x50
	s_mov_b64 s[6:7], src_shared_base
	v_and_b32_e32 v2, 0x3ff, v0
	s_waitcnt lgkmcnt(0)
	s_bitcmp1_b32 s17, 0
	s_cselect_b64 s[0:1], -1, 0
	s_and_b64 vcc, s[0:1], exec
	s_cselect_b32 s5, s7, s9
	s_lshr_b32 s6, s18, 16
	s_mul_i32 s6, s6, s19
	v_mul_lo_u32 v3, s6, v2
	v_bfe_u32 v4, v0, 10, 10
	v_mad_u32_u24 v3, v4, s19, v3
	v_bfe_u32 v0, v0, 20, 10
	v_add_lshl_u32 v0, v3, v0, 3
	v_mov_b32_e32 v1, s8
	v_add_u32_e32 v3, 0x800, v0
	v_mov_b64_e32 v[4:5], s[8:9]
	v_mov_b64_e32 v[6:7], s[12:13]
	ds_write2st64_b64 v0, v[6:7], v[4:5] offset1:4
	v_cndmask_b32_e64 v4, v1, v3, s[0:1]
	v_mov_b32_e32 v5, s5
	flat_load_dwordx2 v[16:17], v[4:5]
	s_xor_b64 s[18:19], s[0:1], -1
	v_mov_b64_e32 v[18:19], s[10:11]
	s_cbranch_vccnz .LBB166_2
; %bb.1:
	v_mov_b64_e32 v[4:5], s[8:9]
	flat_load_dwordx2 v[18:19], v[4:5] offset:8
.LBB166_2:
	s_and_b64 s[8:9], s[0:1], exec
	s_cselect_b32 s5, s7, s13
	v_mov_b32_e32 v1, s12
	v_cndmask_b32_e64 v0, v1, v0, s[0:1]
	v_mov_b32_e32 v1, s5
	flat_load_dwordx2 v[12:13], v[0:1]
	s_andn2_b64 vcc, exec, s[18:19]
	v_mov_b64_e32 v[14:15], s[14:15]
	s_cbranch_vccnz .LBB166_4
; %bb.3:
	v_mov_b64_e32 v[0:1], s[12:13]
	flat_load_dwordx2 v[14:15], v[0:1] offset:8
.LBB166_4:
	s_waitcnt vmcnt(0) lgkmcnt(0)
	v_cmp_eq_f64_e32 vcc, 0, v[16:17]
	v_cmp_eq_f64_e64 s[0:1], 0, v[18:19]
	s_and_b64 s[8:9], vcc, s[0:1]
	s_mov_b64 s[0:1], -1
	s_and_saveexec_b64 s[6:7], s[8:9]
; %bb.5:
	v_cmp_neq_f64_e32 vcc, 1.0, v[12:13]
	v_cmp_neq_f64_e64 s[0:1], 0, v[14:15]
	s_or_b64 s[0:1], vcc, s[0:1]
	s_orn2_b64 s[0:1], s[0:1], exec
; %bb.6:
	s_or_b64 exec, exec, s[6:7]
	s_and_saveexec_b64 s[6:7], s[0:1]
	s_cbranch_execz .LBB166_12
; %bb.7:
	s_load_dwordx2 s[6:7], s[2:3], 0x20
	s_load_dwordx2 s[0:1], s[2:3], 0x0
	v_lshrrev_b32_e32 v0, 3, v2
	v_lshl_or_b32 v0, s4, 5, v0
	s_mov_b64 s[4:5], 0
	s_waitcnt lgkmcnt(0)
	s_cmp_lg_u64 s[6:7], 0
	s_cbranch_scc0 .LBB166_13
; %bb.8:
	s_load_dword s8, s[2:3], 0x18
                                        ; implicit-def: $vgpr1
	s_waitcnt lgkmcnt(0)
	v_cmp_gt_i32_e32 vcc, s8, v0
	s_and_saveexec_b64 s[8:9], vcc
	s_xor_b64 s[8:9], exec, s[8:9]
	s_cbranch_execz .LBB166_10
; %bb.9:
	v_ashrrev_i32_e32 v1, 31, v0
	v_lshl_add_u64 v[4:5], v[0:1], 2, s[6:7]
	global_load_dword v1, v[4:5], off
	s_mov_b64 s[4:5], exec
	s_waitcnt vmcnt(0)
	v_subrev_u32_e32 v1, s16, v1
.LBB166_10:
	s_or_b64 exec, exec, s[8:9]
	s_branch .LBB166_14
.LBB166_11:
	v_cmp_gt_i32_e32 vcc, s0, v0
	s_andn2_b64 s[4:5], s[4:5], exec
	s_and_b64 s[6:7], vcc, exec
	s_or_b64 s[4:5], s[4:5], s[6:7]
	s_and_b64 exec, exec, s[4:5]
	s_cbranch_execnz .LBB166_15
.LBB166_12:
	s_endpgm
.LBB166_13:
                                        ; implicit-def: $vgpr1
	s_cbranch_execnz .LBB166_11
.LBB166_14:
	v_mov_b32_e32 v0, v1
	s_and_b64 exec, exec, s[4:5]
	s_cbranch_execz .LBB166_12
.LBB166_15:
	s_load_dwordx8 s[4:11], s[2:3], 0x28
	v_ashrrev_i32_e32 v1, 31, v0
	v_lshlrev_b64 v[4:5], 2, v[0:1]
	v_and_b32_e32 v1, 7, v2
	s_movk_i32 s0, 0x48
	s_waitcnt lgkmcnt(0)
	v_lshl_add_u64 v[6:7], s[4:5], 0, v[4:5]
	s_cmp_eq_u64 s[6:7], 0
	global_load_dword v8, v[6:7], off
	v_lshl_add_u64 v[6:7], v[6:7], 0, 4
	v_lshl_add_u64 v[4:5], s[6:7], 0, v[4:5]
	s_cselect_b64 vcc, -1, 0
	v_cndmask_b32_e32 v5, v5, v7, vcc
	v_cndmask_b32_e32 v4, v4, v6, vcc
	global_load_dword v4, v[4:5], off
	s_load_dwordx2 s[4:5], s[2:3], 0x48
	v_mov_b64_e32 v[2:3], s[10:11]
	s_cmp_eq_u32 s1, 1
	s_waitcnt vmcnt(1)
	v_subrev_u32_e32 v5, s16, v8
	v_add_u32_e32 v8, v5, v1
	v_mad_i64_i32 v[10:11], s[6:7], v8, s0, v[2:3]
	s_waitcnt vmcnt(0)
	v_subrev_u32_e32 v30, s16, v4
	v_cmp_lt_i32_e64 s[0:1], v8, v30
	s_cbranch_scc1 .LBB166_21
; %bb.16:
	v_mov_b64_e32 v[6:7], 0
	s_mov_b64 s[6:7], 0
	v_mov_b64_e32 v[24:25], v[6:7]
	v_mov_b64_e32 v[4:5], v[6:7]
	;; [unrolled: 1-line block ×5, first 2 shown]
	s_and_saveexec_b64 s[10:11], s[0:1]
	s_cbranch_execz .LBB166_20
; %bb.17:
	v_mov_b64_e32 v[6:7], 0
	s_mov_b64 s[12:13], 0
	s_mov_b64 s[14:15], 0x240
	v_mov_b32_e32 v26, v8
	v_mov_b64_e32 v[28:29], v[10:11]
	v_mov_b64_e32 v[24:25], v[6:7]
	;; [unrolled: 1-line block ×6, first 2 shown]
.LBB166_18:                             ; =>This Inner Loop Header: Depth=1
	v_ashrrev_i32_e32 v27, 31, v26
	v_lshl_add_u64 v[48:49], v[26:27], 2, s[8:9]
	global_load_dword v9, v[48:49], off
	global_load_dwordx4 v[32:35], v[28:29], off
	global_load_dwordx4 v[36:39], v[28:29], off offset:16
	global_load_dwordx4 v[40:43], v[28:29], off offset:32
	;; [unrolled: 1-line block ×3, first 2 shown]
	global_load_dwordx2 v[60:61], v[28:29], off offset:64
	v_add_u32_e32 v26, 8, v26
	v_cmp_ge_i32_e32 vcc, v26, v30
	v_lshl_add_u64 v[28:29], v[28:29], 0, s[14:15]
	s_or_b64 s[12:13], vcc, s[12:13]
	s_waitcnt vmcnt(5)
	v_subrev_u32_e32 v9, s16, v9
	v_lshl_add_u32 v48, v9, 1, v9
	v_ashrrev_i32_e32 v49, 31, v48
	s_waitcnt lgkmcnt(0)
	v_lshl_add_u64 v[62:63], v[48:49], 4, s[4:5]
	global_load_dwordx4 v[48:51], v[62:63], off
	global_load_dwordx4 v[52:55], v[62:63], off offset:16
	global_load_dwordx4 v[56:59], v[62:63], off offset:32
	s_waitcnt vmcnt(7)
	v_cvt_f64_f32_e32 v[62:63], v32
	v_cvt_f64_f32_e32 v[32:33], v33
	s_waitcnt vmcnt(6)
	v_cvt_f64_f32_e32 v[68:69], v38
	v_cvt_f64_f32_e32 v[38:39], v39
	;; [unrolled: 3-line block ×3, first 2 shown]
	v_cvt_f64_f32_e32 v[64:65], v34
	v_cvt_f64_f32_e32 v[34:35], v35
	;; [unrolled: 1-line block ×10, first 2 shown]
	s_waitcnt vmcnt(3)
	v_cvt_f64_f32_e32 v[78:79], v60
	v_cvt_f64_f32_e32 v[60:61], v61
	s_waitcnt vmcnt(2)
	v_fmac_f64_e32 v[24:25], v[62:63], v[48:49]
	v_fmac_f64_e32 v[6:7], v[32:33], v[48:49]
	v_fmac_f64_e32 v[22:23], v[68:69], v[48:49]
	v_fmac_f64_e32 v[4:5], v[38:39], v[48:49]
	v_fmac_f64_e32 v[20:21], v[74:75], v[48:49]
	v_fmac_f64_e32 v[2:3], v[44:45], v[48:49]
	v_fma_f64 v[24:25], -v[32:33], v[50:51], v[24:25]
	v_fmac_f64_e32 v[6:7], v[62:63], v[50:51]
	v_fma_f64 v[22:23], -v[38:39], v[50:51], v[22:23]
	v_fmac_f64_e32 v[4:5], v[68:69], v[50:51]
	v_fma_f64 v[20:21], -v[44:45], v[50:51], v[20:21]
	v_fmac_f64_e32 v[2:3], v[74:75], v[50:51]
	s_waitcnt vmcnt(1)
	v_fmac_f64_e32 v[24:25], v[64:65], v[52:53]
	v_fmac_f64_e32 v[6:7], v[34:35], v[52:53]
	v_fmac_f64_e32 v[22:23], v[70:71], v[52:53]
	v_fmac_f64_e32 v[4:5], v[40:41], v[52:53]
	v_fmac_f64_e32 v[20:21], v[76:77], v[52:53]
	v_fmac_f64_e32 v[2:3], v[46:47], v[52:53]
	v_fma_f64 v[24:25], -v[34:35], v[54:55], v[24:25]
	v_fmac_f64_e32 v[6:7], v[64:65], v[54:55]
	v_fma_f64 v[22:23], -v[40:41], v[54:55], v[22:23]
	v_fmac_f64_e32 v[4:5], v[70:71], v[54:55]
	v_fma_f64 v[20:21], -v[46:47], v[54:55], v[20:21]
	v_fmac_f64_e32 v[2:3], v[76:77], v[54:55]
	;; [unrolled: 13-line block ×3, first 2 shown]
	s_andn2_b64 exec, exec, s[12:13]
	s_cbranch_execnz .LBB166_18
; %bb.19:
	s_or_b64 exec, exec, s[12:13]
.LBB166_20:
	s_or_b64 exec, exec, s[10:11]
	s_andn2_b64 vcc, exec, s[6:7]
	s_cbranch_vccz .LBB166_22
	s_branch .LBB166_27
.LBB166_21:
                                        ; implicit-def: $vgpr6_vgpr7
                                        ; implicit-def: $vgpr24_vgpr25
                                        ; implicit-def: $vgpr4_vgpr5
                                        ; implicit-def: $vgpr22_vgpr23
                                        ; implicit-def: $vgpr2_vgpr3
                                        ; implicit-def: $vgpr20_vgpr21
.LBB166_22:
	v_mov_b64_e32 v[6:7], 0
	v_mov_b64_e32 v[24:25], v[6:7]
	;; [unrolled: 1-line block ×6, first 2 shown]
	s_and_saveexec_b64 s[6:7], s[0:1]
	s_cbranch_execz .LBB166_26
; %bb.23:
	v_mov_b64_e32 v[6:7], 0
	s_mov_b64 s[0:1], 0
	s_mov_b64 s[10:11], 0x240
	v_mov_b64_e32 v[24:25], v[6:7]
	v_mov_b64_e32 v[4:5], v[6:7]
	;; [unrolled: 1-line block ×5, first 2 shown]
.LBB166_24:                             ; =>This Inner Loop Header: Depth=1
	v_ashrrev_i32_e32 v9, 31, v8
	v_lshl_add_u64 v[44:45], v[8:9], 2, s[8:9]
	global_load_dword v9, v[44:45], off
	global_load_dwordx4 v[26:29], v[10:11], off
	global_load_dwordx4 v[32:35], v[10:11], off offset:16
	global_load_dwordx4 v[36:39], v[10:11], off offset:32
	;; [unrolled: 1-line block ×3, first 2 shown]
	global_load_dwordx2 v[56:57], v[10:11], off offset:64
	v_add_u32_e32 v8, 8, v8
	v_cmp_ge_i32_e32 vcc, v8, v30
	v_lshl_add_u64 v[10:11], v[10:11], 0, s[10:11]
	s_or_b64 s[0:1], vcc, s[0:1]
	s_waitcnt vmcnt(5)
	v_subrev_u32_e32 v9, s16, v9
	v_lshl_add_u32 v44, v9, 1, v9
	v_ashrrev_i32_e32 v45, 31, v44
	s_waitcnt lgkmcnt(0)
	v_lshl_add_u64 v[58:59], v[44:45], 4, s[4:5]
	global_load_dwordx4 v[44:47], v[58:59], off
	global_load_dwordx4 v[48:51], v[58:59], off offset:16
	global_load_dwordx4 v[52:55], v[58:59], off offset:32
	s_waitcnt vmcnt(7)
	v_cvt_f64_f32_e32 v[58:59], v26
	v_cvt_f64_f32_e32 v[26:27], v27
	v_cvt_f64_f32_e32 v[60:61], v28
	v_cvt_f64_f32_e32 v[28:29], v29
	s_waitcnt vmcnt(6)
	v_cvt_f64_f32_e32 v[62:63], v32
	v_cvt_f64_f32_e32 v[32:33], v33
	v_cvt_f64_f32_e32 v[64:65], v34
	v_cvt_f64_f32_e32 v[34:35], v35
	;; [unrolled: 5-line block ×4, first 2 shown]
	s_waitcnt vmcnt(3)
	v_cvt_f64_f32_e32 v[74:75], v56
	v_cvt_f64_f32_e32 v[56:57], v57
	s_waitcnt vmcnt(2)
	v_fmac_f64_e32 v[24:25], v[58:59], v[44:45]
	v_fmac_f64_e32 v[6:7], v[26:27], v[44:45]
	v_fmac_f64_e32 v[22:23], v[60:61], v[44:45]
	v_fmac_f64_e32 v[4:5], v[28:29], v[44:45]
	v_fmac_f64_e32 v[20:21], v[62:63], v[44:45]
	v_fmac_f64_e32 v[2:3], v[32:33], v[44:45]
	v_fma_f64 v[24:25], -v[26:27], v[46:47], v[24:25]
	v_fmac_f64_e32 v[6:7], v[58:59], v[46:47]
	v_fma_f64 v[22:23], -v[28:29], v[46:47], v[22:23]
	v_fmac_f64_e32 v[4:5], v[60:61], v[46:47]
	v_fma_f64 v[20:21], -v[32:33], v[46:47], v[20:21]
	v_fmac_f64_e32 v[2:3], v[62:63], v[46:47]
	s_waitcnt vmcnt(1)
	v_fmac_f64_e32 v[24:25], v[64:65], v[48:49]
	v_fmac_f64_e32 v[6:7], v[34:35], v[48:49]
	v_fmac_f64_e32 v[22:23], v[66:67], v[48:49]
	v_fmac_f64_e32 v[4:5], v[36:37], v[48:49]
	v_fmac_f64_e32 v[20:21], v[68:69], v[48:49]
	v_fmac_f64_e32 v[2:3], v[38:39], v[48:49]
	v_fma_f64 v[24:25], -v[34:35], v[50:51], v[24:25]
	v_fmac_f64_e32 v[6:7], v[64:65], v[50:51]
	v_fma_f64 v[22:23], -v[36:37], v[50:51], v[22:23]
	v_fmac_f64_e32 v[4:5], v[66:67], v[50:51]
	v_fma_f64 v[20:21], -v[38:39], v[50:51], v[20:21]
	v_fmac_f64_e32 v[2:3], v[68:69], v[50:51]
	;; [unrolled: 13-line block ×3, first 2 shown]
	s_andn2_b64 exec, exec, s[0:1]
	s_cbranch_execnz .LBB166_24
; %bb.25:
	s_or_b64 exec, exec, s[0:1]
.LBB166_26:
	s_or_b64 exec, exec, s[6:7]
.LBB166_27:
	v_mov_b32_dpp v8, v24 row_shr:1 row_mask:0xf bank_mask:0xf
	v_mov_b32_dpp v9, v25 row_shr:1 row_mask:0xf bank_mask:0xf
	v_add_f64 v[8:9], v[24:25], v[8:9]
	v_mov_b32_dpp v24, v6 row_shr:1 row_mask:0xf bank_mask:0xf
	v_mov_b32_dpp v25, v7 row_shr:1 row_mask:0xf bank_mask:0xf
	;; [unrolled: 1-line block ×10, first 2 shown]
	v_add_f64 v[6:7], v[6:7], v[24:25]
	v_add_f64 v[22:23], v[22:23], v[26:27]
	;; [unrolled: 1-line block ×5, first 2 shown]
	v_mov_b32_dpp v10, v8 row_shr:2 row_mask:0xf bank_mask:0xf
	v_mov_b32_dpp v11, v9 row_shr:2 row_mask:0xf bank_mask:0xf
	;; [unrolled: 1-line block ×12, first 2 shown]
	v_add_f64 v[8:9], v[8:9], v[10:11]
	v_add_f64 v[6:7], v[6:7], v[24:25]
	;; [unrolled: 1-line block ×6, first 2 shown]
	v_mov_b32_dpp v10, v8 row_shr:4 row_mask:0xf bank_mask:0xe
	v_mov_b32_dpp v11, v9 row_shr:4 row_mask:0xf bank_mask:0xe
	;; [unrolled: 1-line block ×12, first 2 shown]
	v_cmp_eq_u32_e32 vcc, 7, v1
	s_and_b64 exec, exec, vcc
	s_cbranch_execz .LBB166_12
; %bb.28:
	s_load_dwordx2 s[2:3], s[2:3], 0x60
	v_add_f64 v[6:7], v[6:7], v[24:25]
	v_add_f64 v[24:25], v[4:5], v[28:29]
	;; [unrolled: 1-line block ×6, first 2 shown]
	v_cmp_eq_f64_e32 vcc, 0, v[12:13]
	v_cmp_eq_f64_e64 s[0:1], 0, v[14:15]
	v_mul_f64 v[8:9], v[6:7], -v[18:19]
	v_mul_f64 v[10:11], v[16:17], v[6:7]
	v_lshl_add_u32 v20, v0, 1, v0
	v_mul_f64 v[4:5], v[24:25], -v[18:19]
	v_mul_f64 v[6:7], v[16:17], v[24:25]
	v_mul_f64 v[0:1], v[2:3], -v[18:19]
	v_mul_f64 v[2:3], v[16:17], v[2:3]
	s_and_b64 s[0:1], vcc, s[0:1]
	v_fmac_f64_e32 v[8:9], v[16:17], v[34:35]
	v_fmac_f64_e32 v[10:11], v[18:19], v[34:35]
	v_ashrrev_i32_e32 v21, 31, v20
	v_fmac_f64_e32 v[4:5], v[16:17], v[22:23]
	v_fmac_f64_e32 v[6:7], v[18:19], v[22:23]
	;; [unrolled: 1-line block ×4, first 2 shown]
	s_waitcnt lgkmcnt(0)
	s_and_saveexec_b64 s[4:5], s[0:1]
	s_xor_b64 s[0:1], exec, s[4:5]
	s_cbranch_execz .LBB166_30
; %bb.29:
	v_lshl_add_u64 v[12:13], v[20:21], 4, s[2:3]
	global_store_dwordx4 v[12:13], v[8:11], off
	global_store_dwordx4 v[12:13], v[4:7], off offset:16
	global_store_dwordx4 v[12:13], v[0:3], off offset:32
                                        ; implicit-def: $vgpr12_vgpr13
                                        ; implicit-def: $vgpr14_vgpr15
                                        ; implicit-def: $vgpr20
                                        ; implicit-def: $vgpr8_vgpr9
                                        ; implicit-def: $vgpr4_vgpr5
                                        ; implicit-def: $vgpr0_vgpr1
.LBB166_30:
	s_andn2_saveexec_b64 s[0:1], s[0:1]
	s_cbranch_execz .LBB166_12
; %bb.31:
	v_lshl_add_u64 v[28:29], v[20:21], 4, s[2:3]
	global_load_dwordx4 v[16:19], v[28:29], off
	global_load_dwordx4 v[20:23], v[28:29], off offset:16
	global_load_dwordx4 v[24:27], v[28:29], off offset:32
	s_waitcnt vmcnt(2)
	v_fmac_f64_e32 v[8:9], v[12:13], v[16:17]
	v_fmac_f64_e32 v[10:11], v[14:15], v[16:17]
	s_waitcnt vmcnt(1)
	v_fmac_f64_e32 v[4:5], v[12:13], v[20:21]
	v_fmac_f64_e32 v[6:7], v[14:15], v[20:21]
	;; [unrolled: 3-line block ×3, first 2 shown]
	v_fma_f64 v[8:9], -v[14:15], v[18:19], v[8:9]
	v_fmac_f64_e32 v[10:11], v[12:13], v[18:19]
	v_fma_f64 v[4:5], -v[14:15], v[22:23], v[4:5]
	v_fmac_f64_e32 v[6:7], v[12:13], v[22:23]
	;; [unrolled: 2-line block ×3, first 2 shown]
	global_store_dwordx4 v[28:29], v[8:11], off
	global_store_dwordx4 v[28:29], v[4:7], off offset:16
	global_store_dwordx4 v[28:29], v[0:3], off offset:32
	s_endpgm
	.section	.rodata,"a",@progbits
	.p2align	6, 0x0
	.amdhsa_kernel _ZN9rocsparseL18bsrxmvn_3x3_kernelILj256ELj8E21rocsparse_complex_numIdEiiS1_IfES2_S2_EEvT3_20rocsparse_direction_NS_24const_host_device_scalarIT1_EES4_PKS4_PKT2_SD_SA_PKT4_PKT5_S8_PT6_21rocsparse_index_base_b
		.amdhsa_group_segment_fixed_size 4096
		.amdhsa_private_segment_fixed_size 0
		.amdhsa_kernarg_size 112
		.amdhsa_user_sgpr_count 4
		.amdhsa_user_sgpr_dispatch_ptr 1
		.amdhsa_user_sgpr_queue_ptr 0
		.amdhsa_user_sgpr_kernarg_segment_ptr 1
		.amdhsa_user_sgpr_dispatch_id 0
		.amdhsa_user_sgpr_kernarg_preload_length 0
		.amdhsa_user_sgpr_kernarg_preload_offset 0
		.amdhsa_user_sgpr_private_segment_size 0
		.amdhsa_uses_dynamic_stack 0
		.amdhsa_enable_private_segment 0
		.amdhsa_system_sgpr_workgroup_id_x 1
		.amdhsa_system_sgpr_workgroup_id_y 0
		.amdhsa_system_sgpr_workgroup_id_z 0
		.amdhsa_system_sgpr_workgroup_info 0
		.amdhsa_system_vgpr_workitem_id 2
		.amdhsa_next_free_vgpr 80
		.amdhsa_next_free_sgpr 20
		.amdhsa_accum_offset 80
		.amdhsa_reserve_vcc 1
		.amdhsa_float_round_mode_32 0
		.amdhsa_float_round_mode_16_64 0
		.amdhsa_float_denorm_mode_32 3
		.amdhsa_float_denorm_mode_16_64 3
		.amdhsa_dx10_clamp 1
		.amdhsa_ieee_mode 1
		.amdhsa_fp16_overflow 0
		.amdhsa_tg_split 0
		.amdhsa_exception_fp_ieee_invalid_op 0
		.amdhsa_exception_fp_denorm_src 0
		.amdhsa_exception_fp_ieee_div_zero 0
		.amdhsa_exception_fp_ieee_overflow 0
		.amdhsa_exception_fp_ieee_underflow 0
		.amdhsa_exception_fp_ieee_inexact 0
		.amdhsa_exception_int_div_zero 0
	.end_amdhsa_kernel
	.section	.text._ZN9rocsparseL18bsrxmvn_3x3_kernelILj256ELj8E21rocsparse_complex_numIdEiiS1_IfES2_S2_EEvT3_20rocsparse_direction_NS_24const_host_device_scalarIT1_EES4_PKS4_PKT2_SD_SA_PKT4_PKT5_S8_PT6_21rocsparse_index_base_b,"axG",@progbits,_ZN9rocsparseL18bsrxmvn_3x3_kernelILj256ELj8E21rocsparse_complex_numIdEiiS1_IfES2_S2_EEvT3_20rocsparse_direction_NS_24const_host_device_scalarIT1_EES4_PKS4_PKT2_SD_SA_PKT4_PKT5_S8_PT6_21rocsparse_index_base_b,comdat
.Lfunc_end166:
	.size	_ZN9rocsparseL18bsrxmvn_3x3_kernelILj256ELj8E21rocsparse_complex_numIdEiiS1_IfES2_S2_EEvT3_20rocsparse_direction_NS_24const_host_device_scalarIT1_EES4_PKS4_PKT2_SD_SA_PKT4_PKT5_S8_PT6_21rocsparse_index_base_b, .Lfunc_end166-_ZN9rocsparseL18bsrxmvn_3x3_kernelILj256ELj8E21rocsparse_complex_numIdEiiS1_IfES2_S2_EEvT3_20rocsparse_direction_NS_24const_host_device_scalarIT1_EES4_PKS4_PKT2_SD_SA_PKT4_PKT5_S8_PT6_21rocsparse_index_base_b
                                        ; -- End function
	.section	.AMDGPU.csdata,"",@progbits
; Kernel info:
; codeLenInByte = 2368
; NumSgprs: 26
; NumVgprs: 80
; NumAgprs: 0
; TotalNumVgprs: 80
; ScratchSize: 0
; MemoryBound: 0
; FloatMode: 240
; IeeeMode: 1
; LDSByteSize: 4096 bytes/workgroup (compile time only)
; SGPRBlocks: 3
; VGPRBlocks: 9
; NumSGPRsForWavesPerEU: 26
; NumVGPRsForWavesPerEU: 80
; AccumOffset: 80
; Occupancy: 6
; WaveLimiterHint : 1
; COMPUTE_PGM_RSRC2:SCRATCH_EN: 0
; COMPUTE_PGM_RSRC2:USER_SGPR: 4
; COMPUTE_PGM_RSRC2:TRAP_HANDLER: 0
; COMPUTE_PGM_RSRC2:TGID_X_EN: 1
; COMPUTE_PGM_RSRC2:TGID_Y_EN: 0
; COMPUTE_PGM_RSRC2:TGID_Z_EN: 0
; COMPUTE_PGM_RSRC2:TIDIG_COMP_CNT: 2
; COMPUTE_PGM_RSRC3_GFX90A:ACCUM_OFFSET: 19
; COMPUTE_PGM_RSRC3_GFX90A:TG_SPLIT: 0
	.section	.text._ZN9rocsparseL18bsrxmvn_3x3_kernelILj256ELj16E21rocsparse_complex_numIdEiiS1_IfES2_S2_EEvT3_20rocsparse_direction_NS_24const_host_device_scalarIT1_EES4_PKS4_PKT2_SD_SA_PKT4_PKT5_S8_PT6_21rocsparse_index_base_b,"axG",@progbits,_ZN9rocsparseL18bsrxmvn_3x3_kernelILj256ELj16E21rocsparse_complex_numIdEiiS1_IfES2_S2_EEvT3_20rocsparse_direction_NS_24const_host_device_scalarIT1_EES4_PKS4_PKT2_SD_SA_PKT4_PKT5_S8_PT6_21rocsparse_index_base_b,comdat
	.globl	_ZN9rocsparseL18bsrxmvn_3x3_kernelILj256ELj16E21rocsparse_complex_numIdEiiS1_IfES2_S2_EEvT3_20rocsparse_direction_NS_24const_host_device_scalarIT1_EES4_PKS4_PKT2_SD_SA_PKT4_PKT5_S8_PT6_21rocsparse_index_base_b ; -- Begin function _ZN9rocsparseL18bsrxmvn_3x3_kernelILj256ELj16E21rocsparse_complex_numIdEiiS1_IfES2_S2_EEvT3_20rocsparse_direction_NS_24const_host_device_scalarIT1_EES4_PKS4_PKT2_SD_SA_PKT4_PKT5_S8_PT6_21rocsparse_index_base_b
	.p2align	8
	.type	_ZN9rocsparseL18bsrxmvn_3x3_kernelILj256ELj16E21rocsparse_complex_numIdEiiS1_IfES2_S2_EEvT3_20rocsparse_direction_NS_24const_host_device_scalarIT1_EES4_PKS4_PKT2_SD_SA_PKT4_PKT5_S8_PT6_21rocsparse_index_base_b,@function
_ZN9rocsparseL18bsrxmvn_3x3_kernelILj256ELj16E21rocsparse_complex_numIdEiiS1_IfES2_S2_EEvT3_20rocsparse_direction_NS_24const_host_device_scalarIT1_EES4_PKS4_PKT2_SD_SA_PKT4_PKT5_S8_PT6_21rocsparse_index_base_b: ; @_ZN9rocsparseL18bsrxmvn_3x3_kernelILj256ELj16E21rocsparse_complex_numIdEiiS1_IfES2_S2_EEvT3_20rocsparse_direction_NS_24const_host_device_scalarIT1_EES4_PKS4_PKT2_SD_SA_PKT4_PKT5_S8_PT6_21rocsparse_index_base_b
; %bb.0:
	s_load_dwordx2 s[16:17], s[2:3], 0x68
	s_load_dwordx4 s[8:11], s[2:3], 0x8
	s_load_dwordx2 s[18:19], s[0:1], 0x4
	s_load_dwordx4 s[12:15], s[2:3], 0x50
	s_mov_b64 s[6:7], src_shared_base
	v_and_b32_e32 v2, 0x3ff, v0
	s_waitcnt lgkmcnt(0)
	s_bitcmp1_b32 s17, 0
	s_cselect_b64 s[0:1], -1, 0
	s_and_b64 vcc, s[0:1], exec
	s_cselect_b32 s5, s7, s9
	s_lshr_b32 s6, s18, 16
	s_mul_i32 s6, s6, s19
	v_mul_lo_u32 v3, s6, v2
	v_bfe_u32 v4, v0, 10, 10
	v_mad_u32_u24 v3, v4, s19, v3
	v_bfe_u32 v0, v0, 20, 10
	v_add_lshl_u32 v0, v3, v0, 3
	v_mov_b32_e32 v1, s8
	v_add_u32_e32 v3, 0x800, v0
	v_mov_b64_e32 v[4:5], s[8:9]
	v_mov_b64_e32 v[6:7], s[12:13]
	ds_write2st64_b64 v0, v[6:7], v[4:5] offset1:4
	v_cndmask_b32_e64 v4, v1, v3, s[0:1]
	v_mov_b32_e32 v5, s5
	flat_load_dwordx2 v[16:17], v[4:5]
	s_xor_b64 s[18:19], s[0:1], -1
	v_mov_b64_e32 v[18:19], s[10:11]
	s_cbranch_vccnz .LBB167_2
; %bb.1:
	v_mov_b64_e32 v[4:5], s[8:9]
	flat_load_dwordx2 v[18:19], v[4:5] offset:8
.LBB167_2:
	s_and_b64 s[8:9], s[0:1], exec
	s_cselect_b32 s5, s7, s13
	v_mov_b32_e32 v1, s12
	v_cndmask_b32_e64 v0, v1, v0, s[0:1]
	v_mov_b32_e32 v1, s5
	flat_load_dwordx2 v[12:13], v[0:1]
	s_andn2_b64 vcc, exec, s[18:19]
	v_mov_b64_e32 v[14:15], s[14:15]
	s_cbranch_vccnz .LBB167_4
; %bb.3:
	v_mov_b64_e32 v[0:1], s[12:13]
	flat_load_dwordx2 v[14:15], v[0:1] offset:8
.LBB167_4:
	s_waitcnt vmcnt(0) lgkmcnt(0)
	v_cmp_eq_f64_e32 vcc, 0, v[16:17]
	v_cmp_eq_f64_e64 s[0:1], 0, v[18:19]
	s_and_b64 s[8:9], vcc, s[0:1]
	s_mov_b64 s[0:1], -1
	s_and_saveexec_b64 s[6:7], s[8:9]
; %bb.5:
	v_cmp_neq_f64_e32 vcc, 1.0, v[12:13]
	v_cmp_neq_f64_e64 s[0:1], 0, v[14:15]
	s_or_b64 s[0:1], vcc, s[0:1]
	s_orn2_b64 s[0:1], s[0:1], exec
; %bb.6:
	s_or_b64 exec, exec, s[6:7]
	s_and_saveexec_b64 s[6:7], s[0:1]
	s_cbranch_execz .LBB167_12
; %bb.7:
	s_load_dwordx2 s[6:7], s[2:3], 0x20
	s_load_dwordx2 s[0:1], s[2:3], 0x0
	v_lshrrev_b32_e32 v0, 4, v2
	v_lshl_or_b32 v0, s4, 4, v0
	s_mov_b64 s[4:5], 0
	s_waitcnt lgkmcnt(0)
	s_cmp_lg_u64 s[6:7], 0
	s_cbranch_scc0 .LBB167_13
; %bb.8:
	s_load_dword s8, s[2:3], 0x18
                                        ; implicit-def: $vgpr1
	s_waitcnt lgkmcnt(0)
	v_cmp_gt_i32_e32 vcc, s8, v0
	s_and_saveexec_b64 s[8:9], vcc
	s_xor_b64 s[8:9], exec, s[8:9]
	s_cbranch_execz .LBB167_10
; %bb.9:
	v_ashrrev_i32_e32 v1, 31, v0
	v_lshl_add_u64 v[4:5], v[0:1], 2, s[6:7]
	global_load_dword v1, v[4:5], off
	s_mov_b64 s[4:5], exec
	s_waitcnt vmcnt(0)
	v_subrev_u32_e32 v1, s16, v1
.LBB167_10:
	s_or_b64 exec, exec, s[8:9]
	s_branch .LBB167_14
.LBB167_11:
	v_cmp_gt_i32_e32 vcc, s0, v0
	s_andn2_b64 s[4:5], s[4:5], exec
	s_and_b64 s[6:7], vcc, exec
	s_or_b64 s[4:5], s[4:5], s[6:7]
	s_and_b64 exec, exec, s[4:5]
	s_cbranch_execnz .LBB167_15
.LBB167_12:
	s_endpgm
.LBB167_13:
                                        ; implicit-def: $vgpr1
	s_cbranch_execnz .LBB167_11
.LBB167_14:
	v_mov_b32_e32 v0, v1
	s_and_b64 exec, exec, s[4:5]
	s_cbranch_execz .LBB167_12
.LBB167_15:
	s_load_dwordx8 s[4:11], s[2:3], 0x28
	v_ashrrev_i32_e32 v1, 31, v0
	v_lshlrev_b64 v[4:5], 2, v[0:1]
	v_and_b32_e32 v1, 15, v2
	s_movk_i32 s0, 0x48
	s_waitcnt lgkmcnt(0)
	v_lshl_add_u64 v[6:7], s[4:5], 0, v[4:5]
	s_cmp_eq_u64 s[6:7], 0
	global_load_dword v8, v[6:7], off
	v_lshl_add_u64 v[6:7], v[6:7], 0, 4
	v_lshl_add_u64 v[4:5], s[6:7], 0, v[4:5]
	s_cselect_b64 vcc, -1, 0
	v_cndmask_b32_e32 v5, v5, v7, vcc
	v_cndmask_b32_e32 v4, v4, v6, vcc
	global_load_dword v4, v[4:5], off
	s_load_dwordx2 s[4:5], s[2:3], 0x48
	v_mov_b64_e32 v[2:3], s[10:11]
	s_cmp_eq_u32 s1, 1
	s_waitcnt vmcnt(1)
	v_subrev_u32_e32 v5, s16, v8
	v_add_u32_e32 v10, v5, v1
	v_mad_i64_i32 v[20:21], s[6:7], v10, s0, v[2:3]
	s_waitcnt vmcnt(0)
	v_subrev_u32_e32 v30, s16, v4
	v_cmp_lt_i32_e64 s[0:1], v10, v30
	s_cbranch_scc1 .LBB167_21
; %bb.16:
	v_mov_b64_e32 v[6:7], 0
	s_mov_b64 s[6:7], 0
	v_mov_b64_e32 v[24:25], v[6:7]
	v_mov_b64_e32 v[4:5], v[6:7]
	;; [unrolled: 1-line block ×5, first 2 shown]
	s_and_saveexec_b64 s[10:11], s[0:1]
	s_cbranch_execz .LBB167_20
; %bb.17:
	v_mov_b64_e32 v[6:7], 0
	s_mov_b64 s[12:13], 0
	s_mov_b64 s[14:15], 0x480
	v_mov_b32_e32 v26, v10
	v_mov_b64_e32 v[28:29], v[20:21]
	v_mov_b64_e32 v[24:25], v[6:7]
	;; [unrolled: 1-line block ×6, first 2 shown]
.LBB167_18:                             ; =>This Inner Loop Header: Depth=1
	v_ashrrev_i32_e32 v27, 31, v26
	v_lshl_add_u64 v[48:49], v[26:27], 2, s[8:9]
	global_load_dword v11, v[48:49], off
	global_load_dwordx4 v[32:35], v[28:29], off
	global_load_dwordx4 v[36:39], v[28:29], off offset:16
	global_load_dwordx4 v[40:43], v[28:29], off offset:32
	;; [unrolled: 1-line block ×3, first 2 shown]
	global_load_dwordx2 v[60:61], v[28:29], off offset:64
	v_add_u32_e32 v26, 16, v26
	v_cmp_ge_i32_e32 vcc, v26, v30
	v_lshl_add_u64 v[28:29], v[28:29], 0, s[14:15]
	s_or_b64 s[12:13], vcc, s[12:13]
	s_waitcnt vmcnt(5)
	v_subrev_u32_e32 v11, s16, v11
	v_lshl_add_u32 v48, v11, 1, v11
	v_ashrrev_i32_e32 v49, 31, v48
	s_waitcnt lgkmcnt(0)
	v_lshl_add_u64 v[62:63], v[48:49], 4, s[4:5]
	global_load_dwordx4 v[48:51], v[62:63], off
	global_load_dwordx4 v[52:55], v[62:63], off offset:16
	global_load_dwordx4 v[56:59], v[62:63], off offset:32
	s_waitcnt vmcnt(7)
	v_cvt_f64_f32_e32 v[62:63], v32
	v_cvt_f64_f32_e32 v[32:33], v33
	s_waitcnt vmcnt(6)
	v_cvt_f64_f32_e32 v[68:69], v38
	v_cvt_f64_f32_e32 v[38:39], v39
	;; [unrolled: 3-line block ×3, first 2 shown]
	v_cvt_f64_f32_e32 v[64:65], v34
	v_cvt_f64_f32_e32 v[34:35], v35
	;; [unrolled: 1-line block ×10, first 2 shown]
	s_waitcnt vmcnt(3)
	v_cvt_f64_f32_e32 v[78:79], v60
	v_cvt_f64_f32_e32 v[60:61], v61
	s_waitcnt vmcnt(2)
	v_fmac_f64_e32 v[24:25], v[62:63], v[48:49]
	v_fmac_f64_e32 v[6:7], v[32:33], v[48:49]
	v_fmac_f64_e32 v[22:23], v[68:69], v[48:49]
	v_fmac_f64_e32 v[4:5], v[38:39], v[48:49]
	v_fmac_f64_e32 v[8:9], v[74:75], v[48:49]
	v_fmac_f64_e32 v[2:3], v[44:45], v[48:49]
	v_fma_f64 v[24:25], -v[32:33], v[50:51], v[24:25]
	v_fmac_f64_e32 v[6:7], v[62:63], v[50:51]
	v_fma_f64 v[22:23], -v[38:39], v[50:51], v[22:23]
	v_fmac_f64_e32 v[4:5], v[68:69], v[50:51]
	v_fma_f64 v[8:9], -v[44:45], v[50:51], v[8:9]
	v_fmac_f64_e32 v[2:3], v[74:75], v[50:51]
	s_waitcnt vmcnt(1)
	v_fmac_f64_e32 v[24:25], v[64:65], v[52:53]
	v_fmac_f64_e32 v[6:7], v[34:35], v[52:53]
	v_fmac_f64_e32 v[22:23], v[70:71], v[52:53]
	v_fmac_f64_e32 v[4:5], v[40:41], v[52:53]
	v_fmac_f64_e32 v[8:9], v[76:77], v[52:53]
	v_fmac_f64_e32 v[2:3], v[46:47], v[52:53]
	v_fma_f64 v[24:25], -v[34:35], v[54:55], v[24:25]
	v_fmac_f64_e32 v[6:7], v[64:65], v[54:55]
	v_fma_f64 v[22:23], -v[40:41], v[54:55], v[22:23]
	v_fmac_f64_e32 v[4:5], v[70:71], v[54:55]
	v_fma_f64 v[8:9], -v[46:47], v[54:55], v[8:9]
	v_fmac_f64_e32 v[2:3], v[76:77], v[54:55]
	;; [unrolled: 13-line block ×3, first 2 shown]
	s_andn2_b64 exec, exec, s[12:13]
	s_cbranch_execnz .LBB167_18
; %bb.19:
	s_or_b64 exec, exec, s[12:13]
.LBB167_20:
	s_or_b64 exec, exec, s[10:11]
	s_andn2_b64 vcc, exec, s[6:7]
	s_cbranch_vccz .LBB167_22
	s_branch .LBB167_27
.LBB167_21:
                                        ; implicit-def: $vgpr6_vgpr7
                                        ; implicit-def: $vgpr24_vgpr25
                                        ; implicit-def: $vgpr4_vgpr5
                                        ; implicit-def: $vgpr22_vgpr23
                                        ; implicit-def: $vgpr2_vgpr3
                                        ; implicit-def: $vgpr8_vgpr9
.LBB167_22:
	v_mov_b64_e32 v[6:7], 0
	v_mov_b64_e32 v[24:25], v[6:7]
	;; [unrolled: 1-line block ×6, first 2 shown]
	s_and_saveexec_b64 s[6:7], s[0:1]
	s_cbranch_execz .LBB167_26
; %bb.23:
	v_mov_b64_e32 v[6:7], 0
	s_mov_b64 s[0:1], 0
	s_mov_b64 s[10:11], 0x480
	v_mov_b64_e32 v[24:25], v[6:7]
	v_mov_b64_e32 v[4:5], v[6:7]
	;; [unrolled: 1-line block ×5, first 2 shown]
.LBB167_24:                             ; =>This Inner Loop Header: Depth=1
	v_ashrrev_i32_e32 v11, 31, v10
	v_lshl_add_u64 v[44:45], v[10:11], 2, s[8:9]
	global_load_dword v11, v[44:45], off
	global_load_dwordx4 v[26:29], v[20:21], off
	global_load_dwordx4 v[32:35], v[20:21], off offset:16
	global_load_dwordx4 v[36:39], v[20:21], off offset:32
	;; [unrolled: 1-line block ×3, first 2 shown]
	global_load_dwordx2 v[56:57], v[20:21], off offset:64
	v_add_u32_e32 v10, 16, v10
	v_cmp_ge_i32_e32 vcc, v10, v30
	v_lshl_add_u64 v[20:21], v[20:21], 0, s[10:11]
	s_or_b64 s[0:1], vcc, s[0:1]
	s_waitcnt vmcnt(5)
	v_subrev_u32_e32 v11, s16, v11
	v_lshl_add_u32 v44, v11, 1, v11
	v_ashrrev_i32_e32 v45, 31, v44
	s_waitcnt lgkmcnt(0)
	v_lshl_add_u64 v[58:59], v[44:45], 4, s[4:5]
	global_load_dwordx4 v[44:47], v[58:59], off
	global_load_dwordx4 v[48:51], v[58:59], off offset:16
	global_load_dwordx4 v[52:55], v[58:59], off offset:32
	s_waitcnt vmcnt(7)
	v_cvt_f64_f32_e32 v[58:59], v26
	v_cvt_f64_f32_e32 v[26:27], v27
	v_cvt_f64_f32_e32 v[60:61], v28
	v_cvt_f64_f32_e32 v[28:29], v29
	s_waitcnt vmcnt(6)
	v_cvt_f64_f32_e32 v[62:63], v32
	v_cvt_f64_f32_e32 v[32:33], v33
	v_cvt_f64_f32_e32 v[64:65], v34
	v_cvt_f64_f32_e32 v[34:35], v35
	;; [unrolled: 5-line block ×4, first 2 shown]
	s_waitcnt vmcnt(3)
	v_cvt_f64_f32_e32 v[74:75], v56
	v_cvt_f64_f32_e32 v[56:57], v57
	s_waitcnt vmcnt(2)
	v_fmac_f64_e32 v[24:25], v[58:59], v[44:45]
	v_fmac_f64_e32 v[6:7], v[26:27], v[44:45]
	v_fmac_f64_e32 v[22:23], v[60:61], v[44:45]
	v_fmac_f64_e32 v[4:5], v[28:29], v[44:45]
	v_fmac_f64_e32 v[8:9], v[62:63], v[44:45]
	v_fmac_f64_e32 v[2:3], v[32:33], v[44:45]
	v_fma_f64 v[24:25], -v[26:27], v[46:47], v[24:25]
	v_fmac_f64_e32 v[6:7], v[58:59], v[46:47]
	v_fma_f64 v[22:23], -v[28:29], v[46:47], v[22:23]
	v_fmac_f64_e32 v[4:5], v[60:61], v[46:47]
	v_fma_f64 v[8:9], -v[32:33], v[46:47], v[8:9]
	v_fmac_f64_e32 v[2:3], v[62:63], v[46:47]
	s_waitcnt vmcnt(1)
	v_fmac_f64_e32 v[24:25], v[64:65], v[48:49]
	v_fmac_f64_e32 v[6:7], v[34:35], v[48:49]
	v_fmac_f64_e32 v[22:23], v[66:67], v[48:49]
	v_fmac_f64_e32 v[4:5], v[36:37], v[48:49]
	v_fmac_f64_e32 v[8:9], v[68:69], v[48:49]
	v_fmac_f64_e32 v[2:3], v[38:39], v[48:49]
	v_fma_f64 v[24:25], -v[34:35], v[50:51], v[24:25]
	v_fmac_f64_e32 v[6:7], v[64:65], v[50:51]
	v_fma_f64 v[22:23], -v[36:37], v[50:51], v[22:23]
	v_fmac_f64_e32 v[4:5], v[66:67], v[50:51]
	v_fma_f64 v[8:9], -v[38:39], v[50:51], v[8:9]
	v_fmac_f64_e32 v[2:3], v[68:69], v[50:51]
	;; [unrolled: 13-line block ×3, first 2 shown]
	s_andn2_b64 exec, exec, s[0:1]
	s_cbranch_execnz .LBB167_24
; %bb.25:
	s_or_b64 exec, exec, s[0:1]
.LBB167_26:
	s_or_b64 exec, exec, s[6:7]
.LBB167_27:
	v_mov_b32_dpp v10, v24 row_shr:1 row_mask:0xf bank_mask:0xf
	v_mov_b32_dpp v11, v25 row_shr:1 row_mask:0xf bank_mask:0xf
	v_add_f64 v[10:11], v[24:25], v[10:11]
	v_mov_b32_dpp v24, v6 row_shr:1 row_mask:0xf bank_mask:0xf
	v_mov_b32_dpp v25, v7 row_shr:1 row_mask:0xf bank_mask:0xf
	;; [unrolled: 1-line block ×10, first 2 shown]
	v_add_f64 v[6:7], v[6:7], v[24:25]
	v_add_f64 v[22:23], v[22:23], v[26:27]
	;; [unrolled: 1-line block ×5, first 2 shown]
	v_mov_b32_dpp v20, v10 row_shr:2 row_mask:0xf bank_mask:0xf
	v_mov_b32_dpp v21, v11 row_shr:2 row_mask:0xf bank_mask:0xf
	;; [unrolled: 1-line block ×12, first 2 shown]
	v_add_f64 v[10:11], v[10:11], v[20:21]
	v_add_f64 v[6:7], v[6:7], v[24:25]
	;; [unrolled: 1-line block ×6, first 2 shown]
	v_mov_b32_dpp v20, v10 row_shr:4 row_mask:0xf bank_mask:0xe
	v_mov_b32_dpp v21, v11 row_shr:4 row_mask:0xf bank_mask:0xe
	;; [unrolled: 1-line block ×12, first 2 shown]
	v_add_f64 v[10:11], v[10:11], v[20:21]
	v_add_f64 v[6:7], v[6:7], v[24:25]
	;; [unrolled: 1-line block ×6, first 2 shown]
	v_mov_b32_dpp v20, v10 row_shr:8 row_mask:0xf bank_mask:0xc
	v_mov_b32_dpp v21, v11 row_shr:8 row_mask:0xf bank_mask:0xc
	;; [unrolled: 1-line block ×12, first 2 shown]
	v_cmp_eq_u32_e32 vcc, 15, v1
	s_and_b64 exec, exec, vcc
	s_cbranch_execz .LBB167_12
; %bb.28:
	s_load_dwordx2 s[2:3], s[2:3], 0x60
	v_add_f64 v[6:7], v[6:7], v[24:25]
	v_add_f64 v[24:25], v[4:5], v[28:29]
	;; [unrolled: 1-line block ×6, first 2 shown]
	v_cmp_eq_f64_e32 vcc, 0, v[12:13]
	v_cmp_eq_f64_e64 s[0:1], 0, v[14:15]
	v_mul_f64 v[8:9], v[6:7], -v[18:19]
	v_mul_f64 v[10:11], v[16:17], v[6:7]
	v_lshl_add_u32 v20, v0, 1, v0
	v_mul_f64 v[4:5], v[24:25], -v[18:19]
	v_mul_f64 v[6:7], v[16:17], v[24:25]
	v_mul_f64 v[0:1], v[2:3], -v[18:19]
	v_mul_f64 v[2:3], v[16:17], v[2:3]
	s_and_b64 s[0:1], vcc, s[0:1]
	v_fmac_f64_e32 v[8:9], v[16:17], v[34:35]
	v_fmac_f64_e32 v[10:11], v[18:19], v[34:35]
	v_ashrrev_i32_e32 v21, 31, v20
	v_fmac_f64_e32 v[4:5], v[16:17], v[22:23]
	v_fmac_f64_e32 v[6:7], v[18:19], v[22:23]
	v_fmac_f64_e32 v[0:1], v[16:17], v[26:27]
	v_fmac_f64_e32 v[2:3], v[18:19], v[26:27]
	s_waitcnt lgkmcnt(0)
	s_and_saveexec_b64 s[4:5], s[0:1]
	s_xor_b64 s[0:1], exec, s[4:5]
	s_cbranch_execz .LBB167_30
; %bb.29:
	v_lshl_add_u64 v[12:13], v[20:21], 4, s[2:3]
	global_store_dwordx4 v[12:13], v[8:11], off
	global_store_dwordx4 v[12:13], v[4:7], off offset:16
	global_store_dwordx4 v[12:13], v[0:3], off offset:32
                                        ; implicit-def: $vgpr12_vgpr13
                                        ; implicit-def: $vgpr14_vgpr15
                                        ; implicit-def: $vgpr20
                                        ; implicit-def: $vgpr8_vgpr9
                                        ; implicit-def: $vgpr4_vgpr5
                                        ; implicit-def: $vgpr0_vgpr1
.LBB167_30:
	s_andn2_saveexec_b64 s[0:1], s[0:1]
	s_cbranch_execz .LBB167_12
; %bb.31:
	v_lshl_add_u64 v[28:29], v[20:21], 4, s[2:3]
	global_load_dwordx4 v[16:19], v[28:29], off
	global_load_dwordx4 v[20:23], v[28:29], off offset:16
	global_load_dwordx4 v[24:27], v[28:29], off offset:32
	s_waitcnt vmcnt(2)
	v_fmac_f64_e32 v[8:9], v[12:13], v[16:17]
	v_fmac_f64_e32 v[10:11], v[14:15], v[16:17]
	s_waitcnt vmcnt(1)
	v_fmac_f64_e32 v[4:5], v[12:13], v[20:21]
	v_fmac_f64_e32 v[6:7], v[14:15], v[20:21]
	;; [unrolled: 3-line block ×3, first 2 shown]
	v_fma_f64 v[8:9], -v[14:15], v[18:19], v[8:9]
	v_fmac_f64_e32 v[10:11], v[12:13], v[18:19]
	v_fma_f64 v[4:5], -v[14:15], v[22:23], v[4:5]
	v_fmac_f64_e32 v[6:7], v[12:13], v[22:23]
	;; [unrolled: 2-line block ×3, first 2 shown]
	global_store_dwordx4 v[28:29], v[8:11], off
	global_store_dwordx4 v[28:29], v[4:7], off offset:16
	global_store_dwordx4 v[28:29], v[0:3], off offset:32
	s_endpgm
	.section	.rodata,"a",@progbits
	.p2align	6, 0x0
	.amdhsa_kernel _ZN9rocsparseL18bsrxmvn_3x3_kernelILj256ELj16E21rocsparse_complex_numIdEiiS1_IfES2_S2_EEvT3_20rocsparse_direction_NS_24const_host_device_scalarIT1_EES4_PKS4_PKT2_SD_SA_PKT4_PKT5_S8_PT6_21rocsparse_index_base_b
		.amdhsa_group_segment_fixed_size 4096
		.amdhsa_private_segment_fixed_size 0
		.amdhsa_kernarg_size 112
		.amdhsa_user_sgpr_count 4
		.amdhsa_user_sgpr_dispatch_ptr 1
		.amdhsa_user_sgpr_queue_ptr 0
		.amdhsa_user_sgpr_kernarg_segment_ptr 1
		.amdhsa_user_sgpr_dispatch_id 0
		.amdhsa_user_sgpr_kernarg_preload_length 0
		.amdhsa_user_sgpr_kernarg_preload_offset 0
		.amdhsa_user_sgpr_private_segment_size 0
		.amdhsa_uses_dynamic_stack 0
		.amdhsa_enable_private_segment 0
		.amdhsa_system_sgpr_workgroup_id_x 1
		.amdhsa_system_sgpr_workgroup_id_y 0
		.amdhsa_system_sgpr_workgroup_id_z 0
		.amdhsa_system_sgpr_workgroup_info 0
		.amdhsa_system_vgpr_workitem_id 2
		.amdhsa_next_free_vgpr 80
		.amdhsa_next_free_sgpr 20
		.amdhsa_accum_offset 80
		.amdhsa_reserve_vcc 1
		.amdhsa_float_round_mode_32 0
		.amdhsa_float_round_mode_16_64 0
		.amdhsa_float_denorm_mode_32 3
		.amdhsa_float_denorm_mode_16_64 3
		.amdhsa_dx10_clamp 1
		.amdhsa_ieee_mode 1
		.amdhsa_fp16_overflow 0
		.amdhsa_tg_split 0
		.amdhsa_exception_fp_ieee_invalid_op 0
		.amdhsa_exception_fp_denorm_src 0
		.amdhsa_exception_fp_ieee_div_zero 0
		.amdhsa_exception_fp_ieee_overflow 0
		.amdhsa_exception_fp_ieee_underflow 0
		.amdhsa_exception_fp_ieee_inexact 0
		.amdhsa_exception_int_div_zero 0
	.end_amdhsa_kernel
	.section	.text._ZN9rocsparseL18bsrxmvn_3x3_kernelILj256ELj16E21rocsparse_complex_numIdEiiS1_IfES2_S2_EEvT3_20rocsparse_direction_NS_24const_host_device_scalarIT1_EES4_PKS4_PKT2_SD_SA_PKT4_PKT5_S8_PT6_21rocsparse_index_base_b,"axG",@progbits,_ZN9rocsparseL18bsrxmvn_3x3_kernelILj256ELj16E21rocsparse_complex_numIdEiiS1_IfES2_S2_EEvT3_20rocsparse_direction_NS_24const_host_device_scalarIT1_EES4_PKS4_PKT2_SD_SA_PKT4_PKT5_S8_PT6_21rocsparse_index_base_b,comdat
.Lfunc_end167:
	.size	_ZN9rocsparseL18bsrxmvn_3x3_kernelILj256ELj16E21rocsparse_complex_numIdEiiS1_IfES2_S2_EEvT3_20rocsparse_direction_NS_24const_host_device_scalarIT1_EES4_PKS4_PKT2_SD_SA_PKT4_PKT5_S8_PT6_21rocsparse_index_base_b, .Lfunc_end167-_ZN9rocsparseL18bsrxmvn_3x3_kernelILj256ELj16E21rocsparse_complex_numIdEiiS1_IfES2_S2_EEvT3_20rocsparse_direction_NS_24const_host_device_scalarIT1_EES4_PKS4_PKT2_SD_SA_PKT4_PKT5_S8_PT6_21rocsparse_index_base_b
                                        ; -- End function
	.section	.AMDGPU.csdata,"",@progbits
; Kernel info:
; codeLenInByte = 2512
; NumSgprs: 26
; NumVgprs: 80
; NumAgprs: 0
; TotalNumVgprs: 80
; ScratchSize: 0
; MemoryBound: 0
; FloatMode: 240
; IeeeMode: 1
; LDSByteSize: 4096 bytes/workgroup (compile time only)
; SGPRBlocks: 3
; VGPRBlocks: 9
; NumSGPRsForWavesPerEU: 26
; NumVGPRsForWavesPerEU: 80
; AccumOffset: 80
; Occupancy: 6
; WaveLimiterHint : 1
; COMPUTE_PGM_RSRC2:SCRATCH_EN: 0
; COMPUTE_PGM_RSRC2:USER_SGPR: 4
; COMPUTE_PGM_RSRC2:TRAP_HANDLER: 0
; COMPUTE_PGM_RSRC2:TGID_X_EN: 1
; COMPUTE_PGM_RSRC2:TGID_Y_EN: 0
; COMPUTE_PGM_RSRC2:TGID_Z_EN: 0
; COMPUTE_PGM_RSRC2:TIDIG_COMP_CNT: 2
; COMPUTE_PGM_RSRC3_GFX90A:ACCUM_OFFSET: 19
; COMPUTE_PGM_RSRC3_GFX90A:TG_SPLIT: 0
	.section	.text._ZN9rocsparseL18bsrxmvn_3x3_kernelILj256ELj32E21rocsparse_complex_numIdEiiS1_IfES2_S2_EEvT3_20rocsparse_direction_NS_24const_host_device_scalarIT1_EES4_PKS4_PKT2_SD_SA_PKT4_PKT5_S8_PT6_21rocsparse_index_base_b,"axG",@progbits,_ZN9rocsparseL18bsrxmvn_3x3_kernelILj256ELj32E21rocsparse_complex_numIdEiiS1_IfES2_S2_EEvT3_20rocsparse_direction_NS_24const_host_device_scalarIT1_EES4_PKS4_PKT2_SD_SA_PKT4_PKT5_S8_PT6_21rocsparse_index_base_b,comdat
	.globl	_ZN9rocsparseL18bsrxmvn_3x3_kernelILj256ELj32E21rocsparse_complex_numIdEiiS1_IfES2_S2_EEvT3_20rocsparse_direction_NS_24const_host_device_scalarIT1_EES4_PKS4_PKT2_SD_SA_PKT4_PKT5_S8_PT6_21rocsparse_index_base_b ; -- Begin function _ZN9rocsparseL18bsrxmvn_3x3_kernelILj256ELj32E21rocsparse_complex_numIdEiiS1_IfES2_S2_EEvT3_20rocsparse_direction_NS_24const_host_device_scalarIT1_EES4_PKS4_PKT2_SD_SA_PKT4_PKT5_S8_PT6_21rocsparse_index_base_b
	.p2align	8
	.type	_ZN9rocsparseL18bsrxmvn_3x3_kernelILj256ELj32E21rocsparse_complex_numIdEiiS1_IfES2_S2_EEvT3_20rocsparse_direction_NS_24const_host_device_scalarIT1_EES4_PKS4_PKT2_SD_SA_PKT4_PKT5_S8_PT6_21rocsparse_index_base_b,@function
_ZN9rocsparseL18bsrxmvn_3x3_kernelILj256ELj32E21rocsparse_complex_numIdEiiS1_IfES2_S2_EEvT3_20rocsparse_direction_NS_24const_host_device_scalarIT1_EES4_PKS4_PKT2_SD_SA_PKT4_PKT5_S8_PT6_21rocsparse_index_base_b: ; @_ZN9rocsparseL18bsrxmvn_3x3_kernelILj256ELj32E21rocsparse_complex_numIdEiiS1_IfES2_S2_EEvT3_20rocsparse_direction_NS_24const_host_device_scalarIT1_EES4_PKS4_PKT2_SD_SA_PKT4_PKT5_S8_PT6_21rocsparse_index_base_b
; %bb.0:
	s_load_dwordx2 s[16:17], s[2:3], 0x68
	s_load_dwordx4 s[8:11], s[2:3], 0x8
	s_load_dwordx2 s[18:19], s[0:1], 0x4
	s_load_dwordx4 s[12:15], s[2:3], 0x50
	s_mov_b64 s[6:7], src_shared_base
	v_and_b32_e32 v2, 0x3ff, v0
	s_waitcnt lgkmcnt(0)
	s_bitcmp1_b32 s17, 0
	s_cselect_b64 s[0:1], -1, 0
	s_and_b64 vcc, s[0:1], exec
	s_cselect_b32 s5, s7, s9
	s_lshr_b32 s6, s18, 16
	s_mul_i32 s6, s6, s19
	v_mul_lo_u32 v3, s6, v2
	v_bfe_u32 v4, v0, 10, 10
	v_mad_u32_u24 v3, v4, s19, v3
	v_bfe_u32 v0, v0, 20, 10
	v_add_lshl_u32 v0, v3, v0, 3
	v_mov_b32_e32 v1, s8
	v_add_u32_e32 v3, 0x800, v0
	v_mov_b64_e32 v[4:5], s[8:9]
	v_mov_b64_e32 v[6:7], s[12:13]
	ds_write2st64_b64 v0, v[6:7], v[4:5] offset1:4
	v_cndmask_b32_e64 v4, v1, v3, s[0:1]
	v_mov_b32_e32 v5, s5
	flat_load_dwordx2 v[16:17], v[4:5]
	s_xor_b64 s[18:19], s[0:1], -1
	v_mov_b64_e32 v[18:19], s[10:11]
	s_cbranch_vccnz .LBB168_2
; %bb.1:
	v_mov_b64_e32 v[4:5], s[8:9]
	flat_load_dwordx2 v[18:19], v[4:5] offset:8
.LBB168_2:
	s_and_b64 s[8:9], s[0:1], exec
	s_cselect_b32 s5, s7, s13
	v_mov_b32_e32 v1, s12
	v_cndmask_b32_e64 v0, v1, v0, s[0:1]
	v_mov_b32_e32 v1, s5
	flat_load_dwordx2 v[12:13], v[0:1]
	s_andn2_b64 vcc, exec, s[18:19]
	v_mov_b64_e32 v[14:15], s[14:15]
	s_cbranch_vccnz .LBB168_4
; %bb.3:
	v_mov_b64_e32 v[0:1], s[12:13]
	flat_load_dwordx2 v[14:15], v[0:1] offset:8
.LBB168_4:
	s_waitcnt vmcnt(0) lgkmcnt(0)
	v_cmp_eq_f64_e32 vcc, 0, v[16:17]
	v_cmp_eq_f64_e64 s[0:1], 0, v[18:19]
	s_and_b64 s[8:9], vcc, s[0:1]
	s_mov_b64 s[0:1], -1
	s_and_saveexec_b64 s[6:7], s[8:9]
; %bb.5:
	v_cmp_neq_f64_e32 vcc, 1.0, v[12:13]
	v_cmp_neq_f64_e64 s[0:1], 0, v[14:15]
	s_or_b64 s[0:1], vcc, s[0:1]
	s_orn2_b64 s[0:1], s[0:1], exec
; %bb.6:
	s_or_b64 exec, exec, s[6:7]
	s_and_saveexec_b64 s[6:7], s[0:1]
	s_cbranch_execz .LBB168_12
; %bb.7:
	s_load_dwordx2 s[6:7], s[2:3], 0x20
	s_load_dwordx2 s[0:1], s[2:3], 0x0
	v_lshrrev_b32_e32 v0, 5, v2
	v_lshl_or_b32 v0, s4, 3, v0
	s_mov_b64 s[4:5], 0
	s_waitcnt lgkmcnt(0)
	s_cmp_lg_u64 s[6:7], 0
	s_cbranch_scc0 .LBB168_13
; %bb.8:
	s_load_dword s8, s[2:3], 0x18
                                        ; implicit-def: $vgpr1
	s_waitcnt lgkmcnt(0)
	v_cmp_gt_i32_e32 vcc, s8, v0
	s_and_saveexec_b64 s[8:9], vcc
	s_xor_b64 s[8:9], exec, s[8:9]
	s_cbranch_execz .LBB168_10
; %bb.9:
	v_ashrrev_i32_e32 v1, 31, v0
	v_lshl_add_u64 v[4:5], v[0:1], 2, s[6:7]
	global_load_dword v1, v[4:5], off
	s_mov_b64 s[4:5], exec
	s_waitcnt vmcnt(0)
	v_subrev_u32_e32 v1, s16, v1
.LBB168_10:
	s_or_b64 exec, exec, s[8:9]
	s_branch .LBB168_14
.LBB168_11:
	v_cmp_gt_i32_e32 vcc, s0, v0
	s_andn2_b64 s[4:5], s[4:5], exec
	s_and_b64 s[6:7], vcc, exec
	s_or_b64 s[4:5], s[4:5], s[6:7]
	s_and_b64 exec, exec, s[4:5]
	s_cbranch_execnz .LBB168_15
.LBB168_12:
	s_endpgm
.LBB168_13:
                                        ; implicit-def: $vgpr1
	s_cbranch_execnz .LBB168_11
.LBB168_14:
	v_mov_b32_e32 v0, v1
	s_and_b64 exec, exec, s[4:5]
	s_cbranch_execz .LBB168_12
.LBB168_15:
	s_load_dwordx8 s[4:11], s[2:3], 0x28
	v_ashrrev_i32_e32 v1, 31, v0
	v_lshlrev_b64 v[4:5], 2, v[0:1]
	v_and_b32_e32 v1, 31, v2
	s_movk_i32 s0, 0x48
	s_waitcnt lgkmcnt(0)
	v_lshl_add_u64 v[6:7], s[4:5], 0, v[4:5]
	s_cmp_eq_u64 s[6:7], 0
	global_load_dword v8, v[6:7], off
	v_lshl_add_u64 v[6:7], v[6:7], 0, 4
	v_lshl_add_u64 v[4:5], s[6:7], 0, v[4:5]
	s_cselect_b64 vcc, -1, 0
	v_cndmask_b32_e32 v5, v5, v7, vcc
	v_cndmask_b32_e32 v4, v4, v6, vcc
	global_load_dword v4, v[4:5], off
	s_load_dwordx2 s[4:5], s[2:3], 0x48
	v_mov_b64_e32 v[2:3], s[10:11]
	s_cmp_eq_u32 s1, 1
	s_waitcnt vmcnt(1)
	v_subrev_u32_e32 v5, s16, v8
	v_add_u32_e32 v10, v5, v1
	v_mad_i64_i32 v[20:21], s[6:7], v10, s0, v[2:3]
	s_waitcnt vmcnt(0)
	v_subrev_u32_e32 v30, s16, v4
	v_cmp_lt_i32_e64 s[0:1], v10, v30
	s_cbranch_scc1 .LBB168_21
; %bb.16:
	v_mov_b64_e32 v[6:7], 0
	s_mov_b64 s[6:7], 0
	v_mov_b64_e32 v[24:25], v[6:7]
	v_mov_b64_e32 v[4:5], v[6:7]
	;; [unrolled: 1-line block ×5, first 2 shown]
	s_and_saveexec_b64 s[10:11], s[0:1]
	s_cbranch_execz .LBB168_20
; %bb.17:
	v_mov_b64_e32 v[6:7], 0
	s_mov_b64 s[12:13], 0
	s_mov_b64 s[14:15], 0x900
	v_mov_b32_e32 v26, v10
	v_mov_b64_e32 v[28:29], v[20:21]
	v_mov_b64_e32 v[24:25], v[6:7]
	;; [unrolled: 1-line block ×6, first 2 shown]
.LBB168_18:                             ; =>This Inner Loop Header: Depth=1
	v_ashrrev_i32_e32 v27, 31, v26
	v_lshl_add_u64 v[48:49], v[26:27], 2, s[8:9]
	global_load_dword v11, v[48:49], off
	global_load_dwordx4 v[32:35], v[28:29], off
	global_load_dwordx4 v[36:39], v[28:29], off offset:16
	global_load_dwordx4 v[40:43], v[28:29], off offset:32
	;; [unrolled: 1-line block ×3, first 2 shown]
	global_load_dwordx2 v[60:61], v[28:29], off offset:64
	v_add_u32_e32 v26, 32, v26
	v_cmp_ge_i32_e32 vcc, v26, v30
	v_lshl_add_u64 v[28:29], v[28:29], 0, s[14:15]
	s_or_b64 s[12:13], vcc, s[12:13]
	s_waitcnt vmcnt(5)
	v_subrev_u32_e32 v11, s16, v11
	v_lshl_add_u32 v48, v11, 1, v11
	v_ashrrev_i32_e32 v49, 31, v48
	s_waitcnt lgkmcnt(0)
	v_lshl_add_u64 v[62:63], v[48:49], 4, s[4:5]
	global_load_dwordx4 v[48:51], v[62:63], off
	global_load_dwordx4 v[52:55], v[62:63], off offset:16
	global_load_dwordx4 v[56:59], v[62:63], off offset:32
	s_waitcnt vmcnt(7)
	v_cvt_f64_f32_e32 v[62:63], v32
	v_cvt_f64_f32_e32 v[32:33], v33
	s_waitcnt vmcnt(6)
	v_cvt_f64_f32_e32 v[68:69], v38
	v_cvt_f64_f32_e32 v[38:39], v39
	;; [unrolled: 3-line block ×3, first 2 shown]
	v_cvt_f64_f32_e32 v[64:65], v34
	v_cvt_f64_f32_e32 v[34:35], v35
	;; [unrolled: 1-line block ×10, first 2 shown]
	s_waitcnt vmcnt(3)
	v_cvt_f64_f32_e32 v[78:79], v60
	v_cvt_f64_f32_e32 v[60:61], v61
	s_waitcnt vmcnt(2)
	v_fmac_f64_e32 v[24:25], v[62:63], v[48:49]
	v_fmac_f64_e32 v[6:7], v[32:33], v[48:49]
	v_fmac_f64_e32 v[22:23], v[68:69], v[48:49]
	v_fmac_f64_e32 v[4:5], v[38:39], v[48:49]
	v_fmac_f64_e32 v[8:9], v[74:75], v[48:49]
	v_fmac_f64_e32 v[2:3], v[44:45], v[48:49]
	v_fma_f64 v[24:25], -v[32:33], v[50:51], v[24:25]
	v_fmac_f64_e32 v[6:7], v[62:63], v[50:51]
	v_fma_f64 v[22:23], -v[38:39], v[50:51], v[22:23]
	v_fmac_f64_e32 v[4:5], v[68:69], v[50:51]
	v_fma_f64 v[8:9], -v[44:45], v[50:51], v[8:9]
	v_fmac_f64_e32 v[2:3], v[74:75], v[50:51]
	s_waitcnt vmcnt(1)
	v_fmac_f64_e32 v[24:25], v[64:65], v[52:53]
	v_fmac_f64_e32 v[6:7], v[34:35], v[52:53]
	v_fmac_f64_e32 v[22:23], v[70:71], v[52:53]
	v_fmac_f64_e32 v[4:5], v[40:41], v[52:53]
	v_fmac_f64_e32 v[8:9], v[76:77], v[52:53]
	v_fmac_f64_e32 v[2:3], v[46:47], v[52:53]
	v_fma_f64 v[24:25], -v[34:35], v[54:55], v[24:25]
	v_fmac_f64_e32 v[6:7], v[64:65], v[54:55]
	v_fma_f64 v[22:23], -v[40:41], v[54:55], v[22:23]
	v_fmac_f64_e32 v[4:5], v[70:71], v[54:55]
	v_fma_f64 v[8:9], -v[46:47], v[54:55], v[8:9]
	v_fmac_f64_e32 v[2:3], v[76:77], v[54:55]
	;; [unrolled: 13-line block ×3, first 2 shown]
	s_andn2_b64 exec, exec, s[12:13]
	s_cbranch_execnz .LBB168_18
; %bb.19:
	s_or_b64 exec, exec, s[12:13]
.LBB168_20:
	s_or_b64 exec, exec, s[10:11]
	s_andn2_b64 vcc, exec, s[6:7]
	s_cbranch_vccz .LBB168_22
	s_branch .LBB168_27
.LBB168_21:
                                        ; implicit-def: $vgpr6_vgpr7
                                        ; implicit-def: $vgpr24_vgpr25
                                        ; implicit-def: $vgpr4_vgpr5
                                        ; implicit-def: $vgpr22_vgpr23
                                        ; implicit-def: $vgpr2_vgpr3
                                        ; implicit-def: $vgpr8_vgpr9
.LBB168_22:
	v_mov_b64_e32 v[6:7], 0
	v_mov_b64_e32 v[24:25], v[6:7]
	;; [unrolled: 1-line block ×6, first 2 shown]
	s_and_saveexec_b64 s[6:7], s[0:1]
	s_cbranch_execz .LBB168_26
; %bb.23:
	v_mov_b64_e32 v[6:7], 0
	s_mov_b64 s[0:1], 0
	s_mov_b64 s[10:11], 0x900
	v_mov_b64_e32 v[24:25], v[6:7]
	v_mov_b64_e32 v[4:5], v[6:7]
	;; [unrolled: 1-line block ×5, first 2 shown]
.LBB168_24:                             ; =>This Inner Loop Header: Depth=1
	v_ashrrev_i32_e32 v11, 31, v10
	v_lshl_add_u64 v[44:45], v[10:11], 2, s[8:9]
	global_load_dword v11, v[44:45], off
	global_load_dwordx4 v[26:29], v[20:21], off
	global_load_dwordx4 v[32:35], v[20:21], off offset:16
	global_load_dwordx4 v[36:39], v[20:21], off offset:32
	;; [unrolled: 1-line block ×3, first 2 shown]
	global_load_dwordx2 v[56:57], v[20:21], off offset:64
	v_add_u32_e32 v10, 32, v10
	v_cmp_ge_i32_e32 vcc, v10, v30
	v_lshl_add_u64 v[20:21], v[20:21], 0, s[10:11]
	s_or_b64 s[0:1], vcc, s[0:1]
	s_waitcnt vmcnt(5)
	v_subrev_u32_e32 v11, s16, v11
	v_lshl_add_u32 v44, v11, 1, v11
	v_ashrrev_i32_e32 v45, 31, v44
	s_waitcnt lgkmcnt(0)
	v_lshl_add_u64 v[58:59], v[44:45], 4, s[4:5]
	global_load_dwordx4 v[44:47], v[58:59], off
	global_load_dwordx4 v[48:51], v[58:59], off offset:16
	global_load_dwordx4 v[52:55], v[58:59], off offset:32
	s_waitcnt vmcnt(7)
	v_cvt_f64_f32_e32 v[58:59], v26
	v_cvt_f64_f32_e32 v[26:27], v27
	v_cvt_f64_f32_e32 v[60:61], v28
	v_cvt_f64_f32_e32 v[28:29], v29
	s_waitcnt vmcnt(6)
	v_cvt_f64_f32_e32 v[62:63], v32
	v_cvt_f64_f32_e32 v[32:33], v33
	v_cvt_f64_f32_e32 v[64:65], v34
	v_cvt_f64_f32_e32 v[34:35], v35
	;; [unrolled: 5-line block ×4, first 2 shown]
	s_waitcnt vmcnt(3)
	v_cvt_f64_f32_e32 v[74:75], v56
	v_cvt_f64_f32_e32 v[56:57], v57
	s_waitcnt vmcnt(2)
	v_fmac_f64_e32 v[24:25], v[58:59], v[44:45]
	v_fmac_f64_e32 v[6:7], v[26:27], v[44:45]
	v_fmac_f64_e32 v[22:23], v[60:61], v[44:45]
	v_fmac_f64_e32 v[4:5], v[28:29], v[44:45]
	v_fmac_f64_e32 v[8:9], v[62:63], v[44:45]
	v_fmac_f64_e32 v[2:3], v[32:33], v[44:45]
	v_fma_f64 v[24:25], -v[26:27], v[46:47], v[24:25]
	v_fmac_f64_e32 v[6:7], v[58:59], v[46:47]
	v_fma_f64 v[22:23], -v[28:29], v[46:47], v[22:23]
	v_fmac_f64_e32 v[4:5], v[60:61], v[46:47]
	v_fma_f64 v[8:9], -v[32:33], v[46:47], v[8:9]
	v_fmac_f64_e32 v[2:3], v[62:63], v[46:47]
	s_waitcnt vmcnt(1)
	v_fmac_f64_e32 v[24:25], v[64:65], v[48:49]
	v_fmac_f64_e32 v[6:7], v[34:35], v[48:49]
	v_fmac_f64_e32 v[22:23], v[66:67], v[48:49]
	v_fmac_f64_e32 v[4:5], v[36:37], v[48:49]
	v_fmac_f64_e32 v[8:9], v[68:69], v[48:49]
	v_fmac_f64_e32 v[2:3], v[38:39], v[48:49]
	v_fma_f64 v[24:25], -v[34:35], v[50:51], v[24:25]
	v_fmac_f64_e32 v[6:7], v[64:65], v[50:51]
	v_fma_f64 v[22:23], -v[36:37], v[50:51], v[22:23]
	v_fmac_f64_e32 v[4:5], v[66:67], v[50:51]
	v_fma_f64 v[8:9], -v[38:39], v[50:51], v[8:9]
	v_fmac_f64_e32 v[2:3], v[68:69], v[50:51]
	;; [unrolled: 13-line block ×3, first 2 shown]
	s_andn2_b64 exec, exec, s[0:1]
	s_cbranch_execnz .LBB168_24
; %bb.25:
	s_or_b64 exec, exec, s[0:1]
.LBB168_26:
	s_or_b64 exec, exec, s[6:7]
.LBB168_27:
	v_mov_b32_dpp v10, v24 row_shr:1 row_mask:0xf bank_mask:0xf
	v_mov_b32_dpp v11, v25 row_shr:1 row_mask:0xf bank_mask:0xf
	v_add_f64 v[10:11], v[24:25], v[10:11]
	v_mov_b32_dpp v24, v6 row_shr:1 row_mask:0xf bank_mask:0xf
	v_mov_b32_dpp v25, v7 row_shr:1 row_mask:0xf bank_mask:0xf
	;; [unrolled: 1-line block ×10, first 2 shown]
	v_add_f64 v[6:7], v[6:7], v[24:25]
	v_add_f64 v[22:23], v[22:23], v[26:27]
	v_add_f64 v[4:5], v[4:5], v[28:29]
	v_add_f64 v[8:9], v[8:9], v[30:31]
	v_add_f64 v[2:3], v[2:3], v[32:33]
	v_mov_b32_dpp v20, v10 row_shr:2 row_mask:0xf bank_mask:0xf
	v_mov_b32_dpp v21, v11 row_shr:2 row_mask:0xf bank_mask:0xf
	v_mov_b32_dpp v24, v6 row_shr:2 row_mask:0xf bank_mask:0xf
	v_mov_b32_dpp v25, v7 row_shr:2 row_mask:0xf bank_mask:0xf
	v_mov_b32_dpp v26, v22 row_shr:2 row_mask:0xf bank_mask:0xf
	v_mov_b32_dpp v27, v23 row_shr:2 row_mask:0xf bank_mask:0xf
	v_mov_b32_dpp v28, v4 row_shr:2 row_mask:0xf bank_mask:0xf
	v_mov_b32_dpp v29, v5 row_shr:2 row_mask:0xf bank_mask:0xf
	v_mov_b32_dpp v30, v8 row_shr:2 row_mask:0xf bank_mask:0xf
	v_mov_b32_dpp v31, v9 row_shr:2 row_mask:0xf bank_mask:0xf
	v_mov_b32_dpp v32, v2 row_shr:2 row_mask:0xf bank_mask:0xf
	v_mov_b32_dpp v33, v3 row_shr:2 row_mask:0xf bank_mask:0xf
	v_add_f64 v[10:11], v[10:11], v[20:21]
	v_add_f64 v[6:7], v[6:7], v[24:25]
	v_add_f64 v[22:23], v[22:23], v[26:27]
	v_add_f64 v[4:5], v[4:5], v[28:29]
	v_add_f64 v[8:9], v[8:9], v[30:31]
	v_add_f64 v[2:3], v[2:3], v[32:33]
	v_mov_b32_dpp v20, v10 row_shr:4 row_mask:0xf bank_mask:0xe
	v_mov_b32_dpp v21, v11 row_shr:4 row_mask:0xf bank_mask:0xe
	v_mov_b32_dpp v24, v6 row_shr:4 row_mask:0xf bank_mask:0xe
	v_mov_b32_dpp v25, v7 row_shr:4 row_mask:0xf bank_mask:0xe
	v_mov_b32_dpp v26, v22 row_shr:4 row_mask:0xf bank_mask:0xe
	v_mov_b32_dpp v27, v23 row_shr:4 row_mask:0xf bank_mask:0xe
	v_mov_b32_dpp v28, v4 row_shr:4 row_mask:0xf bank_mask:0xe
	v_mov_b32_dpp v29, v5 row_shr:4 row_mask:0xf bank_mask:0xe
	v_mov_b32_dpp v30, v8 row_shr:4 row_mask:0xf bank_mask:0xe
	v_mov_b32_dpp v31, v9 row_shr:4 row_mask:0xf bank_mask:0xe
	v_mov_b32_dpp v32, v2 row_shr:4 row_mask:0xf bank_mask:0xe
	v_mov_b32_dpp v33, v3 row_shr:4 row_mask:0xf bank_mask:0xe
	v_add_f64 v[10:11], v[10:11], v[20:21]
	;; [unrolled: 18-line block ×3, first 2 shown]
	v_add_f64 v[6:7], v[6:7], v[24:25]
	v_add_f64 v[22:23], v[22:23], v[26:27]
	;; [unrolled: 1-line block ×5, first 2 shown]
	v_mov_b32_dpp v20, v10 row_bcast:15 row_mask:0xa bank_mask:0xf
	v_mov_b32_dpp v21, v11 row_bcast:15 row_mask:0xa bank_mask:0xf
	v_mov_b32_dpp v24, v6 row_bcast:15 row_mask:0xa bank_mask:0xf
	v_mov_b32_dpp v25, v7 row_bcast:15 row_mask:0xa bank_mask:0xf
	v_mov_b32_dpp v26, v22 row_bcast:15 row_mask:0xa bank_mask:0xf
	v_mov_b32_dpp v27, v23 row_bcast:15 row_mask:0xa bank_mask:0xf
	v_mov_b32_dpp v28, v4 row_bcast:15 row_mask:0xa bank_mask:0xf
	v_mov_b32_dpp v29, v5 row_bcast:15 row_mask:0xa bank_mask:0xf
	v_mov_b32_dpp v30, v8 row_bcast:15 row_mask:0xa bank_mask:0xf
	v_mov_b32_dpp v31, v9 row_bcast:15 row_mask:0xa bank_mask:0xf
	v_mov_b32_dpp v32, v2 row_bcast:15 row_mask:0xa bank_mask:0xf
	v_mov_b32_dpp v33, v3 row_bcast:15 row_mask:0xa bank_mask:0xf
	v_cmp_eq_u32_e32 vcc, 31, v1
	s_and_b64 exec, exec, vcc
	s_cbranch_execz .LBB168_12
; %bb.28:
	s_load_dwordx2 s[2:3], s[2:3], 0x60
	v_add_f64 v[6:7], v[6:7], v[24:25]
	v_add_f64 v[24:25], v[4:5], v[28:29]
	;; [unrolled: 1-line block ×6, first 2 shown]
	v_cmp_eq_f64_e32 vcc, 0, v[12:13]
	v_cmp_eq_f64_e64 s[0:1], 0, v[14:15]
	v_mul_f64 v[8:9], v[6:7], -v[18:19]
	v_mul_f64 v[10:11], v[16:17], v[6:7]
	v_lshl_add_u32 v20, v0, 1, v0
	v_mul_f64 v[4:5], v[24:25], -v[18:19]
	v_mul_f64 v[6:7], v[16:17], v[24:25]
	v_mul_f64 v[0:1], v[2:3], -v[18:19]
	v_mul_f64 v[2:3], v[16:17], v[2:3]
	s_and_b64 s[0:1], vcc, s[0:1]
	v_fmac_f64_e32 v[8:9], v[16:17], v[34:35]
	v_fmac_f64_e32 v[10:11], v[18:19], v[34:35]
	v_ashrrev_i32_e32 v21, 31, v20
	v_fmac_f64_e32 v[4:5], v[16:17], v[22:23]
	v_fmac_f64_e32 v[6:7], v[18:19], v[22:23]
	;; [unrolled: 1-line block ×4, first 2 shown]
	s_waitcnt lgkmcnt(0)
	s_and_saveexec_b64 s[4:5], s[0:1]
	s_xor_b64 s[0:1], exec, s[4:5]
	s_cbranch_execz .LBB168_30
; %bb.29:
	v_lshl_add_u64 v[12:13], v[20:21], 4, s[2:3]
	global_store_dwordx4 v[12:13], v[8:11], off
	global_store_dwordx4 v[12:13], v[4:7], off offset:16
	global_store_dwordx4 v[12:13], v[0:3], off offset:32
                                        ; implicit-def: $vgpr12_vgpr13
                                        ; implicit-def: $vgpr14_vgpr15
                                        ; implicit-def: $vgpr20
                                        ; implicit-def: $vgpr8_vgpr9
                                        ; implicit-def: $vgpr4_vgpr5
                                        ; implicit-def: $vgpr0_vgpr1
.LBB168_30:
	s_andn2_saveexec_b64 s[0:1], s[0:1]
	s_cbranch_execz .LBB168_12
; %bb.31:
	v_lshl_add_u64 v[28:29], v[20:21], 4, s[2:3]
	global_load_dwordx4 v[16:19], v[28:29], off
	global_load_dwordx4 v[20:23], v[28:29], off offset:16
	global_load_dwordx4 v[24:27], v[28:29], off offset:32
	s_waitcnt vmcnt(2)
	v_fmac_f64_e32 v[8:9], v[12:13], v[16:17]
	v_fmac_f64_e32 v[10:11], v[14:15], v[16:17]
	s_waitcnt vmcnt(1)
	v_fmac_f64_e32 v[4:5], v[12:13], v[20:21]
	v_fmac_f64_e32 v[6:7], v[14:15], v[20:21]
	;; [unrolled: 3-line block ×3, first 2 shown]
	v_fma_f64 v[8:9], -v[14:15], v[18:19], v[8:9]
	v_fmac_f64_e32 v[10:11], v[12:13], v[18:19]
	v_fma_f64 v[4:5], -v[14:15], v[22:23], v[4:5]
	v_fmac_f64_e32 v[6:7], v[12:13], v[22:23]
	;; [unrolled: 2-line block ×3, first 2 shown]
	global_store_dwordx4 v[28:29], v[8:11], off
	global_store_dwordx4 v[28:29], v[4:7], off offset:16
	global_store_dwordx4 v[28:29], v[0:3], off offset:32
	s_endpgm
	.section	.rodata,"a",@progbits
	.p2align	6, 0x0
	.amdhsa_kernel _ZN9rocsparseL18bsrxmvn_3x3_kernelILj256ELj32E21rocsparse_complex_numIdEiiS1_IfES2_S2_EEvT3_20rocsparse_direction_NS_24const_host_device_scalarIT1_EES4_PKS4_PKT2_SD_SA_PKT4_PKT5_S8_PT6_21rocsparse_index_base_b
		.amdhsa_group_segment_fixed_size 4096
		.amdhsa_private_segment_fixed_size 0
		.amdhsa_kernarg_size 112
		.amdhsa_user_sgpr_count 4
		.amdhsa_user_sgpr_dispatch_ptr 1
		.amdhsa_user_sgpr_queue_ptr 0
		.amdhsa_user_sgpr_kernarg_segment_ptr 1
		.amdhsa_user_sgpr_dispatch_id 0
		.amdhsa_user_sgpr_kernarg_preload_length 0
		.amdhsa_user_sgpr_kernarg_preload_offset 0
		.amdhsa_user_sgpr_private_segment_size 0
		.amdhsa_uses_dynamic_stack 0
		.amdhsa_enable_private_segment 0
		.amdhsa_system_sgpr_workgroup_id_x 1
		.amdhsa_system_sgpr_workgroup_id_y 0
		.amdhsa_system_sgpr_workgroup_id_z 0
		.amdhsa_system_sgpr_workgroup_info 0
		.amdhsa_system_vgpr_workitem_id 2
		.amdhsa_next_free_vgpr 80
		.amdhsa_next_free_sgpr 20
		.amdhsa_accum_offset 80
		.amdhsa_reserve_vcc 1
		.amdhsa_float_round_mode_32 0
		.amdhsa_float_round_mode_16_64 0
		.amdhsa_float_denorm_mode_32 3
		.amdhsa_float_denorm_mode_16_64 3
		.amdhsa_dx10_clamp 1
		.amdhsa_ieee_mode 1
		.amdhsa_fp16_overflow 0
		.amdhsa_tg_split 0
		.amdhsa_exception_fp_ieee_invalid_op 0
		.amdhsa_exception_fp_denorm_src 0
		.amdhsa_exception_fp_ieee_div_zero 0
		.amdhsa_exception_fp_ieee_overflow 0
		.amdhsa_exception_fp_ieee_underflow 0
		.amdhsa_exception_fp_ieee_inexact 0
		.amdhsa_exception_int_div_zero 0
	.end_amdhsa_kernel
	.section	.text._ZN9rocsparseL18bsrxmvn_3x3_kernelILj256ELj32E21rocsparse_complex_numIdEiiS1_IfES2_S2_EEvT3_20rocsparse_direction_NS_24const_host_device_scalarIT1_EES4_PKS4_PKT2_SD_SA_PKT4_PKT5_S8_PT6_21rocsparse_index_base_b,"axG",@progbits,_ZN9rocsparseL18bsrxmvn_3x3_kernelILj256ELj32E21rocsparse_complex_numIdEiiS1_IfES2_S2_EEvT3_20rocsparse_direction_NS_24const_host_device_scalarIT1_EES4_PKS4_PKT2_SD_SA_PKT4_PKT5_S8_PT6_21rocsparse_index_base_b,comdat
.Lfunc_end168:
	.size	_ZN9rocsparseL18bsrxmvn_3x3_kernelILj256ELj32E21rocsparse_complex_numIdEiiS1_IfES2_S2_EEvT3_20rocsparse_direction_NS_24const_host_device_scalarIT1_EES4_PKS4_PKT2_SD_SA_PKT4_PKT5_S8_PT6_21rocsparse_index_base_b, .Lfunc_end168-_ZN9rocsparseL18bsrxmvn_3x3_kernelILj256ELj32E21rocsparse_complex_numIdEiiS1_IfES2_S2_EEvT3_20rocsparse_direction_NS_24const_host_device_scalarIT1_EES4_PKS4_PKT2_SD_SA_PKT4_PKT5_S8_PT6_21rocsparse_index_base_b
                                        ; -- End function
	.section	.AMDGPU.csdata,"",@progbits
; Kernel info:
; codeLenInByte = 2656
; NumSgprs: 26
; NumVgprs: 80
; NumAgprs: 0
; TotalNumVgprs: 80
; ScratchSize: 0
; MemoryBound: 0
; FloatMode: 240
; IeeeMode: 1
; LDSByteSize: 4096 bytes/workgroup (compile time only)
; SGPRBlocks: 3
; VGPRBlocks: 9
; NumSGPRsForWavesPerEU: 26
; NumVGPRsForWavesPerEU: 80
; AccumOffset: 80
; Occupancy: 6
; WaveLimiterHint : 1
; COMPUTE_PGM_RSRC2:SCRATCH_EN: 0
; COMPUTE_PGM_RSRC2:USER_SGPR: 4
; COMPUTE_PGM_RSRC2:TRAP_HANDLER: 0
; COMPUTE_PGM_RSRC2:TGID_X_EN: 1
; COMPUTE_PGM_RSRC2:TGID_Y_EN: 0
; COMPUTE_PGM_RSRC2:TGID_Z_EN: 0
; COMPUTE_PGM_RSRC2:TIDIG_COMP_CNT: 2
; COMPUTE_PGM_RSRC3_GFX90A:ACCUM_OFFSET: 19
; COMPUTE_PGM_RSRC3_GFX90A:TG_SPLIT: 0
	.section	.text._ZN9rocsparseL18bsrxmvn_3x3_kernelILj256ELj64E21rocsparse_complex_numIdEiiS1_IfES2_S2_EEvT3_20rocsparse_direction_NS_24const_host_device_scalarIT1_EES4_PKS4_PKT2_SD_SA_PKT4_PKT5_S8_PT6_21rocsparse_index_base_b,"axG",@progbits,_ZN9rocsparseL18bsrxmvn_3x3_kernelILj256ELj64E21rocsparse_complex_numIdEiiS1_IfES2_S2_EEvT3_20rocsparse_direction_NS_24const_host_device_scalarIT1_EES4_PKS4_PKT2_SD_SA_PKT4_PKT5_S8_PT6_21rocsparse_index_base_b,comdat
	.globl	_ZN9rocsparseL18bsrxmvn_3x3_kernelILj256ELj64E21rocsparse_complex_numIdEiiS1_IfES2_S2_EEvT3_20rocsparse_direction_NS_24const_host_device_scalarIT1_EES4_PKS4_PKT2_SD_SA_PKT4_PKT5_S8_PT6_21rocsparse_index_base_b ; -- Begin function _ZN9rocsparseL18bsrxmvn_3x3_kernelILj256ELj64E21rocsparse_complex_numIdEiiS1_IfES2_S2_EEvT3_20rocsparse_direction_NS_24const_host_device_scalarIT1_EES4_PKS4_PKT2_SD_SA_PKT4_PKT5_S8_PT6_21rocsparse_index_base_b
	.p2align	8
	.type	_ZN9rocsparseL18bsrxmvn_3x3_kernelILj256ELj64E21rocsparse_complex_numIdEiiS1_IfES2_S2_EEvT3_20rocsparse_direction_NS_24const_host_device_scalarIT1_EES4_PKS4_PKT2_SD_SA_PKT4_PKT5_S8_PT6_21rocsparse_index_base_b,@function
_ZN9rocsparseL18bsrxmvn_3x3_kernelILj256ELj64E21rocsparse_complex_numIdEiiS1_IfES2_S2_EEvT3_20rocsparse_direction_NS_24const_host_device_scalarIT1_EES4_PKS4_PKT2_SD_SA_PKT4_PKT5_S8_PT6_21rocsparse_index_base_b: ; @_ZN9rocsparseL18bsrxmvn_3x3_kernelILj256ELj64E21rocsparse_complex_numIdEiiS1_IfES2_S2_EEvT3_20rocsparse_direction_NS_24const_host_device_scalarIT1_EES4_PKS4_PKT2_SD_SA_PKT4_PKT5_S8_PT6_21rocsparse_index_base_b
; %bb.0:
	s_load_dwordx2 s[16:17], s[2:3], 0x68
	s_load_dwordx4 s[8:11], s[2:3], 0x8
	s_load_dwordx2 s[18:19], s[0:1], 0x4
	s_load_dwordx4 s[12:15], s[2:3], 0x50
	s_mov_b64 s[6:7], src_shared_base
	v_and_b32_e32 v2, 0x3ff, v0
	s_waitcnt lgkmcnt(0)
	s_bitcmp1_b32 s17, 0
	s_cselect_b64 s[0:1], -1, 0
	s_and_b64 vcc, s[0:1], exec
	s_cselect_b32 s5, s7, s9
	s_lshr_b32 s6, s18, 16
	s_mul_i32 s6, s6, s19
	v_mul_lo_u32 v3, s6, v2
	v_bfe_u32 v4, v0, 10, 10
	v_mad_u32_u24 v3, v4, s19, v3
	v_bfe_u32 v0, v0, 20, 10
	v_add_lshl_u32 v0, v3, v0, 3
	v_mov_b32_e32 v1, s8
	v_add_u32_e32 v3, 0x800, v0
	v_mov_b64_e32 v[4:5], s[8:9]
	v_mov_b64_e32 v[6:7], s[12:13]
	ds_write2st64_b64 v0, v[6:7], v[4:5] offset1:4
	v_cndmask_b32_e64 v4, v1, v3, s[0:1]
	v_mov_b32_e32 v5, s5
	flat_load_dwordx2 v[16:17], v[4:5]
	s_xor_b64 s[18:19], s[0:1], -1
	v_mov_b64_e32 v[18:19], s[10:11]
	s_cbranch_vccnz .LBB169_2
; %bb.1:
	v_mov_b64_e32 v[4:5], s[8:9]
	flat_load_dwordx2 v[18:19], v[4:5] offset:8
.LBB169_2:
	s_and_b64 s[8:9], s[0:1], exec
	s_cselect_b32 s5, s7, s13
	v_mov_b32_e32 v1, s12
	v_cndmask_b32_e64 v0, v1, v0, s[0:1]
	v_mov_b32_e32 v1, s5
	flat_load_dwordx2 v[12:13], v[0:1]
	s_andn2_b64 vcc, exec, s[18:19]
	v_mov_b64_e32 v[14:15], s[14:15]
	s_cbranch_vccnz .LBB169_4
; %bb.3:
	v_mov_b64_e32 v[0:1], s[12:13]
	flat_load_dwordx2 v[14:15], v[0:1] offset:8
.LBB169_4:
	s_waitcnt vmcnt(0) lgkmcnt(0)
	v_cmp_eq_f64_e32 vcc, 0, v[16:17]
	v_cmp_eq_f64_e64 s[0:1], 0, v[18:19]
	s_and_b64 s[8:9], vcc, s[0:1]
	s_mov_b64 s[0:1], -1
	s_and_saveexec_b64 s[6:7], s[8:9]
; %bb.5:
	v_cmp_neq_f64_e32 vcc, 1.0, v[12:13]
	v_cmp_neq_f64_e64 s[0:1], 0, v[14:15]
	s_or_b64 s[0:1], vcc, s[0:1]
	s_orn2_b64 s[0:1], s[0:1], exec
; %bb.6:
	s_or_b64 exec, exec, s[6:7]
	s_and_saveexec_b64 s[6:7], s[0:1]
	s_cbranch_execz .LBB169_12
; %bb.7:
	s_load_dwordx2 s[6:7], s[2:3], 0x20
	s_load_dwordx2 s[0:1], s[2:3], 0x0
	v_lshrrev_b32_e32 v0, 6, v2
	v_lshl_or_b32 v0, s4, 2, v0
	s_mov_b64 s[4:5], 0
	s_waitcnt lgkmcnt(0)
	s_cmp_lg_u64 s[6:7], 0
	s_cbranch_scc0 .LBB169_13
; %bb.8:
	s_load_dword s8, s[2:3], 0x18
                                        ; implicit-def: $vgpr1
	s_waitcnt lgkmcnt(0)
	v_cmp_gt_i32_e32 vcc, s8, v0
	s_and_saveexec_b64 s[8:9], vcc
	s_xor_b64 s[8:9], exec, s[8:9]
	s_cbranch_execz .LBB169_10
; %bb.9:
	v_ashrrev_i32_e32 v1, 31, v0
	v_lshl_add_u64 v[4:5], v[0:1], 2, s[6:7]
	global_load_dword v1, v[4:5], off
	s_mov_b64 s[4:5], exec
	s_waitcnt vmcnt(0)
	v_subrev_u32_e32 v1, s16, v1
.LBB169_10:
	s_or_b64 exec, exec, s[8:9]
	s_branch .LBB169_14
.LBB169_11:
	v_cmp_gt_i32_e32 vcc, s0, v0
	s_andn2_b64 s[4:5], s[4:5], exec
	s_and_b64 s[6:7], vcc, exec
	s_or_b64 s[4:5], s[4:5], s[6:7]
	s_and_b64 exec, exec, s[4:5]
	s_cbranch_execnz .LBB169_15
.LBB169_12:
	s_endpgm
.LBB169_13:
                                        ; implicit-def: $vgpr1
	s_cbranch_execnz .LBB169_11
.LBB169_14:
	v_mov_b32_e32 v0, v1
	s_and_b64 exec, exec, s[4:5]
	s_cbranch_execz .LBB169_12
.LBB169_15:
	s_load_dwordx8 s[4:11], s[2:3], 0x28
	v_ashrrev_i32_e32 v1, 31, v0
	v_lshlrev_b64 v[4:5], 2, v[0:1]
	v_and_b32_e32 v1, 63, v2
	s_movk_i32 s0, 0x48
	s_waitcnt lgkmcnt(0)
	v_lshl_add_u64 v[6:7], s[4:5], 0, v[4:5]
	s_cmp_eq_u64 s[6:7], 0
	global_load_dword v8, v[6:7], off
	v_lshl_add_u64 v[6:7], v[6:7], 0, 4
	v_lshl_add_u64 v[4:5], s[6:7], 0, v[4:5]
	s_cselect_b64 vcc, -1, 0
	v_cndmask_b32_e32 v5, v5, v7, vcc
	v_cndmask_b32_e32 v4, v4, v6, vcc
	global_load_dword v4, v[4:5], off
	s_load_dwordx2 s[4:5], s[2:3], 0x48
	v_mov_b64_e32 v[2:3], s[10:11]
	s_cmp_eq_u32 s1, 1
	s_waitcnt vmcnt(1)
	v_subrev_u32_e32 v5, s16, v8
	v_add_u32_e32 v10, v5, v1
	v_mad_i64_i32 v[22:23], s[6:7], v10, s0, v[2:3]
	s_waitcnt vmcnt(0)
	v_subrev_u32_e32 v30, s16, v4
	v_cmp_lt_i32_e64 s[0:1], v10, v30
	s_cbranch_scc1 .LBB169_21
; %bb.16:
	v_mov_b64_e32 v[6:7], 0
	s_mov_b64 s[6:7], 0
	v_mov_b64_e32 v[24:25], v[6:7]
	v_mov_b64_e32 v[4:5], v[6:7]
	;; [unrolled: 1-line block ×5, first 2 shown]
	s_and_saveexec_b64 s[10:11], s[0:1]
	s_cbranch_execz .LBB169_20
; %bb.17:
	v_mov_b64_e32 v[6:7], 0
	s_mov_b64 s[12:13], 0
	s_mov_b64 s[14:15], 0x1200
	v_mov_b32_e32 v26, v10
	v_mov_b64_e32 v[28:29], v[22:23]
	v_mov_b64_e32 v[24:25], v[6:7]
	;; [unrolled: 1-line block ×6, first 2 shown]
.LBB169_18:                             ; =>This Inner Loop Header: Depth=1
	v_ashrrev_i32_e32 v27, 31, v26
	v_lshl_add_u64 v[48:49], v[26:27], 2, s[8:9]
	global_load_dword v11, v[48:49], off
	global_load_dwordx4 v[32:35], v[28:29], off
	global_load_dwordx4 v[36:39], v[28:29], off offset:16
	global_load_dwordx4 v[40:43], v[28:29], off offset:32
	;; [unrolled: 1-line block ×3, first 2 shown]
	global_load_dwordx2 v[60:61], v[28:29], off offset:64
	v_add_u32_e32 v26, 64, v26
	v_cmp_ge_i32_e32 vcc, v26, v30
	v_lshl_add_u64 v[28:29], v[28:29], 0, s[14:15]
	s_or_b64 s[12:13], vcc, s[12:13]
	s_waitcnt vmcnt(5)
	v_subrev_u32_e32 v11, s16, v11
	v_lshl_add_u32 v48, v11, 1, v11
	v_ashrrev_i32_e32 v49, 31, v48
	s_waitcnt lgkmcnt(0)
	v_lshl_add_u64 v[62:63], v[48:49], 4, s[4:5]
	global_load_dwordx4 v[48:51], v[62:63], off
	global_load_dwordx4 v[52:55], v[62:63], off offset:16
	global_load_dwordx4 v[56:59], v[62:63], off offset:32
	s_waitcnt vmcnt(7)
	v_cvt_f64_f32_e32 v[62:63], v32
	v_cvt_f64_f32_e32 v[32:33], v33
	s_waitcnt vmcnt(6)
	v_cvt_f64_f32_e32 v[68:69], v38
	v_cvt_f64_f32_e32 v[38:39], v39
	;; [unrolled: 3-line block ×3, first 2 shown]
	v_cvt_f64_f32_e32 v[64:65], v34
	v_cvt_f64_f32_e32 v[34:35], v35
	;; [unrolled: 1-line block ×10, first 2 shown]
	s_waitcnt vmcnt(3)
	v_cvt_f64_f32_e32 v[78:79], v60
	v_cvt_f64_f32_e32 v[60:61], v61
	s_waitcnt vmcnt(2)
	v_fmac_f64_e32 v[24:25], v[62:63], v[48:49]
	v_fmac_f64_e32 v[6:7], v[32:33], v[48:49]
	v_fmac_f64_e32 v[20:21], v[68:69], v[48:49]
	v_fmac_f64_e32 v[4:5], v[38:39], v[48:49]
	v_fmac_f64_e32 v[8:9], v[74:75], v[48:49]
	v_fmac_f64_e32 v[2:3], v[44:45], v[48:49]
	v_fma_f64 v[24:25], -v[32:33], v[50:51], v[24:25]
	v_fmac_f64_e32 v[6:7], v[62:63], v[50:51]
	v_fma_f64 v[20:21], -v[38:39], v[50:51], v[20:21]
	v_fmac_f64_e32 v[4:5], v[68:69], v[50:51]
	v_fma_f64 v[8:9], -v[44:45], v[50:51], v[8:9]
	v_fmac_f64_e32 v[2:3], v[74:75], v[50:51]
	s_waitcnt vmcnt(1)
	v_fmac_f64_e32 v[24:25], v[64:65], v[52:53]
	v_fmac_f64_e32 v[6:7], v[34:35], v[52:53]
	v_fmac_f64_e32 v[20:21], v[70:71], v[52:53]
	v_fmac_f64_e32 v[4:5], v[40:41], v[52:53]
	v_fmac_f64_e32 v[8:9], v[76:77], v[52:53]
	v_fmac_f64_e32 v[2:3], v[46:47], v[52:53]
	v_fma_f64 v[24:25], -v[34:35], v[54:55], v[24:25]
	v_fmac_f64_e32 v[6:7], v[64:65], v[54:55]
	v_fma_f64 v[20:21], -v[40:41], v[54:55], v[20:21]
	v_fmac_f64_e32 v[4:5], v[70:71], v[54:55]
	v_fma_f64 v[8:9], -v[46:47], v[54:55], v[8:9]
	v_fmac_f64_e32 v[2:3], v[76:77], v[54:55]
	;; [unrolled: 13-line block ×3, first 2 shown]
	s_andn2_b64 exec, exec, s[12:13]
	s_cbranch_execnz .LBB169_18
; %bb.19:
	s_or_b64 exec, exec, s[12:13]
.LBB169_20:
	s_or_b64 exec, exec, s[10:11]
	s_andn2_b64 vcc, exec, s[6:7]
	s_cbranch_vccz .LBB169_22
	s_branch .LBB169_27
.LBB169_21:
                                        ; implicit-def: $vgpr6_vgpr7
                                        ; implicit-def: $vgpr24_vgpr25
                                        ; implicit-def: $vgpr4_vgpr5
                                        ; implicit-def: $vgpr20_vgpr21
                                        ; implicit-def: $vgpr2_vgpr3
                                        ; implicit-def: $vgpr8_vgpr9
.LBB169_22:
	v_mov_b64_e32 v[6:7], 0
	v_mov_b64_e32 v[24:25], v[6:7]
	;; [unrolled: 1-line block ×6, first 2 shown]
	s_and_saveexec_b64 s[6:7], s[0:1]
	s_cbranch_execz .LBB169_26
; %bb.23:
	v_mov_b64_e32 v[6:7], 0
	s_mov_b64 s[0:1], 0
	s_mov_b64 s[10:11], 0x1200
	v_mov_b64_e32 v[24:25], v[6:7]
	v_mov_b64_e32 v[4:5], v[6:7]
	;; [unrolled: 1-line block ×5, first 2 shown]
.LBB169_24:                             ; =>This Inner Loop Header: Depth=1
	v_ashrrev_i32_e32 v11, 31, v10
	v_lshl_add_u64 v[44:45], v[10:11], 2, s[8:9]
	global_load_dword v11, v[44:45], off
	global_load_dwordx4 v[26:29], v[22:23], off
	global_load_dwordx4 v[32:35], v[22:23], off offset:16
	global_load_dwordx4 v[36:39], v[22:23], off offset:32
	;; [unrolled: 1-line block ×3, first 2 shown]
	global_load_dwordx2 v[56:57], v[22:23], off offset:64
	v_add_u32_e32 v10, 64, v10
	v_cmp_ge_i32_e32 vcc, v10, v30
	v_lshl_add_u64 v[22:23], v[22:23], 0, s[10:11]
	s_or_b64 s[0:1], vcc, s[0:1]
	s_waitcnt vmcnt(5)
	v_subrev_u32_e32 v11, s16, v11
	v_lshl_add_u32 v44, v11, 1, v11
	v_ashrrev_i32_e32 v45, 31, v44
	s_waitcnt lgkmcnt(0)
	v_lshl_add_u64 v[58:59], v[44:45], 4, s[4:5]
	global_load_dwordx4 v[44:47], v[58:59], off
	global_load_dwordx4 v[48:51], v[58:59], off offset:16
	global_load_dwordx4 v[52:55], v[58:59], off offset:32
	s_waitcnt vmcnt(7)
	v_cvt_f64_f32_e32 v[58:59], v26
	v_cvt_f64_f32_e32 v[26:27], v27
	v_cvt_f64_f32_e32 v[60:61], v28
	v_cvt_f64_f32_e32 v[28:29], v29
	s_waitcnt vmcnt(6)
	v_cvt_f64_f32_e32 v[62:63], v32
	v_cvt_f64_f32_e32 v[32:33], v33
	v_cvt_f64_f32_e32 v[64:65], v34
	v_cvt_f64_f32_e32 v[34:35], v35
	;; [unrolled: 5-line block ×4, first 2 shown]
	s_waitcnt vmcnt(3)
	v_cvt_f64_f32_e32 v[74:75], v56
	v_cvt_f64_f32_e32 v[56:57], v57
	s_waitcnt vmcnt(2)
	v_fmac_f64_e32 v[24:25], v[58:59], v[44:45]
	v_fmac_f64_e32 v[6:7], v[26:27], v[44:45]
	v_fmac_f64_e32 v[20:21], v[60:61], v[44:45]
	v_fmac_f64_e32 v[4:5], v[28:29], v[44:45]
	v_fmac_f64_e32 v[8:9], v[62:63], v[44:45]
	v_fmac_f64_e32 v[2:3], v[32:33], v[44:45]
	v_fma_f64 v[24:25], -v[26:27], v[46:47], v[24:25]
	v_fmac_f64_e32 v[6:7], v[58:59], v[46:47]
	v_fma_f64 v[20:21], -v[28:29], v[46:47], v[20:21]
	v_fmac_f64_e32 v[4:5], v[60:61], v[46:47]
	v_fma_f64 v[8:9], -v[32:33], v[46:47], v[8:9]
	v_fmac_f64_e32 v[2:3], v[62:63], v[46:47]
	s_waitcnt vmcnt(1)
	v_fmac_f64_e32 v[24:25], v[64:65], v[48:49]
	v_fmac_f64_e32 v[6:7], v[34:35], v[48:49]
	v_fmac_f64_e32 v[20:21], v[66:67], v[48:49]
	v_fmac_f64_e32 v[4:5], v[36:37], v[48:49]
	v_fmac_f64_e32 v[8:9], v[68:69], v[48:49]
	v_fmac_f64_e32 v[2:3], v[38:39], v[48:49]
	v_fma_f64 v[24:25], -v[34:35], v[50:51], v[24:25]
	v_fmac_f64_e32 v[6:7], v[64:65], v[50:51]
	v_fma_f64 v[20:21], -v[36:37], v[50:51], v[20:21]
	v_fmac_f64_e32 v[4:5], v[66:67], v[50:51]
	v_fma_f64 v[8:9], -v[38:39], v[50:51], v[8:9]
	v_fmac_f64_e32 v[2:3], v[68:69], v[50:51]
	;; [unrolled: 13-line block ×3, first 2 shown]
	s_andn2_b64 exec, exec, s[0:1]
	s_cbranch_execnz .LBB169_24
; %bb.25:
	s_or_b64 exec, exec, s[0:1]
.LBB169_26:
	s_or_b64 exec, exec, s[6:7]
.LBB169_27:
	v_mov_b32_dpp v10, v24 row_shr:1 row_mask:0xf bank_mask:0xf
	v_mov_b32_dpp v11, v25 row_shr:1 row_mask:0xf bank_mask:0xf
	v_add_f64 v[10:11], v[24:25], v[10:11]
	v_mov_b32_dpp v24, v6 row_shr:1 row_mask:0xf bank_mask:0xf
	v_mov_b32_dpp v25, v7 row_shr:1 row_mask:0xf bank_mask:0xf
	;; [unrolled: 1-line block ×10, first 2 shown]
	v_add_f64 v[6:7], v[6:7], v[24:25]
	v_add_f64 v[20:21], v[20:21], v[26:27]
	v_add_f64 v[4:5], v[4:5], v[28:29]
	v_add_f64 v[8:9], v[8:9], v[30:31]
	v_add_f64 v[2:3], v[2:3], v[32:33]
	v_mov_b32_dpp v22, v10 row_shr:2 row_mask:0xf bank_mask:0xf
	v_mov_b32_dpp v23, v11 row_shr:2 row_mask:0xf bank_mask:0xf
	v_mov_b32_dpp v24, v6 row_shr:2 row_mask:0xf bank_mask:0xf
	v_mov_b32_dpp v25, v7 row_shr:2 row_mask:0xf bank_mask:0xf
	v_mov_b32_dpp v26, v20 row_shr:2 row_mask:0xf bank_mask:0xf
	v_mov_b32_dpp v27, v21 row_shr:2 row_mask:0xf bank_mask:0xf
	v_mov_b32_dpp v28, v4 row_shr:2 row_mask:0xf bank_mask:0xf
	v_mov_b32_dpp v29, v5 row_shr:2 row_mask:0xf bank_mask:0xf
	v_mov_b32_dpp v30, v8 row_shr:2 row_mask:0xf bank_mask:0xf
	v_mov_b32_dpp v31, v9 row_shr:2 row_mask:0xf bank_mask:0xf
	v_mov_b32_dpp v32, v2 row_shr:2 row_mask:0xf bank_mask:0xf
	v_mov_b32_dpp v33, v3 row_shr:2 row_mask:0xf bank_mask:0xf
	v_add_f64 v[10:11], v[10:11], v[22:23]
	v_add_f64 v[6:7], v[6:7], v[24:25]
	v_add_f64 v[20:21], v[20:21], v[26:27]
	v_add_f64 v[4:5], v[4:5], v[28:29]
	v_add_f64 v[8:9], v[8:9], v[30:31]
	v_add_f64 v[2:3], v[2:3], v[32:33]
	v_mov_b32_dpp v22, v10 row_shr:4 row_mask:0xf bank_mask:0xe
	v_mov_b32_dpp v23, v11 row_shr:4 row_mask:0xf bank_mask:0xe
	v_mov_b32_dpp v24, v6 row_shr:4 row_mask:0xf bank_mask:0xe
	v_mov_b32_dpp v25, v7 row_shr:4 row_mask:0xf bank_mask:0xe
	v_mov_b32_dpp v26, v20 row_shr:4 row_mask:0xf bank_mask:0xe
	v_mov_b32_dpp v27, v21 row_shr:4 row_mask:0xf bank_mask:0xe
	v_mov_b32_dpp v28, v4 row_shr:4 row_mask:0xf bank_mask:0xe
	v_mov_b32_dpp v29, v5 row_shr:4 row_mask:0xf bank_mask:0xe
	v_mov_b32_dpp v30, v8 row_shr:4 row_mask:0xf bank_mask:0xe
	v_mov_b32_dpp v31, v9 row_shr:4 row_mask:0xf bank_mask:0xe
	v_mov_b32_dpp v32, v2 row_shr:4 row_mask:0xf bank_mask:0xe
	v_mov_b32_dpp v33, v3 row_shr:4 row_mask:0xf bank_mask:0xe
	v_add_f64 v[10:11], v[10:11], v[22:23]
	;; [unrolled: 18-line block ×3, first 2 shown]
	v_add_f64 v[6:7], v[6:7], v[24:25]
	v_add_f64 v[20:21], v[20:21], v[26:27]
	;; [unrolled: 1-line block ×5, first 2 shown]
	v_mov_b32_dpp v22, v10 row_bcast:15 row_mask:0xa bank_mask:0xf
	v_mov_b32_dpp v23, v11 row_bcast:15 row_mask:0xa bank_mask:0xf
	;; [unrolled: 1-line block ×12, first 2 shown]
	v_add_f64 v[10:11], v[10:11], v[22:23]
	v_add_f64 v[6:7], v[6:7], v[24:25]
	;; [unrolled: 1-line block ×6, first 2 shown]
	v_mov_b32_dpp v22, v10 row_bcast:31 row_mask:0xc bank_mask:0xf
	v_mov_b32_dpp v23, v11 row_bcast:31 row_mask:0xc bank_mask:0xf
	;; [unrolled: 1-line block ×12, first 2 shown]
	v_cmp_eq_u32_e32 vcc, 63, v1
	s_and_b64 exec, exec, vcc
	s_cbranch_execz .LBB169_12
; %bb.28:
	s_load_dwordx2 s[2:3], s[2:3], 0x60
	v_add_f64 v[6:7], v[6:7], v[24:25]
	v_add_f64 v[24:25], v[20:21], v[26:27]
	;; [unrolled: 1-line block ×6, first 2 shown]
	v_cmp_eq_f64_e32 vcc, 0, v[12:13]
	v_cmp_eq_f64_e64 s[0:1], 0, v[14:15]
	v_mul_f64 v[8:9], v[6:7], -v[18:19]
	v_mul_f64 v[10:11], v[16:17], v[6:7]
	v_lshl_add_u32 v20, v0, 1, v0
	v_mul_f64 v[4:5], v[26:27], -v[18:19]
	v_mul_f64 v[6:7], v[16:17], v[26:27]
	v_mul_f64 v[0:1], v[2:3], -v[18:19]
	v_mul_f64 v[2:3], v[16:17], v[2:3]
	s_and_b64 s[0:1], vcc, s[0:1]
	v_fmac_f64_e32 v[8:9], v[16:17], v[22:23]
	v_fmac_f64_e32 v[10:11], v[18:19], v[22:23]
	v_ashrrev_i32_e32 v21, 31, v20
	v_fmac_f64_e32 v[4:5], v[16:17], v[24:25]
	v_fmac_f64_e32 v[6:7], v[18:19], v[24:25]
	;; [unrolled: 1-line block ×4, first 2 shown]
	s_waitcnt lgkmcnt(0)
	s_and_saveexec_b64 s[4:5], s[0:1]
	s_xor_b64 s[0:1], exec, s[4:5]
	s_cbranch_execz .LBB169_30
; %bb.29:
	v_lshl_add_u64 v[12:13], v[20:21], 4, s[2:3]
	global_store_dwordx4 v[12:13], v[8:11], off
	global_store_dwordx4 v[12:13], v[4:7], off offset:16
	global_store_dwordx4 v[12:13], v[0:3], off offset:32
                                        ; implicit-def: $vgpr12_vgpr13
                                        ; implicit-def: $vgpr14_vgpr15
                                        ; implicit-def: $vgpr20
                                        ; implicit-def: $vgpr8_vgpr9
                                        ; implicit-def: $vgpr4_vgpr5
                                        ; implicit-def: $vgpr0_vgpr1
.LBB169_30:
	s_andn2_saveexec_b64 s[0:1], s[0:1]
	s_cbranch_execz .LBB169_12
; %bb.31:
	v_lshl_add_u64 v[28:29], v[20:21], 4, s[2:3]
	global_load_dwordx4 v[16:19], v[28:29], off
	global_load_dwordx4 v[20:23], v[28:29], off offset:16
	global_load_dwordx4 v[24:27], v[28:29], off offset:32
	s_waitcnt vmcnt(2)
	v_fmac_f64_e32 v[8:9], v[12:13], v[16:17]
	v_fmac_f64_e32 v[10:11], v[14:15], v[16:17]
	s_waitcnt vmcnt(1)
	v_fmac_f64_e32 v[4:5], v[12:13], v[20:21]
	v_fmac_f64_e32 v[6:7], v[14:15], v[20:21]
	;; [unrolled: 3-line block ×3, first 2 shown]
	v_fma_f64 v[8:9], -v[14:15], v[18:19], v[8:9]
	v_fmac_f64_e32 v[10:11], v[12:13], v[18:19]
	v_fma_f64 v[4:5], -v[14:15], v[22:23], v[4:5]
	v_fmac_f64_e32 v[6:7], v[12:13], v[22:23]
	;; [unrolled: 2-line block ×3, first 2 shown]
	global_store_dwordx4 v[28:29], v[8:11], off
	global_store_dwordx4 v[28:29], v[4:7], off offset:16
	global_store_dwordx4 v[28:29], v[0:3], off offset:32
	s_endpgm
	.section	.rodata,"a",@progbits
	.p2align	6, 0x0
	.amdhsa_kernel _ZN9rocsparseL18bsrxmvn_3x3_kernelILj256ELj64E21rocsparse_complex_numIdEiiS1_IfES2_S2_EEvT3_20rocsparse_direction_NS_24const_host_device_scalarIT1_EES4_PKS4_PKT2_SD_SA_PKT4_PKT5_S8_PT6_21rocsparse_index_base_b
		.amdhsa_group_segment_fixed_size 4096
		.amdhsa_private_segment_fixed_size 0
		.amdhsa_kernarg_size 112
		.amdhsa_user_sgpr_count 4
		.amdhsa_user_sgpr_dispatch_ptr 1
		.amdhsa_user_sgpr_queue_ptr 0
		.amdhsa_user_sgpr_kernarg_segment_ptr 1
		.amdhsa_user_sgpr_dispatch_id 0
		.amdhsa_user_sgpr_kernarg_preload_length 0
		.amdhsa_user_sgpr_kernarg_preload_offset 0
		.amdhsa_user_sgpr_private_segment_size 0
		.amdhsa_uses_dynamic_stack 0
		.amdhsa_enable_private_segment 0
		.amdhsa_system_sgpr_workgroup_id_x 1
		.amdhsa_system_sgpr_workgroup_id_y 0
		.amdhsa_system_sgpr_workgroup_id_z 0
		.amdhsa_system_sgpr_workgroup_info 0
		.amdhsa_system_vgpr_workitem_id 2
		.amdhsa_next_free_vgpr 80
		.amdhsa_next_free_sgpr 20
		.amdhsa_accum_offset 80
		.amdhsa_reserve_vcc 1
		.amdhsa_float_round_mode_32 0
		.amdhsa_float_round_mode_16_64 0
		.amdhsa_float_denorm_mode_32 3
		.amdhsa_float_denorm_mode_16_64 3
		.amdhsa_dx10_clamp 1
		.amdhsa_ieee_mode 1
		.amdhsa_fp16_overflow 0
		.amdhsa_tg_split 0
		.amdhsa_exception_fp_ieee_invalid_op 0
		.amdhsa_exception_fp_denorm_src 0
		.amdhsa_exception_fp_ieee_div_zero 0
		.amdhsa_exception_fp_ieee_overflow 0
		.amdhsa_exception_fp_ieee_underflow 0
		.amdhsa_exception_fp_ieee_inexact 0
		.amdhsa_exception_int_div_zero 0
	.end_amdhsa_kernel
	.section	.text._ZN9rocsparseL18bsrxmvn_3x3_kernelILj256ELj64E21rocsparse_complex_numIdEiiS1_IfES2_S2_EEvT3_20rocsparse_direction_NS_24const_host_device_scalarIT1_EES4_PKS4_PKT2_SD_SA_PKT4_PKT5_S8_PT6_21rocsparse_index_base_b,"axG",@progbits,_ZN9rocsparseL18bsrxmvn_3x3_kernelILj256ELj64E21rocsparse_complex_numIdEiiS1_IfES2_S2_EEvT3_20rocsparse_direction_NS_24const_host_device_scalarIT1_EES4_PKS4_PKT2_SD_SA_PKT4_PKT5_S8_PT6_21rocsparse_index_base_b,comdat
.Lfunc_end169:
	.size	_ZN9rocsparseL18bsrxmvn_3x3_kernelILj256ELj64E21rocsparse_complex_numIdEiiS1_IfES2_S2_EEvT3_20rocsparse_direction_NS_24const_host_device_scalarIT1_EES4_PKS4_PKT2_SD_SA_PKT4_PKT5_S8_PT6_21rocsparse_index_base_b, .Lfunc_end169-_ZN9rocsparseL18bsrxmvn_3x3_kernelILj256ELj64E21rocsparse_complex_numIdEiiS1_IfES2_S2_EEvT3_20rocsparse_direction_NS_24const_host_device_scalarIT1_EES4_PKS4_PKT2_SD_SA_PKT4_PKT5_S8_PT6_21rocsparse_index_base_b
                                        ; -- End function
	.section	.AMDGPU.csdata,"",@progbits
; Kernel info:
; codeLenInByte = 2800
; NumSgprs: 26
; NumVgprs: 80
; NumAgprs: 0
; TotalNumVgprs: 80
; ScratchSize: 0
; MemoryBound: 0
; FloatMode: 240
; IeeeMode: 1
; LDSByteSize: 4096 bytes/workgroup (compile time only)
; SGPRBlocks: 3
; VGPRBlocks: 9
; NumSGPRsForWavesPerEU: 26
; NumVGPRsForWavesPerEU: 80
; AccumOffset: 80
; Occupancy: 6
; WaveLimiterHint : 1
; COMPUTE_PGM_RSRC2:SCRATCH_EN: 0
; COMPUTE_PGM_RSRC2:USER_SGPR: 4
; COMPUTE_PGM_RSRC2:TRAP_HANDLER: 0
; COMPUTE_PGM_RSRC2:TGID_X_EN: 1
; COMPUTE_PGM_RSRC2:TGID_Y_EN: 0
; COMPUTE_PGM_RSRC2:TGID_Z_EN: 0
; COMPUTE_PGM_RSRC2:TIDIG_COMP_CNT: 2
; COMPUTE_PGM_RSRC3_GFX90A:ACCUM_OFFSET: 19
; COMPUTE_PGM_RSRC3_GFX90A:TG_SPLIT: 0
	.section	.text._ZN9rocsparseL18bsrxmvn_3x3_kernelILj256ELj4E21rocsparse_complex_numIdEliS1_IfES2_S2_EEvT3_20rocsparse_direction_NS_24const_host_device_scalarIT1_EES4_PKS4_PKT2_SD_SA_PKT4_PKT5_S8_PT6_21rocsparse_index_base_b,"axG",@progbits,_ZN9rocsparseL18bsrxmvn_3x3_kernelILj256ELj4E21rocsparse_complex_numIdEliS1_IfES2_S2_EEvT3_20rocsparse_direction_NS_24const_host_device_scalarIT1_EES4_PKS4_PKT2_SD_SA_PKT4_PKT5_S8_PT6_21rocsparse_index_base_b,comdat
	.globl	_ZN9rocsparseL18bsrxmvn_3x3_kernelILj256ELj4E21rocsparse_complex_numIdEliS1_IfES2_S2_EEvT3_20rocsparse_direction_NS_24const_host_device_scalarIT1_EES4_PKS4_PKT2_SD_SA_PKT4_PKT5_S8_PT6_21rocsparse_index_base_b ; -- Begin function _ZN9rocsparseL18bsrxmvn_3x3_kernelILj256ELj4E21rocsparse_complex_numIdEliS1_IfES2_S2_EEvT3_20rocsparse_direction_NS_24const_host_device_scalarIT1_EES4_PKS4_PKT2_SD_SA_PKT4_PKT5_S8_PT6_21rocsparse_index_base_b
	.p2align	8
	.type	_ZN9rocsparseL18bsrxmvn_3x3_kernelILj256ELj4E21rocsparse_complex_numIdEliS1_IfES2_S2_EEvT3_20rocsparse_direction_NS_24const_host_device_scalarIT1_EES4_PKS4_PKT2_SD_SA_PKT4_PKT5_S8_PT6_21rocsparse_index_base_b,@function
_ZN9rocsparseL18bsrxmvn_3x3_kernelILj256ELj4E21rocsparse_complex_numIdEliS1_IfES2_S2_EEvT3_20rocsparse_direction_NS_24const_host_device_scalarIT1_EES4_PKS4_PKT2_SD_SA_PKT4_PKT5_S8_PT6_21rocsparse_index_base_b: ; @_ZN9rocsparseL18bsrxmvn_3x3_kernelILj256ELj4E21rocsparse_complex_numIdEliS1_IfES2_S2_EEvT3_20rocsparse_direction_NS_24const_host_device_scalarIT1_EES4_PKS4_PKT2_SD_SA_PKT4_PKT5_S8_PT6_21rocsparse_index_base_b
; %bb.0:
	s_load_dwordx2 s[16:17], s[2:3], 0x68
	s_load_dwordx4 s[8:11], s[2:3], 0x8
	s_load_dwordx2 s[18:19], s[0:1], 0x4
	s_load_dwordx4 s[12:15], s[2:3], 0x50
	s_mov_b64 s[6:7], src_shared_base
	v_and_b32_e32 v2, 0x3ff, v0
	s_waitcnt lgkmcnt(0)
	s_bitcmp1_b32 s17, 0
	s_cselect_b64 s[0:1], -1, 0
	s_and_b64 vcc, s[0:1], exec
	s_cselect_b32 s5, s7, s9
	s_lshr_b32 s6, s18, 16
	s_mul_i32 s6, s6, s19
	v_mul_lo_u32 v3, s6, v2
	v_bfe_u32 v4, v0, 10, 10
	v_mad_u32_u24 v3, v4, s19, v3
	v_bfe_u32 v0, v0, 20, 10
	v_add_lshl_u32 v0, v3, v0, 3
	v_mov_b32_e32 v1, s8
	v_add_u32_e32 v3, 0x800, v0
	v_mov_b64_e32 v[4:5], s[8:9]
	v_mov_b64_e32 v[6:7], s[12:13]
	ds_write2st64_b64 v0, v[6:7], v[4:5] offset1:4
	v_cndmask_b32_e64 v4, v1, v3, s[0:1]
	v_mov_b32_e32 v5, s5
	flat_load_dwordx2 v[16:17], v[4:5]
	s_xor_b64 s[18:19], s[0:1], -1
	v_mov_b64_e32 v[18:19], s[10:11]
	s_cbranch_vccnz .LBB170_2
; %bb.1:
	v_mov_b64_e32 v[4:5], s[8:9]
	flat_load_dwordx2 v[18:19], v[4:5] offset:8
.LBB170_2:
	s_and_b64 s[8:9], s[0:1], exec
	s_cselect_b32 s5, s7, s13
	v_mov_b32_e32 v1, s12
	v_cndmask_b32_e64 v0, v1, v0, s[0:1]
	v_mov_b32_e32 v1, s5
	flat_load_dwordx2 v[12:13], v[0:1]
	s_andn2_b64 vcc, exec, s[18:19]
	v_mov_b64_e32 v[14:15], s[14:15]
	s_cbranch_vccnz .LBB170_4
; %bb.3:
	v_mov_b64_e32 v[0:1], s[12:13]
	flat_load_dwordx2 v[14:15], v[0:1] offset:8
.LBB170_4:
	s_waitcnt vmcnt(0) lgkmcnt(0)
	v_cmp_eq_f64_e32 vcc, 0, v[16:17]
	v_cmp_eq_f64_e64 s[0:1], 0, v[18:19]
	s_and_b64 s[8:9], vcc, s[0:1]
	s_mov_b64 s[0:1], -1
	s_and_saveexec_b64 s[6:7], s[8:9]
; %bb.5:
	v_cmp_neq_f64_e32 vcc, 1.0, v[12:13]
	v_cmp_neq_f64_e64 s[0:1], 0, v[14:15]
	s_or_b64 s[0:1], vcc, s[0:1]
	s_orn2_b64 s[0:1], s[0:1], exec
; %bb.6:
	s_or_b64 exec, exec, s[6:7]
	s_and_saveexec_b64 s[6:7], s[0:1]
	s_cbranch_execz .LBB170_12
; %bb.7:
	s_load_dwordx2 s[6:7], s[2:3], 0x20
	s_load_dwordx2 s[0:1], s[2:3], 0x0
	v_lshrrev_b32_e32 v0, 2, v2
	v_lshl_or_b32 v0, s4, 6, v0
	s_mov_b64 s[4:5], 0
	s_waitcnt lgkmcnt(0)
	s_cmp_lg_u64 s[6:7], 0
	s_cbranch_scc0 .LBB170_13
; %bb.8:
	s_load_dword s8, s[2:3], 0x18
                                        ; implicit-def: $vgpr1
	s_waitcnt lgkmcnt(0)
	v_cmp_gt_i32_e32 vcc, s8, v0
	s_and_saveexec_b64 s[8:9], vcc
	s_xor_b64 s[8:9], exec, s[8:9]
	s_cbranch_execz .LBB170_10
; %bb.9:
	v_ashrrev_i32_e32 v1, 31, v0
	v_lshl_add_u64 v[4:5], v[0:1], 2, s[6:7]
	global_load_dword v1, v[4:5], off
	s_mov_b64 s[4:5], exec
	s_waitcnt vmcnt(0)
	v_subrev_u32_e32 v1, s16, v1
.LBB170_10:
	s_or_b64 exec, exec, s[8:9]
	s_branch .LBB170_14
.LBB170_11:
	v_cmp_gt_i32_e32 vcc, s0, v0
	s_andn2_b64 s[4:5], s[4:5], exec
	s_and_b64 s[6:7], vcc, exec
	s_or_b64 s[4:5], s[4:5], s[6:7]
	s_and_b64 exec, exec, s[4:5]
	s_cbranch_execnz .LBB170_15
.LBB170_12:
	s_endpgm
.LBB170_13:
                                        ; implicit-def: $vgpr1
	s_cbranch_execnz .LBB170_11
.LBB170_14:
	v_mov_b32_e32 v0, v1
	s_and_b64 exec, exec, s[4:5]
	s_cbranch_execz .LBB170_12
.LBB170_15:
	s_load_dwordx8 s[4:11], s[2:3], 0x28
	v_ashrrev_i32_e32 v1, 31, v0
	v_lshlrev_b64 v[4:5], 3, v[0:1]
	v_and_b32_e32 v2, 3, v2
	v_mov_b32_e32 v3, 0
	s_waitcnt lgkmcnt(0)
	v_lshl_add_u64 v[6:7], s[4:5], 0, v[4:5]
	global_load_dwordx2 v[8:9], v[6:7], off
	s_cmp_eq_u64 s[6:7], 0
	v_lshl_add_u64 v[4:5], s[6:7], 0, v[4:5]
	v_lshl_add_u64 v[6:7], v[6:7], 0, 8
	s_cselect_b64 vcc, -1, 0
	v_cndmask_b32_e32 v5, v5, v7, vcc
	v_cndmask_b32_e32 v4, v4, v6, vcc
	global_load_dwordx2 v[4:5], v[4:5], off
	s_load_dwordx2 s[4:5], s[2:3], 0x48
	s_movk_i32 s6, 0x48
	v_mov_b64_e32 v[6:7], s[10:11]
	s_cmp_eq_u32 s1, 1
	s_waitcnt vmcnt(1)
	v_subrev_co_u32_e32 v8, vcc, s16, v8
	s_nop 1
	v_subbrev_co_u32_e32 v9, vcc, 0, v9, vcc
	v_lshl_add_u64 v[10:11], v[8:9], 0, v[2:3]
	v_mad_u64_u32 v[22:23], s[0:1], v10, s6, v[6:7]
	s_waitcnt vmcnt(0)
	v_subrev_co_u32_e32 v20, vcc, s16, v4
	v_mov_b32_e32 v4, v23
	s_nop 0
	v_subbrev_co_u32_e32 v21, vcc, 0, v5, vcc
	v_mad_u64_u32 v[4:5], s[0:1], v11, s6, v[4:5]
	v_mov_b32_e32 v23, v4
	v_cmp_lt_i64_e64 s[0:1], v[10:11], v[20:21]
	s_cbranch_scc1 .LBB170_21
; %bb.16:
	v_mov_b64_e32 v[4:5], 0
	s_mov_b64 s[6:7], 0
	v_mov_b64_e32 v[28:29], v[4:5]
	v_mov_b64_e32 v[8:9], v[4:5]
	;; [unrolled: 1-line block ×5, first 2 shown]
	s_and_saveexec_b64 s[10:11], s[0:1]
	s_cbranch_execz .LBB170_20
; %bb.17:
	v_mov_b64_e32 v[4:5], 0
	v_lshl_add_u64 v[30:31], v[10:11], 2, s[8:9]
	s_mov_b64 s[12:13], 0
	s_mov_b64 s[14:15], 0x120
	v_mov_b64_e32 v[32:33], v[10:11]
	v_mov_b64_e32 v[34:35], v[22:23]
	;; [unrolled: 1-line block ×7, first 2 shown]
.LBB170_18:                             ; =>This Inner Loop Header: Depth=1
	global_load_dword v1, v[30:31], off
	global_load_dwordx4 v[36:39], v[34:35], off
	global_load_dwordx4 v[40:43], v[34:35], off offset:16
	global_load_dwordx4 v[44:47], v[34:35], off offset:32
	;; [unrolled: 1-line block ×3, first 2 shown]
	global_load_dwordx2 v[64:65], v[34:35], off offset:64
	v_lshl_add_u64 v[32:33], v[32:33], 0, 4
	v_cmp_ge_i64_e32 vcc, v[32:33], v[20:21]
	v_lshl_add_u64 v[34:35], v[34:35], 0, s[14:15]
	v_lshl_add_u64 v[30:31], v[30:31], 0, 16
	s_or_b64 s[12:13], vcc, s[12:13]
	s_waitcnt vmcnt(5)
	v_subrev_u32_e32 v1, s16, v1
	v_lshl_add_u32 v52, v1, 1, v1
	v_ashrrev_i32_e32 v53, 31, v52
	s_waitcnt lgkmcnt(0)
	v_lshl_add_u64 v[66:67], v[52:53], 4, s[4:5]
	global_load_dwordx4 v[52:55], v[66:67], off
	global_load_dwordx4 v[56:59], v[66:67], off offset:16
	global_load_dwordx4 v[60:63], v[66:67], off offset:32
	s_waitcnt vmcnt(7)
	v_cvt_f64_f32_e32 v[66:67], v36
	v_cvt_f64_f32_e32 v[36:37], v37
	s_waitcnt vmcnt(6)
	v_cvt_f64_f32_e32 v[72:73], v42
	v_cvt_f64_f32_e32 v[42:43], v43
	;; [unrolled: 3-line block ×3, first 2 shown]
	v_cvt_f64_f32_e32 v[68:69], v38
	v_cvt_f64_f32_e32 v[38:39], v39
	;; [unrolled: 1-line block ×10, first 2 shown]
	s_waitcnt vmcnt(3)
	v_cvt_f64_f32_e32 v[82:83], v64
	v_cvt_f64_f32_e32 v[64:65], v65
	s_waitcnt vmcnt(2)
	v_fmac_f64_e32 v[28:29], v[66:67], v[52:53]
	v_fmac_f64_e32 v[4:5], v[36:37], v[52:53]
	v_fmac_f64_e32 v[26:27], v[72:73], v[52:53]
	v_fmac_f64_e32 v[8:9], v[42:43], v[52:53]
	v_fmac_f64_e32 v[24:25], v[78:79], v[52:53]
	v_fmac_f64_e32 v[6:7], v[48:49], v[52:53]
	v_fma_f64 v[28:29], -v[36:37], v[54:55], v[28:29]
	v_fmac_f64_e32 v[4:5], v[66:67], v[54:55]
	v_fma_f64 v[26:27], -v[42:43], v[54:55], v[26:27]
	v_fmac_f64_e32 v[8:9], v[72:73], v[54:55]
	v_fma_f64 v[24:25], -v[48:49], v[54:55], v[24:25]
	v_fmac_f64_e32 v[6:7], v[78:79], v[54:55]
	s_waitcnt vmcnt(1)
	v_fmac_f64_e32 v[28:29], v[68:69], v[56:57]
	v_fmac_f64_e32 v[4:5], v[38:39], v[56:57]
	v_fmac_f64_e32 v[26:27], v[74:75], v[56:57]
	v_fmac_f64_e32 v[8:9], v[44:45], v[56:57]
	v_fmac_f64_e32 v[24:25], v[80:81], v[56:57]
	v_fmac_f64_e32 v[6:7], v[50:51], v[56:57]
	v_fma_f64 v[28:29], -v[38:39], v[58:59], v[28:29]
	v_fmac_f64_e32 v[4:5], v[68:69], v[58:59]
	v_fma_f64 v[26:27], -v[44:45], v[58:59], v[26:27]
	v_fmac_f64_e32 v[8:9], v[74:75], v[58:59]
	v_fma_f64 v[24:25], -v[50:51], v[58:59], v[24:25]
	v_fmac_f64_e32 v[6:7], v[80:81], v[58:59]
	;; [unrolled: 13-line block ×3, first 2 shown]
	s_andn2_b64 exec, exec, s[12:13]
	s_cbranch_execnz .LBB170_18
; %bb.19:
	s_or_b64 exec, exec, s[12:13]
.LBB170_20:
	s_or_b64 exec, exec, s[10:11]
	s_andn2_b64 vcc, exec, s[6:7]
	s_cbranch_vccz .LBB170_22
	s_branch .LBB170_27
.LBB170_21:
                                        ; implicit-def: $vgpr4_vgpr5
                                        ; implicit-def: $vgpr28_vgpr29
                                        ; implicit-def: $vgpr8_vgpr9
                                        ; implicit-def: $vgpr26_vgpr27
                                        ; implicit-def: $vgpr6_vgpr7
                                        ; implicit-def: $vgpr24_vgpr25
.LBB170_22:
	v_mov_b64_e32 v[4:5], 0
	v_mov_b64_e32 v[28:29], v[4:5]
	;; [unrolled: 1-line block ×6, first 2 shown]
	s_and_saveexec_b64 s[6:7], s[0:1]
	s_cbranch_execz .LBB170_26
; %bb.23:
	v_mov_b64_e32 v[4:5], 0
	v_lshl_add_u64 v[30:31], v[10:11], 2, s[8:9]
	s_mov_b64 s[0:1], 0
	s_mov_b64 s[8:9], 0x120
	v_mov_b64_e32 v[28:29], v[4:5]
	v_mov_b64_e32 v[8:9], v[4:5]
	;; [unrolled: 1-line block ×5, first 2 shown]
.LBB170_24:                             ; =>This Inner Loop Header: Depth=1
	global_load_dword v1, v[30:31], off
	global_load_dwordx4 v[32:35], v[22:23], off
	global_load_dwordx4 v[36:39], v[22:23], off offset:16
	global_load_dwordx4 v[40:43], v[22:23], off offset:32
	global_load_dwordx4 v[44:47], v[22:23], off offset:48
	global_load_dwordx2 v[60:61], v[22:23], off offset:64
	v_lshl_add_u64 v[10:11], v[10:11], 0, 4
	v_cmp_ge_i64_e32 vcc, v[10:11], v[20:21]
	v_lshl_add_u64 v[22:23], v[22:23], 0, s[8:9]
	v_lshl_add_u64 v[30:31], v[30:31], 0, 16
	s_or_b64 s[0:1], vcc, s[0:1]
	s_waitcnt vmcnt(5)
	v_subrev_u32_e32 v1, s16, v1
	v_lshl_add_u32 v48, v1, 1, v1
	v_ashrrev_i32_e32 v49, 31, v48
	s_waitcnt lgkmcnt(0)
	v_lshl_add_u64 v[62:63], v[48:49], 4, s[4:5]
	global_load_dwordx4 v[48:51], v[62:63], off
	global_load_dwordx4 v[52:55], v[62:63], off offset:16
	global_load_dwordx4 v[56:59], v[62:63], off offset:32
	s_waitcnt vmcnt(7)
	v_cvt_f64_f32_e32 v[62:63], v32
	v_cvt_f64_f32_e32 v[32:33], v33
	v_cvt_f64_f32_e32 v[64:65], v34
	v_cvt_f64_f32_e32 v[34:35], v35
	s_waitcnt vmcnt(6)
	v_cvt_f64_f32_e32 v[66:67], v36
	v_cvt_f64_f32_e32 v[36:37], v37
	v_cvt_f64_f32_e32 v[68:69], v38
	v_cvt_f64_f32_e32 v[38:39], v39
	;; [unrolled: 5-line block ×4, first 2 shown]
	s_waitcnt vmcnt(3)
	v_cvt_f64_f32_e32 v[78:79], v60
	v_cvt_f64_f32_e32 v[60:61], v61
	s_waitcnt vmcnt(2)
	v_fmac_f64_e32 v[28:29], v[62:63], v[48:49]
	v_fmac_f64_e32 v[4:5], v[32:33], v[48:49]
	v_fmac_f64_e32 v[26:27], v[64:65], v[48:49]
	v_fmac_f64_e32 v[8:9], v[34:35], v[48:49]
	v_fmac_f64_e32 v[24:25], v[66:67], v[48:49]
	v_fmac_f64_e32 v[6:7], v[36:37], v[48:49]
	v_fma_f64 v[28:29], -v[32:33], v[50:51], v[28:29]
	v_fmac_f64_e32 v[4:5], v[62:63], v[50:51]
	v_fma_f64 v[26:27], -v[34:35], v[50:51], v[26:27]
	v_fmac_f64_e32 v[8:9], v[64:65], v[50:51]
	v_fma_f64 v[24:25], -v[36:37], v[50:51], v[24:25]
	v_fmac_f64_e32 v[6:7], v[66:67], v[50:51]
	s_waitcnt vmcnt(1)
	v_fmac_f64_e32 v[28:29], v[68:69], v[52:53]
	v_fmac_f64_e32 v[4:5], v[38:39], v[52:53]
	v_fmac_f64_e32 v[26:27], v[70:71], v[52:53]
	v_fmac_f64_e32 v[8:9], v[40:41], v[52:53]
	v_fmac_f64_e32 v[24:25], v[72:73], v[52:53]
	v_fmac_f64_e32 v[6:7], v[42:43], v[52:53]
	v_fma_f64 v[28:29], -v[38:39], v[54:55], v[28:29]
	v_fmac_f64_e32 v[4:5], v[68:69], v[54:55]
	v_fma_f64 v[26:27], -v[40:41], v[54:55], v[26:27]
	v_fmac_f64_e32 v[8:9], v[70:71], v[54:55]
	v_fma_f64 v[24:25], -v[42:43], v[54:55], v[24:25]
	v_fmac_f64_e32 v[6:7], v[72:73], v[54:55]
	;; [unrolled: 13-line block ×3, first 2 shown]
	s_andn2_b64 exec, exec, s[0:1]
	s_cbranch_execnz .LBB170_24
; %bb.25:
	s_or_b64 exec, exec, s[0:1]
.LBB170_26:
	s_or_b64 exec, exec, s[6:7]
.LBB170_27:
	v_mov_b32_dpp v10, v28 row_shr:1 row_mask:0xf bank_mask:0xf
	v_mov_b32_dpp v11, v29 row_shr:1 row_mask:0xf bank_mask:0xf
	v_add_f64 v[10:11], v[28:29], v[10:11]
	v_mov_b32_dpp v22, v4 row_shr:1 row_mask:0xf bank_mask:0xf
	v_mov_b32_dpp v23, v5 row_shr:1 row_mask:0xf bank_mask:0xf
	;; [unrolled: 1-line block ×10, first 2 shown]
	v_add_f64 v[4:5], v[4:5], v[22:23]
	v_add_f64 v[26:27], v[26:27], v[28:29]
	;; [unrolled: 1-line block ×5, first 2 shown]
	v_mov_b32_dpp v20, v10 row_shr:2 row_mask:0xf bank_mask:0xf
	v_mov_b32_dpp v21, v11 row_shr:2 row_mask:0xf bank_mask:0xf
	;; [unrolled: 1-line block ×12, first 2 shown]
	v_cmp_eq_u32_e32 vcc, 3, v2
	s_and_b64 exec, exec, vcc
	s_cbranch_execz .LBB170_12
; %bb.28:
	s_load_dwordx2 s[2:3], s[2:3], 0x60
	v_add_f64 v[2:3], v[4:5], v[22:23]
	v_add_f64 v[22:23], v[26:27], v[28:29]
	;; [unrolled: 1-line block ×6, first 2 shown]
	v_cmp_eq_f64_e32 vcc, 0, v[12:13]
	v_cmp_eq_f64_e64 s[0:1], 0, v[14:15]
	v_mul_f64 v[8:9], v[2:3], -v[18:19]
	v_mul_f64 v[10:11], v[16:17], v[2:3]
	v_lshl_add_u32 v20, v0, 1, v0
	v_mul_f64 v[4:5], v[26:27], -v[18:19]
	v_mul_f64 v[6:7], v[16:17], v[26:27]
	v_mul_f64 v[0:1], v[28:29], -v[18:19]
	v_mul_f64 v[2:3], v[16:17], v[28:29]
	s_and_b64 s[0:1], vcc, s[0:1]
	v_fmac_f64_e32 v[8:9], v[16:17], v[36:37]
	v_fmac_f64_e32 v[10:11], v[18:19], v[36:37]
	v_ashrrev_i32_e32 v21, 31, v20
	v_fmac_f64_e32 v[4:5], v[16:17], v[22:23]
	v_fmac_f64_e32 v[6:7], v[18:19], v[22:23]
	;; [unrolled: 1-line block ×4, first 2 shown]
	s_waitcnt lgkmcnt(0)
	s_and_saveexec_b64 s[4:5], s[0:1]
	s_xor_b64 s[0:1], exec, s[4:5]
	s_cbranch_execz .LBB170_30
; %bb.29:
	v_lshl_add_u64 v[12:13], v[20:21], 4, s[2:3]
	global_store_dwordx4 v[12:13], v[8:11], off
	global_store_dwordx4 v[12:13], v[4:7], off offset:16
	global_store_dwordx4 v[12:13], v[0:3], off offset:32
                                        ; implicit-def: $vgpr12_vgpr13
                                        ; implicit-def: $vgpr14_vgpr15
                                        ; implicit-def: $vgpr20
                                        ; implicit-def: $vgpr8_vgpr9
                                        ; implicit-def: $vgpr4_vgpr5
                                        ; implicit-def: $vgpr0_vgpr1
.LBB170_30:
	s_andn2_saveexec_b64 s[0:1], s[0:1]
	s_cbranch_execz .LBB170_12
; %bb.31:
	v_lshl_add_u64 v[28:29], v[20:21], 4, s[2:3]
	global_load_dwordx4 v[16:19], v[28:29], off
	global_load_dwordx4 v[20:23], v[28:29], off offset:16
	global_load_dwordx4 v[24:27], v[28:29], off offset:32
	s_waitcnt vmcnt(2)
	v_fmac_f64_e32 v[8:9], v[12:13], v[16:17]
	v_fmac_f64_e32 v[10:11], v[14:15], v[16:17]
	s_waitcnt vmcnt(1)
	v_fmac_f64_e32 v[4:5], v[12:13], v[20:21]
	v_fmac_f64_e32 v[6:7], v[14:15], v[20:21]
	s_waitcnt vmcnt(0)
	v_fmac_f64_e32 v[0:1], v[12:13], v[24:25]
	v_fmac_f64_e32 v[2:3], v[14:15], v[24:25]
	v_fma_f64 v[8:9], -v[14:15], v[18:19], v[8:9]
	v_fmac_f64_e32 v[10:11], v[12:13], v[18:19]
	v_fma_f64 v[4:5], -v[14:15], v[22:23], v[4:5]
	v_fmac_f64_e32 v[6:7], v[12:13], v[22:23]
	;; [unrolled: 2-line block ×3, first 2 shown]
	global_store_dwordx4 v[28:29], v[8:11], off
	global_store_dwordx4 v[28:29], v[4:7], off offset:16
	global_store_dwordx4 v[28:29], v[0:3], off offset:32
	s_endpgm
	.section	.rodata,"a",@progbits
	.p2align	6, 0x0
	.amdhsa_kernel _ZN9rocsparseL18bsrxmvn_3x3_kernelILj256ELj4E21rocsparse_complex_numIdEliS1_IfES2_S2_EEvT3_20rocsparse_direction_NS_24const_host_device_scalarIT1_EES4_PKS4_PKT2_SD_SA_PKT4_PKT5_S8_PT6_21rocsparse_index_base_b
		.amdhsa_group_segment_fixed_size 4096
		.amdhsa_private_segment_fixed_size 0
		.amdhsa_kernarg_size 112
		.amdhsa_user_sgpr_count 4
		.amdhsa_user_sgpr_dispatch_ptr 1
		.amdhsa_user_sgpr_queue_ptr 0
		.amdhsa_user_sgpr_kernarg_segment_ptr 1
		.amdhsa_user_sgpr_dispatch_id 0
		.amdhsa_user_sgpr_kernarg_preload_length 0
		.amdhsa_user_sgpr_kernarg_preload_offset 0
		.amdhsa_user_sgpr_private_segment_size 0
		.amdhsa_uses_dynamic_stack 0
		.amdhsa_enable_private_segment 0
		.amdhsa_system_sgpr_workgroup_id_x 1
		.amdhsa_system_sgpr_workgroup_id_y 0
		.amdhsa_system_sgpr_workgroup_id_z 0
		.amdhsa_system_sgpr_workgroup_info 0
		.amdhsa_system_vgpr_workitem_id 2
		.amdhsa_next_free_vgpr 84
		.amdhsa_next_free_sgpr 20
		.amdhsa_accum_offset 84
		.amdhsa_reserve_vcc 1
		.amdhsa_float_round_mode_32 0
		.amdhsa_float_round_mode_16_64 0
		.amdhsa_float_denorm_mode_32 3
		.amdhsa_float_denorm_mode_16_64 3
		.amdhsa_dx10_clamp 1
		.amdhsa_ieee_mode 1
		.amdhsa_fp16_overflow 0
		.amdhsa_tg_split 0
		.amdhsa_exception_fp_ieee_invalid_op 0
		.amdhsa_exception_fp_denorm_src 0
		.amdhsa_exception_fp_ieee_div_zero 0
		.amdhsa_exception_fp_ieee_overflow 0
		.amdhsa_exception_fp_ieee_underflow 0
		.amdhsa_exception_fp_ieee_inexact 0
		.amdhsa_exception_int_div_zero 0
	.end_amdhsa_kernel
	.section	.text._ZN9rocsparseL18bsrxmvn_3x3_kernelILj256ELj4E21rocsparse_complex_numIdEliS1_IfES2_S2_EEvT3_20rocsparse_direction_NS_24const_host_device_scalarIT1_EES4_PKS4_PKT2_SD_SA_PKT4_PKT5_S8_PT6_21rocsparse_index_base_b,"axG",@progbits,_ZN9rocsparseL18bsrxmvn_3x3_kernelILj256ELj4E21rocsparse_complex_numIdEliS1_IfES2_S2_EEvT3_20rocsparse_direction_NS_24const_host_device_scalarIT1_EES4_PKS4_PKT2_SD_SA_PKT4_PKT5_S8_PT6_21rocsparse_index_base_b,comdat
.Lfunc_end170:
	.size	_ZN9rocsparseL18bsrxmvn_3x3_kernelILj256ELj4E21rocsparse_complex_numIdEliS1_IfES2_S2_EEvT3_20rocsparse_direction_NS_24const_host_device_scalarIT1_EES4_PKS4_PKT2_SD_SA_PKT4_PKT5_S8_PT6_21rocsparse_index_base_b, .Lfunc_end170-_ZN9rocsparseL18bsrxmvn_3x3_kernelILj256ELj4E21rocsparse_complex_numIdEliS1_IfES2_S2_EEvT3_20rocsparse_direction_NS_24const_host_device_scalarIT1_EES4_PKS4_PKT2_SD_SA_PKT4_PKT5_S8_PT6_21rocsparse_index_base_b
                                        ; -- End function
	.section	.AMDGPU.csdata,"",@progbits
; Kernel info:
; codeLenInByte = 2280
; NumSgprs: 26
; NumVgprs: 84
; NumAgprs: 0
; TotalNumVgprs: 84
; ScratchSize: 0
; MemoryBound: 0
; FloatMode: 240
; IeeeMode: 1
; LDSByteSize: 4096 bytes/workgroup (compile time only)
; SGPRBlocks: 3
; VGPRBlocks: 10
; NumSGPRsForWavesPerEU: 26
; NumVGPRsForWavesPerEU: 84
; AccumOffset: 84
; Occupancy: 5
; WaveLimiterHint : 1
; COMPUTE_PGM_RSRC2:SCRATCH_EN: 0
; COMPUTE_PGM_RSRC2:USER_SGPR: 4
; COMPUTE_PGM_RSRC2:TRAP_HANDLER: 0
; COMPUTE_PGM_RSRC2:TGID_X_EN: 1
; COMPUTE_PGM_RSRC2:TGID_Y_EN: 0
; COMPUTE_PGM_RSRC2:TGID_Z_EN: 0
; COMPUTE_PGM_RSRC2:TIDIG_COMP_CNT: 2
; COMPUTE_PGM_RSRC3_GFX90A:ACCUM_OFFSET: 20
; COMPUTE_PGM_RSRC3_GFX90A:TG_SPLIT: 0
	.section	.text._ZN9rocsparseL18bsrxmvn_3x3_kernelILj256ELj8E21rocsparse_complex_numIdEliS1_IfES2_S2_EEvT3_20rocsparse_direction_NS_24const_host_device_scalarIT1_EES4_PKS4_PKT2_SD_SA_PKT4_PKT5_S8_PT6_21rocsparse_index_base_b,"axG",@progbits,_ZN9rocsparseL18bsrxmvn_3x3_kernelILj256ELj8E21rocsparse_complex_numIdEliS1_IfES2_S2_EEvT3_20rocsparse_direction_NS_24const_host_device_scalarIT1_EES4_PKS4_PKT2_SD_SA_PKT4_PKT5_S8_PT6_21rocsparse_index_base_b,comdat
	.globl	_ZN9rocsparseL18bsrxmvn_3x3_kernelILj256ELj8E21rocsparse_complex_numIdEliS1_IfES2_S2_EEvT3_20rocsparse_direction_NS_24const_host_device_scalarIT1_EES4_PKS4_PKT2_SD_SA_PKT4_PKT5_S8_PT6_21rocsparse_index_base_b ; -- Begin function _ZN9rocsparseL18bsrxmvn_3x3_kernelILj256ELj8E21rocsparse_complex_numIdEliS1_IfES2_S2_EEvT3_20rocsparse_direction_NS_24const_host_device_scalarIT1_EES4_PKS4_PKT2_SD_SA_PKT4_PKT5_S8_PT6_21rocsparse_index_base_b
	.p2align	8
	.type	_ZN9rocsparseL18bsrxmvn_3x3_kernelILj256ELj8E21rocsparse_complex_numIdEliS1_IfES2_S2_EEvT3_20rocsparse_direction_NS_24const_host_device_scalarIT1_EES4_PKS4_PKT2_SD_SA_PKT4_PKT5_S8_PT6_21rocsparse_index_base_b,@function
_ZN9rocsparseL18bsrxmvn_3x3_kernelILj256ELj8E21rocsparse_complex_numIdEliS1_IfES2_S2_EEvT3_20rocsparse_direction_NS_24const_host_device_scalarIT1_EES4_PKS4_PKT2_SD_SA_PKT4_PKT5_S8_PT6_21rocsparse_index_base_b: ; @_ZN9rocsparseL18bsrxmvn_3x3_kernelILj256ELj8E21rocsparse_complex_numIdEliS1_IfES2_S2_EEvT3_20rocsparse_direction_NS_24const_host_device_scalarIT1_EES4_PKS4_PKT2_SD_SA_PKT4_PKT5_S8_PT6_21rocsparse_index_base_b
; %bb.0:
	s_load_dwordx2 s[16:17], s[2:3], 0x68
	s_load_dwordx4 s[8:11], s[2:3], 0x8
	s_load_dwordx2 s[18:19], s[0:1], 0x4
	s_load_dwordx4 s[12:15], s[2:3], 0x50
	s_mov_b64 s[6:7], src_shared_base
	v_and_b32_e32 v2, 0x3ff, v0
	s_waitcnt lgkmcnt(0)
	s_bitcmp1_b32 s17, 0
	s_cselect_b64 s[0:1], -1, 0
	s_and_b64 vcc, s[0:1], exec
	s_cselect_b32 s5, s7, s9
	s_lshr_b32 s6, s18, 16
	s_mul_i32 s6, s6, s19
	v_mul_lo_u32 v3, s6, v2
	v_bfe_u32 v4, v0, 10, 10
	v_mad_u32_u24 v3, v4, s19, v3
	v_bfe_u32 v0, v0, 20, 10
	v_add_lshl_u32 v0, v3, v0, 3
	v_mov_b32_e32 v1, s8
	v_add_u32_e32 v3, 0x800, v0
	v_mov_b64_e32 v[4:5], s[8:9]
	v_mov_b64_e32 v[6:7], s[12:13]
	ds_write2st64_b64 v0, v[6:7], v[4:5] offset1:4
	v_cndmask_b32_e64 v4, v1, v3, s[0:1]
	v_mov_b32_e32 v5, s5
	flat_load_dwordx2 v[16:17], v[4:5]
	s_xor_b64 s[18:19], s[0:1], -1
	v_mov_b64_e32 v[18:19], s[10:11]
	s_cbranch_vccnz .LBB171_2
; %bb.1:
	v_mov_b64_e32 v[4:5], s[8:9]
	flat_load_dwordx2 v[18:19], v[4:5] offset:8
.LBB171_2:
	s_and_b64 s[8:9], s[0:1], exec
	s_cselect_b32 s5, s7, s13
	v_mov_b32_e32 v1, s12
	v_cndmask_b32_e64 v0, v1, v0, s[0:1]
	v_mov_b32_e32 v1, s5
	flat_load_dwordx2 v[12:13], v[0:1]
	s_andn2_b64 vcc, exec, s[18:19]
	v_mov_b64_e32 v[14:15], s[14:15]
	s_cbranch_vccnz .LBB171_4
; %bb.3:
	v_mov_b64_e32 v[0:1], s[12:13]
	flat_load_dwordx2 v[14:15], v[0:1] offset:8
.LBB171_4:
	s_waitcnt vmcnt(0) lgkmcnt(0)
	v_cmp_eq_f64_e32 vcc, 0, v[16:17]
	v_cmp_eq_f64_e64 s[0:1], 0, v[18:19]
	s_and_b64 s[8:9], vcc, s[0:1]
	s_mov_b64 s[0:1], -1
	s_and_saveexec_b64 s[6:7], s[8:9]
; %bb.5:
	v_cmp_neq_f64_e32 vcc, 1.0, v[12:13]
	v_cmp_neq_f64_e64 s[0:1], 0, v[14:15]
	s_or_b64 s[0:1], vcc, s[0:1]
	s_orn2_b64 s[0:1], s[0:1], exec
; %bb.6:
	s_or_b64 exec, exec, s[6:7]
	s_and_saveexec_b64 s[6:7], s[0:1]
	s_cbranch_execz .LBB171_12
; %bb.7:
	s_load_dwordx2 s[6:7], s[2:3], 0x20
	s_load_dwordx2 s[0:1], s[2:3], 0x0
	v_lshrrev_b32_e32 v0, 3, v2
	v_lshl_or_b32 v0, s4, 5, v0
	s_mov_b64 s[4:5], 0
	s_waitcnt lgkmcnt(0)
	s_cmp_lg_u64 s[6:7], 0
	s_cbranch_scc0 .LBB171_13
; %bb.8:
	s_load_dword s8, s[2:3], 0x18
                                        ; implicit-def: $vgpr1
	s_waitcnt lgkmcnt(0)
	v_cmp_gt_i32_e32 vcc, s8, v0
	s_and_saveexec_b64 s[8:9], vcc
	s_xor_b64 s[8:9], exec, s[8:9]
	s_cbranch_execz .LBB171_10
; %bb.9:
	v_ashrrev_i32_e32 v1, 31, v0
	v_lshl_add_u64 v[4:5], v[0:1], 2, s[6:7]
	global_load_dword v1, v[4:5], off
	s_mov_b64 s[4:5], exec
	s_waitcnt vmcnt(0)
	v_subrev_u32_e32 v1, s16, v1
.LBB171_10:
	s_or_b64 exec, exec, s[8:9]
	s_branch .LBB171_14
.LBB171_11:
	v_cmp_gt_i32_e32 vcc, s0, v0
	s_andn2_b64 s[4:5], s[4:5], exec
	s_and_b64 s[6:7], vcc, exec
	s_or_b64 s[4:5], s[4:5], s[6:7]
	s_and_b64 exec, exec, s[4:5]
	s_cbranch_execnz .LBB171_15
.LBB171_12:
	s_endpgm
.LBB171_13:
                                        ; implicit-def: $vgpr1
	s_cbranch_execnz .LBB171_11
.LBB171_14:
	v_mov_b32_e32 v0, v1
	s_and_b64 exec, exec, s[4:5]
	s_cbranch_execz .LBB171_12
.LBB171_15:
	s_load_dwordx8 s[4:11], s[2:3], 0x28
	v_ashrrev_i32_e32 v1, 31, v0
	v_lshlrev_b64 v[4:5], 3, v[0:1]
	v_and_b32_e32 v2, 7, v2
	v_mov_b32_e32 v3, 0
	s_waitcnt lgkmcnt(0)
	v_lshl_add_u64 v[6:7], s[4:5], 0, v[4:5]
	global_load_dwordx2 v[8:9], v[6:7], off
	s_cmp_eq_u64 s[6:7], 0
	v_lshl_add_u64 v[4:5], s[6:7], 0, v[4:5]
	v_lshl_add_u64 v[6:7], v[6:7], 0, 8
	s_cselect_b64 vcc, -1, 0
	v_cndmask_b32_e32 v5, v5, v7, vcc
	v_cndmask_b32_e32 v4, v4, v6, vcc
	global_load_dwordx2 v[4:5], v[4:5], off
	s_load_dwordx2 s[4:5], s[2:3], 0x48
	s_movk_i32 s6, 0x48
	v_mov_b64_e32 v[6:7], s[10:11]
	s_cmp_eq_u32 s1, 1
	s_waitcnt vmcnt(1)
	v_subrev_co_u32_e32 v8, vcc, s16, v8
	s_nop 1
	v_subbrev_co_u32_e32 v9, vcc, 0, v9, vcc
	v_lshl_add_u64 v[10:11], v[8:9], 0, v[2:3]
	v_mad_u64_u32 v[22:23], s[0:1], v10, s6, v[6:7]
	s_waitcnt vmcnt(0)
	v_subrev_co_u32_e32 v20, vcc, s16, v4
	v_mov_b32_e32 v4, v23
	s_nop 0
	v_subbrev_co_u32_e32 v21, vcc, 0, v5, vcc
	v_mad_u64_u32 v[4:5], s[0:1], v11, s6, v[4:5]
	v_mov_b32_e32 v23, v4
	v_cmp_lt_i64_e64 s[0:1], v[10:11], v[20:21]
	s_cbranch_scc1 .LBB171_21
; %bb.16:
	v_mov_b64_e32 v[6:7], 0
	s_mov_b64 s[6:7], 0
	v_mov_b64_e32 v[28:29], v[6:7]
	v_mov_b64_e32 v[8:9], v[6:7]
	;; [unrolled: 1-line block ×5, first 2 shown]
	s_and_saveexec_b64 s[10:11], s[0:1]
	s_cbranch_execz .LBB171_20
; %bb.17:
	v_mov_b64_e32 v[6:7], 0
	v_lshl_add_u64 v[30:31], v[10:11], 2, s[8:9]
	s_mov_b64 s[12:13], 0
	s_mov_b64 s[14:15], 0x240
	v_mov_b64_e32 v[32:33], v[10:11]
	v_mov_b64_e32 v[34:35], v[22:23]
	;; [unrolled: 1-line block ×7, first 2 shown]
.LBB171_18:                             ; =>This Inner Loop Header: Depth=1
	global_load_dword v1, v[30:31], off
	global_load_dwordx4 v[36:39], v[34:35], off
	global_load_dwordx4 v[40:43], v[34:35], off offset:16
	global_load_dwordx4 v[44:47], v[34:35], off offset:32
	global_load_dwordx4 v[48:51], v[34:35], off offset:48
	global_load_dwordx2 v[64:65], v[34:35], off offset:64
	v_lshl_add_u64 v[32:33], v[32:33], 0, 8
	v_cmp_ge_i64_e32 vcc, v[32:33], v[20:21]
	v_lshl_add_u64 v[34:35], v[34:35], 0, s[14:15]
	v_lshl_add_u64 v[30:31], v[30:31], 0, 32
	s_or_b64 s[12:13], vcc, s[12:13]
	s_waitcnt vmcnt(5)
	v_subrev_u32_e32 v1, s16, v1
	v_lshl_add_u32 v52, v1, 1, v1
	v_ashrrev_i32_e32 v53, 31, v52
	s_waitcnt lgkmcnt(0)
	v_lshl_add_u64 v[66:67], v[52:53], 4, s[4:5]
	global_load_dwordx4 v[52:55], v[66:67], off
	global_load_dwordx4 v[56:59], v[66:67], off offset:16
	global_load_dwordx4 v[60:63], v[66:67], off offset:32
	s_waitcnt vmcnt(7)
	v_cvt_f64_f32_e32 v[66:67], v36
	v_cvt_f64_f32_e32 v[36:37], v37
	s_waitcnt vmcnt(6)
	v_cvt_f64_f32_e32 v[72:73], v42
	v_cvt_f64_f32_e32 v[42:43], v43
	s_waitcnt vmcnt(4)
	v_cvt_f64_f32_e32 v[78:79], v48
	v_cvt_f64_f32_e32 v[48:49], v49
	v_cvt_f64_f32_e32 v[68:69], v38
	v_cvt_f64_f32_e32 v[38:39], v39
	v_cvt_f64_f32_e32 v[74:75], v44
	v_cvt_f64_f32_e32 v[44:45], v45
	v_cvt_f64_f32_e32 v[80:81], v50
	v_cvt_f64_f32_e32 v[50:51], v51
	v_cvt_f64_f32_e32 v[70:71], v40
	v_cvt_f64_f32_e32 v[40:41], v41
	v_cvt_f64_f32_e32 v[76:77], v46
	v_cvt_f64_f32_e32 v[46:47], v47
	s_waitcnt vmcnt(3)
	v_cvt_f64_f32_e32 v[82:83], v64
	v_cvt_f64_f32_e32 v[64:65], v65
	s_waitcnt vmcnt(2)
	v_fmac_f64_e32 v[28:29], v[66:67], v[52:53]
	v_fmac_f64_e32 v[6:7], v[36:37], v[52:53]
	v_fmac_f64_e32 v[26:27], v[72:73], v[52:53]
	v_fmac_f64_e32 v[8:9], v[42:43], v[52:53]
	v_fmac_f64_e32 v[24:25], v[78:79], v[52:53]
	v_fmac_f64_e32 v[4:5], v[48:49], v[52:53]
	v_fma_f64 v[28:29], -v[36:37], v[54:55], v[28:29]
	v_fmac_f64_e32 v[6:7], v[66:67], v[54:55]
	v_fma_f64 v[26:27], -v[42:43], v[54:55], v[26:27]
	v_fmac_f64_e32 v[8:9], v[72:73], v[54:55]
	v_fma_f64 v[24:25], -v[48:49], v[54:55], v[24:25]
	v_fmac_f64_e32 v[4:5], v[78:79], v[54:55]
	s_waitcnt vmcnt(1)
	v_fmac_f64_e32 v[28:29], v[68:69], v[56:57]
	v_fmac_f64_e32 v[6:7], v[38:39], v[56:57]
	v_fmac_f64_e32 v[26:27], v[74:75], v[56:57]
	v_fmac_f64_e32 v[8:9], v[44:45], v[56:57]
	v_fmac_f64_e32 v[24:25], v[80:81], v[56:57]
	v_fmac_f64_e32 v[4:5], v[50:51], v[56:57]
	v_fma_f64 v[28:29], -v[38:39], v[58:59], v[28:29]
	v_fmac_f64_e32 v[6:7], v[68:69], v[58:59]
	v_fma_f64 v[26:27], -v[44:45], v[58:59], v[26:27]
	v_fmac_f64_e32 v[8:9], v[74:75], v[58:59]
	v_fma_f64 v[24:25], -v[50:51], v[58:59], v[24:25]
	v_fmac_f64_e32 v[4:5], v[80:81], v[58:59]
	;; [unrolled: 13-line block ×3, first 2 shown]
	s_andn2_b64 exec, exec, s[12:13]
	s_cbranch_execnz .LBB171_18
; %bb.19:
	s_or_b64 exec, exec, s[12:13]
.LBB171_20:
	s_or_b64 exec, exec, s[10:11]
	s_andn2_b64 vcc, exec, s[6:7]
	s_cbranch_vccz .LBB171_22
	s_branch .LBB171_27
.LBB171_21:
                                        ; implicit-def: $vgpr6_vgpr7
                                        ; implicit-def: $vgpr28_vgpr29
                                        ; implicit-def: $vgpr8_vgpr9
                                        ; implicit-def: $vgpr26_vgpr27
                                        ; implicit-def: $vgpr4_vgpr5
                                        ; implicit-def: $vgpr24_vgpr25
.LBB171_22:
	v_mov_b64_e32 v[6:7], 0
	v_mov_b64_e32 v[28:29], v[6:7]
	;; [unrolled: 1-line block ×6, first 2 shown]
	s_and_saveexec_b64 s[6:7], s[0:1]
	s_cbranch_execz .LBB171_26
; %bb.23:
	v_mov_b64_e32 v[6:7], 0
	v_lshl_add_u64 v[30:31], v[10:11], 2, s[8:9]
	s_mov_b64 s[0:1], 0
	s_mov_b64 s[8:9], 0x240
	v_mov_b64_e32 v[28:29], v[6:7]
	v_mov_b64_e32 v[8:9], v[6:7]
	;; [unrolled: 1-line block ×5, first 2 shown]
.LBB171_24:                             ; =>This Inner Loop Header: Depth=1
	global_load_dword v1, v[30:31], off
	global_load_dwordx4 v[32:35], v[22:23], off
	global_load_dwordx4 v[36:39], v[22:23], off offset:16
	global_load_dwordx4 v[40:43], v[22:23], off offset:32
	;; [unrolled: 1-line block ×3, first 2 shown]
	global_load_dwordx2 v[60:61], v[22:23], off offset:64
	v_lshl_add_u64 v[10:11], v[10:11], 0, 8
	v_cmp_ge_i64_e32 vcc, v[10:11], v[20:21]
	v_lshl_add_u64 v[22:23], v[22:23], 0, s[8:9]
	v_lshl_add_u64 v[30:31], v[30:31], 0, 32
	s_or_b64 s[0:1], vcc, s[0:1]
	s_waitcnt vmcnt(5)
	v_subrev_u32_e32 v1, s16, v1
	v_lshl_add_u32 v48, v1, 1, v1
	v_ashrrev_i32_e32 v49, 31, v48
	s_waitcnt lgkmcnt(0)
	v_lshl_add_u64 v[62:63], v[48:49], 4, s[4:5]
	global_load_dwordx4 v[48:51], v[62:63], off
	global_load_dwordx4 v[52:55], v[62:63], off offset:16
	global_load_dwordx4 v[56:59], v[62:63], off offset:32
	s_waitcnt vmcnt(7)
	v_cvt_f64_f32_e32 v[62:63], v32
	v_cvt_f64_f32_e32 v[32:33], v33
	v_cvt_f64_f32_e32 v[64:65], v34
	v_cvt_f64_f32_e32 v[34:35], v35
	s_waitcnt vmcnt(6)
	v_cvt_f64_f32_e32 v[66:67], v36
	v_cvt_f64_f32_e32 v[36:37], v37
	v_cvt_f64_f32_e32 v[68:69], v38
	v_cvt_f64_f32_e32 v[38:39], v39
	;; [unrolled: 5-line block ×4, first 2 shown]
	s_waitcnt vmcnt(3)
	v_cvt_f64_f32_e32 v[78:79], v60
	v_cvt_f64_f32_e32 v[60:61], v61
	s_waitcnt vmcnt(2)
	v_fmac_f64_e32 v[28:29], v[62:63], v[48:49]
	v_fmac_f64_e32 v[6:7], v[32:33], v[48:49]
	v_fmac_f64_e32 v[26:27], v[64:65], v[48:49]
	v_fmac_f64_e32 v[8:9], v[34:35], v[48:49]
	v_fmac_f64_e32 v[24:25], v[66:67], v[48:49]
	v_fmac_f64_e32 v[4:5], v[36:37], v[48:49]
	v_fma_f64 v[28:29], -v[32:33], v[50:51], v[28:29]
	v_fmac_f64_e32 v[6:7], v[62:63], v[50:51]
	v_fma_f64 v[26:27], -v[34:35], v[50:51], v[26:27]
	v_fmac_f64_e32 v[8:9], v[64:65], v[50:51]
	v_fma_f64 v[24:25], -v[36:37], v[50:51], v[24:25]
	v_fmac_f64_e32 v[4:5], v[66:67], v[50:51]
	s_waitcnt vmcnt(1)
	v_fmac_f64_e32 v[28:29], v[68:69], v[52:53]
	v_fmac_f64_e32 v[6:7], v[38:39], v[52:53]
	v_fmac_f64_e32 v[26:27], v[70:71], v[52:53]
	v_fmac_f64_e32 v[8:9], v[40:41], v[52:53]
	v_fmac_f64_e32 v[24:25], v[72:73], v[52:53]
	v_fmac_f64_e32 v[4:5], v[42:43], v[52:53]
	v_fma_f64 v[28:29], -v[38:39], v[54:55], v[28:29]
	v_fmac_f64_e32 v[6:7], v[68:69], v[54:55]
	v_fma_f64 v[26:27], -v[40:41], v[54:55], v[26:27]
	v_fmac_f64_e32 v[8:9], v[70:71], v[54:55]
	v_fma_f64 v[24:25], -v[42:43], v[54:55], v[24:25]
	v_fmac_f64_e32 v[4:5], v[72:73], v[54:55]
	s_waitcnt vmcnt(0)
	v_fmac_f64_e32 v[28:29], v[74:75], v[56:57]
	v_fmac_f64_e32 v[6:7], v[44:45], v[56:57]
	v_fmac_f64_e32 v[26:27], v[76:77], v[56:57]
	v_fmac_f64_e32 v[8:9], v[46:47], v[56:57]
	v_fmac_f64_e32 v[24:25], v[78:79], v[56:57]
	v_fmac_f64_e32 v[4:5], v[60:61], v[56:57]
	v_fma_f64 v[28:29], -v[44:45], v[58:59], v[28:29]
	v_fmac_f64_e32 v[6:7], v[74:75], v[58:59]
	v_fma_f64 v[26:27], -v[46:47], v[58:59], v[26:27]
	v_fmac_f64_e32 v[8:9], v[76:77], v[58:59]
	v_fma_f64 v[24:25], -v[60:61], v[58:59], v[24:25]
	v_fmac_f64_e32 v[4:5], v[78:79], v[58:59]
	s_andn2_b64 exec, exec, s[0:1]
	s_cbranch_execnz .LBB171_24
; %bb.25:
	s_or_b64 exec, exec, s[0:1]
.LBB171_26:
	s_or_b64 exec, exec, s[6:7]
.LBB171_27:
	v_mov_b32_dpp v10, v28 row_shr:1 row_mask:0xf bank_mask:0xf
	v_mov_b32_dpp v11, v29 row_shr:1 row_mask:0xf bank_mask:0xf
	v_add_f64 v[10:11], v[28:29], v[10:11]
	v_mov_b32_dpp v22, v6 row_shr:1 row_mask:0xf bank_mask:0xf
	v_mov_b32_dpp v23, v7 row_shr:1 row_mask:0xf bank_mask:0xf
	;; [unrolled: 1-line block ×10, first 2 shown]
	v_add_f64 v[6:7], v[6:7], v[22:23]
	v_add_f64 v[26:27], v[26:27], v[28:29]
	;; [unrolled: 1-line block ×5, first 2 shown]
	v_mov_b32_dpp v20, v10 row_shr:2 row_mask:0xf bank_mask:0xf
	v_mov_b32_dpp v21, v11 row_shr:2 row_mask:0xf bank_mask:0xf
	;; [unrolled: 1-line block ×12, first 2 shown]
	v_add_f64 v[10:11], v[10:11], v[20:21]
	v_add_f64 v[6:7], v[6:7], v[22:23]
	;; [unrolled: 1-line block ×6, first 2 shown]
	v_mov_b32_dpp v20, v10 row_shr:4 row_mask:0xf bank_mask:0xe
	v_mov_b32_dpp v21, v11 row_shr:4 row_mask:0xf bank_mask:0xe
	;; [unrolled: 1-line block ×12, first 2 shown]
	v_cmp_eq_u32_e32 vcc, 7, v2
	s_and_b64 exec, exec, vcc
	s_cbranch_execz .LBB171_12
; %bb.28:
	s_load_dwordx2 s[2:3], s[2:3], 0x60
	v_add_f64 v[2:3], v[6:7], v[22:23]
	v_add_f64 v[22:23], v[26:27], v[28:29]
	;; [unrolled: 1-line block ×6, first 2 shown]
	v_cmp_eq_f64_e32 vcc, 0, v[12:13]
	v_cmp_eq_f64_e64 s[0:1], 0, v[14:15]
	v_mul_f64 v[8:9], v[2:3], -v[18:19]
	v_mul_f64 v[10:11], v[16:17], v[2:3]
	v_lshl_add_u32 v20, v0, 1, v0
	v_mul_f64 v[4:5], v[6:7], -v[18:19]
	v_mul_f64 v[6:7], v[16:17], v[6:7]
	v_mul_f64 v[0:1], v[26:27], -v[18:19]
	v_mul_f64 v[2:3], v[16:17], v[26:27]
	s_and_b64 s[0:1], vcc, s[0:1]
	v_fmac_f64_e32 v[8:9], v[16:17], v[36:37]
	v_fmac_f64_e32 v[10:11], v[18:19], v[36:37]
	v_ashrrev_i32_e32 v21, 31, v20
	v_fmac_f64_e32 v[4:5], v[16:17], v[22:23]
	v_fmac_f64_e32 v[6:7], v[18:19], v[22:23]
	v_fmac_f64_e32 v[0:1], v[16:17], v[24:25]
	v_fmac_f64_e32 v[2:3], v[18:19], v[24:25]
	s_waitcnt lgkmcnt(0)
	s_and_saveexec_b64 s[4:5], s[0:1]
	s_xor_b64 s[0:1], exec, s[4:5]
	s_cbranch_execz .LBB171_30
; %bb.29:
	v_lshl_add_u64 v[12:13], v[20:21], 4, s[2:3]
	global_store_dwordx4 v[12:13], v[8:11], off
	global_store_dwordx4 v[12:13], v[4:7], off offset:16
	global_store_dwordx4 v[12:13], v[0:3], off offset:32
                                        ; implicit-def: $vgpr12_vgpr13
                                        ; implicit-def: $vgpr14_vgpr15
                                        ; implicit-def: $vgpr20
                                        ; implicit-def: $vgpr8_vgpr9
                                        ; implicit-def: $vgpr4_vgpr5
                                        ; implicit-def: $vgpr0_vgpr1
.LBB171_30:
	s_andn2_saveexec_b64 s[0:1], s[0:1]
	s_cbranch_execz .LBB171_12
; %bb.31:
	v_lshl_add_u64 v[28:29], v[20:21], 4, s[2:3]
	global_load_dwordx4 v[16:19], v[28:29], off
	global_load_dwordx4 v[20:23], v[28:29], off offset:16
	global_load_dwordx4 v[24:27], v[28:29], off offset:32
	s_waitcnt vmcnt(2)
	v_fmac_f64_e32 v[8:9], v[12:13], v[16:17]
	v_fmac_f64_e32 v[10:11], v[14:15], v[16:17]
	s_waitcnt vmcnt(1)
	v_fmac_f64_e32 v[4:5], v[12:13], v[20:21]
	v_fmac_f64_e32 v[6:7], v[14:15], v[20:21]
	;; [unrolled: 3-line block ×3, first 2 shown]
	v_fma_f64 v[8:9], -v[14:15], v[18:19], v[8:9]
	v_fmac_f64_e32 v[10:11], v[12:13], v[18:19]
	v_fma_f64 v[4:5], -v[14:15], v[22:23], v[4:5]
	v_fmac_f64_e32 v[6:7], v[12:13], v[22:23]
	v_fma_f64 v[0:1], -v[14:15], v[26:27], v[0:1]
	v_fmac_f64_e32 v[2:3], v[12:13], v[26:27]
	global_store_dwordx4 v[28:29], v[8:11], off
	global_store_dwordx4 v[28:29], v[4:7], off offset:16
	global_store_dwordx4 v[28:29], v[0:3], off offset:32
	s_endpgm
	.section	.rodata,"a",@progbits
	.p2align	6, 0x0
	.amdhsa_kernel _ZN9rocsparseL18bsrxmvn_3x3_kernelILj256ELj8E21rocsparse_complex_numIdEliS1_IfES2_S2_EEvT3_20rocsparse_direction_NS_24const_host_device_scalarIT1_EES4_PKS4_PKT2_SD_SA_PKT4_PKT5_S8_PT6_21rocsparse_index_base_b
		.amdhsa_group_segment_fixed_size 4096
		.amdhsa_private_segment_fixed_size 0
		.amdhsa_kernarg_size 112
		.amdhsa_user_sgpr_count 4
		.amdhsa_user_sgpr_dispatch_ptr 1
		.amdhsa_user_sgpr_queue_ptr 0
		.amdhsa_user_sgpr_kernarg_segment_ptr 1
		.amdhsa_user_sgpr_dispatch_id 0
		.amdhsa_user_sgpr_kernarg_preload_length 0
		.amdhsa_user_sgpr_kernarg_preload_offset 0
		.amdhsa_user_sgpr_private_segment_size 0
		.amdhsa_uses_dynamic_stack 0
		.amdhsa_enable_private_segment 0
		.amdhsa_system_sgpr_workgroup_id_x 1
		.amdhsa_system_sgpr_workgroup_id_y 0
		.amdhsa_system_sgpr_workgroup_id_z 0
		.amdhsa_system_sgpr_workgroup_info 0
		.amdhsa_system_vgpr_workitem_id 2
		.amdhsa_next_free_vgpr 84
		.amdhsa_next_free_sgpr 20
		.amdhsa_accum_offset 84
		.amdhsa_reserve_vcc 1
		.amdhsa_float_round_mode_32 0
		.amdhsa_float_round_mode_16_64 0
		.amdhsa_float_denorm_mode_32 3
		.amdhsa_float_denorm_mode_16_64 3
		.amdhsa_dx10_clamp 1
		.amdhsa_ieee_mode 1
		.amdhsa_fp16_overflow 0
		.amdhsa_tg_split 0
		.amdhsa_exception_fp_ieee_invalid_op 0
		.amdhsa_exception_fp_denorm_src 0
		.amdhsa_exception_fp_ieee_div_zero 0
		.amdhsa_exception_fp_ieee_overflow 0
		.amdhsa_exception_fp_ieee_underflow 0
		.amdhsa_exception_fp_ieee_inexact 0
		.amdhsa_exception_int_div_zero 0
	.end_amdhsa_kernel
	.section	.text._ZN9rocsparseL18bsrxmvn_3x3_kernelILj256ELj8E21rocsparse_complex_numIdEliS1_IfES2_S2_EEvT3_20rocsparse_direction_NS_24const_host_device_scalarIT1_EES4_PKS4_PKT2_SD_SA_PKT4_PKT5_S8_PT6_21rocsparse_index_base_b,"axG",@progbits,_ZN9rocsparseL18bsrxmvn_3x3_kernelILj256ELj8E21rocsparse_complex_numIdEliS1_IfES2_S2_EEvT3_20rocsparse_direction_NS_24const_host_device_scalarIT1_EES4_PKS4_PKT2_SD_SA_PKT4_PKT5_S8_PT6_21rocsparse_index_base_b,comdat
.Lfunc_end171:
	.size	_ZN9rocsparseL18bsrxmvn_3x3_kernelILj256ELj8E21rocsparse_complex_numIdEliS1_IfES2_S2_EEvT3_20rocsparse_direction_NS_24const_host_device_scalarIT1_EES4_PKS4_PKT2_SD_SA_PKT4_PKT5_S8_PT6_21rocsparse_index_base_b, .Lfunc_end171-_ZN9rocsparseL18bsrxmvn_3x3_kernelILj256ELj8E21rocsparse_complex_numIdEliS1_IfES2_S2_EEvT3_20rocsparse_direction_NS_24const_host_device_scalarIT1_EES4_PKS4_PKT2_SD_SA_PKT4_PKT5_S8_PT6_21rocsparse_index_base_b
                                        ; -- End function
	.section	.AMDGPU.csdata,"",@progbits
; Kernel info:
; codeLenInByte = 2424
; NumSgprs: 26
; NumVgprs: 84
; NumAgprs: 0
; TotalNumVgprs: 84
; ScratchSize: 0
; MemoryBound: 0
; FloatMode: 240
; IeeeMode: 1
; LDSByteSize: 4096 bytes/workgroup (compile time only)
; SGPRBlocks: 3
; VGPRBlocks: 10
; NumSGPRsForWavesPerEU: 26
; NumVGPRsForWavesPerEU: 84
; AccumOffset: 84
; Occupancy: 5
; WaveLimiterHint : 1
; COMPUTE_PGM_RSRC2:SCRATCH_EN: 0
; COMPUTE_PGM_RSRC2:USER_SGPR: 4
; COMPUTE_PGM_RSRC2:TRAP_HANDLER: 0
; COMPUTE_PGM_RSRC2:TGID_X_EN: 1
; COMPUTE_PGM_RSRC2:TGID_Y_EN: 0
; COMPUTE_PGM_RSRC2:TGID_Z_EN: 0
; COMPUTE_PGM_RSRC2:TIDIG_COMP_CNT: 2
; COMPUTE_PGM_RSRC3_GFX90A:ACCUM_OFFSET: 20
; COMPUTE_PGM_RSRC3_GFX90A:TG_SPLIT: 0
	.section	.text._ZN9rocsparseL18bsrxmvn_3x3_kernelILj256ELj16E21rocsparse_complex_numIdEliS1_IfES2_S2_EEvT3_20rocsparse_direction_NS_24const_host_device_scalarIT1_EES4_PKS4_PKT2_SD_SA_PKT4_PKT5_S8_PT6_21rocsparse_index_base_b,"axG",@progbits,_ZN9rocsparseL18bsrxmvn_3x3_kernelILj256ELj16E21rocsparse_complex_numIdEliS1_IfES2_S2_EEvT3_20rocsparse_direction_NS_24const_host_device_scalarIT1_EES4_PKS4_PKT2_SD_SA_PKT4_PKT5_S8_PT6_21rocsparse_index_base_b,comdat
	.globl	_ZN9rocsparseL18bsrxmvn_3x3_kernelILj256ELj16E21rocsparse_complex_numIdEliS1_IfES2_S2_EEvT3_20rocsparse_direction_NS_24const_host_device_scalarIT1_EES4_PKS4_PKT2_SD_SA_PKT4_PKT5_S8_PT6_21rocsparse_index_base_b ; -- Begin function _ZN9rocsparseL18bsrxmvn_3x3_kernelILj256ELj16E21rocsparse_complex_numIdEliS1_IfES2_S2_EEvT3_20rocsparse_direction_NS_24const_host_device_scalarIT1_EES4_PKS4_PKT2_SD_SA_PKT4_PKT5_S8_PT6_21rocsparse_index_base_b
	.p2align	8
	.type	_ZN9rocsparseL18bsrxmvn_3x3_kernelILj256ELj16E21rocsparse_complex_numIdEliS1_IfES2_S2_EEvT3_20rocsparse_direction_NS_24const_host_device_scalarIT1_EES4_PKS4_PKT2_SD_SA_PKT4_PKT5_S8_PT6_21rocsparse_index_base_b,@function
_ZN9rocsparseL18bsrxmvn_3x3_kernelILj256ELj16E21rocsparse_complex_numIdEliS1_IfES2_S2_EEvT3_20rocsparse_direction_NS_24const_host_device_scalarIT1_EES4_PKS4_PKT2_SD_SA_PKT4_PKT5_S8_PT6_21rocsparse_index_base_b: ; @_ZN9rocsparseL18bsrxmvn_3x3_kernelILj256ELj16E21rocsparse_complex_numIdEliS1_IfES2_S2_EEvT3_20rocsparse_direction_NS_24const_host_device_scalarIT1_EES4_PKS4_PKT2_SD_SA_PKT4_PKT5_S8_PT6_21rocsparse_index_base_b
; %bb.0:
	s_load_dwordx2 s[16:17], s[2:3], 0x68
	s_load_dwordx4 s[8:11], s[2:3], 0x8
	s_load_dwordx2 s[18:19], s[0:1], 0x4
	s_load_dwordx4 s[12:15], s[2:3], 0x50
	s_mov_b64 s[6:7], src_shared_base
	v_and_b32_e32 v2, 0x3ff, v0
	s_waitcnt lgkmcnt(0)
	s_bitcmp1_b32 s17, 0
	s_cselect_b64 s[0:1], -1, 0
	s_and_b64 vcc, s[0:1], exec
	s_cselect_b32 s5, s7, s9
	s_lshr_b32 s6, s18, 16
	s_mul_i32 s6, s6, s19
	v_mul_lo_u32 v3, s6, v2
	v_bfe_u32 v4, v0, 10, 10
	v_mad_u32_u24 v3, v4, s19, v3
	v_bfe_u32 v0, v0, 20, 10
	v_add_lshl_u32 v0, v3, v0, 3
	v_mov_b32_e32 v1, s8
	v_add_u32_e32 v3, 0x800, v0
	v_mov_b64_e32 v[4:5], s[8:9]
	v_mov_b64_e32 v[6:7], s[12:13]
	ds_write2st64_b64 v0, v[6:7], v[4:5] offset1:4
	v_cndmask_b32_e64 v4, v1, v3, s[0:1]
	v_mov_b32_e32 v5, s5
	flat_load_dwordx2 v[16:17], v[4:5]
	s_xor_b64 s[18:19], s[0:1], -1
	v_mov_b64_e32 v[18:19], s[10:11]
	s_cbranch_vccnz .LBB172_2
; %bb.1:
	v_mov_b64_e32 v[4:5], s[8:9]
	flat_load_dwordx2 v[18:19], v[4:5] offset:8
.LBB172_2:
	s_and_b64 s[8:9], s[0:1], exec
	s_cselect_b32 s5, s7, s13
	v_mov_b32_e32 v1, s12
	v_cndmask_b32_e64 v0, v1, v0, s[0:1]
	v_mov_b32_e32 v1, s5
	flat_load_dwordx2 v[12:13], v[0:1]
	s_andn2_b64 vcc, exec, s[18:19]
	v_mov_b64_e32 v[14:15], s[14:15]
	s_cbranch_vccnz .LBB172_4
; %bb.3:
	v_mov_b64_e32 v[0:1], s[12:13]
	flat_load_dwordx2 v[14:15], v[0:1] offset:8
.LBB172_4:
	s_waitcnt vmcnt(0) lgkmcnt(0)
	v_cmp_eq_f64_e32 vcc, 0, v[16:17]
	v_cmp_eq_f64_e64 s[0:1], 0, v[18:19]
	s_and_b64 s[8:9], vcc, s[0:1]
	s_mov_b64 s[0:1], -1
	s_and_saveexec_b64 s[6:7], s[8:9]
; %bb.5:
	v_cmp_neq_f64_e32 vcc, 1.0, v[12:13]
	v_cmp_neq_f64_e64 s[0:1], 0, v[14:15]
	s_or_b64 s[0:1], vcc, s[0:1]
	s_orn2_b64 s[0:1], s[0:1], exec
; %bb.6:
	s_or_b64 exec, exec, s[6:7]
	s_and_saveexec_b64 s[6:7], s[0:1]
	s_cbranch_execz .LBB172_12
; %bb.7:
	s_load_dwordx2 s[6:7], s[2:3], 0x20
	s_load_dwordx2 s[0:1], s[2:3], 0x0
	v_lshrrev_b32_e32 v0, 4, v2
	v_lshl_or_b32 v0, s4, 4, v0
	s_mov_b64 s[4:5], 0
	s_waitcnt lgkmcnt(0)
	s_cmp_lg_u64 s[6:7], 0
	s_cbranch_scc0 .LBB172_13
; %bb.8:
	s_load_dword s8, s[2:3], 0x18
                                        ; implicit-def: $vgpr1
	s_waitcnt lgkmcnt(0)
	v_cmp_gt_i32_e32 vcc, s8, v0
	s_and_saveexec_b64 s[8:9], vcc
	s_xor_b64 s[8:9], exec, s[8:9]
	s_cbranch_execz .LBB172_10
; %bb.9:
	v_ashrrev_i32_e32 v1, 31, v0
	v_lshl_add_u64 v[4:5], v[0:1], 2, s[6:7]
	global_load_dword v1, v[4:5], off
	s_mov_b64 s[4:5], exec
	s_waitcnt vmcnt(0)
	v_subrev_u32_e32 v1, s16, v1
.LBB172_10:
	s_or_b64 exec, exec, s[8:9]
	s_branch .LBB172_14
.LBB172_11:
	v_cmp_gt_i32_e32 vcc, s0, v0
	s_andn2_b64 s[4:5], s[4:5], exec
	s_and_b64 s[6:7], vcc, exec
	s_or_b64 s[4:5], s[4:5], s[6:7]
	s_and_b64 exec, exec, s[4:5]
	s_cbranch_execnz .LBB172_15
.LBB172_12:
	s_endpgm
.LBB172_13:
                                        ; implicit-def: $vgpr1
	s_cbranch_execnz .LBB172_11
.LBB172_14:
	v_mov_b32_e32 v0, v1
	s_and_b64 exec, exec, s[4:5]
	s_cbranch_execz .LBB172_12
.LBB172_15:
	s_load_dwordx8 s[4:11], s[2:3], 0x28
	v_ashrrev_i32_e32 v1, 31, v0
	v_lshlrev_b64 v[4:5], 3, v[0:1]
	v_and_b32_e32 v2, 15, v2
	v_mov_b32_e32 v3, 0
	s_waitcnt lgkmcnt(0)
	v_lshl_add_u64 v[6:7], s[4:5], 0, v[4:5]
	global_load_dwordx2 v[8:9], v[6:7], off
	s_cmp_eq_u64 s[6:7], 0
	v_lshl_add_u64 v[4:5], s[6:7], 0, v[4:5]
	v_lshl_add_u64 v[6:7], v[6:7], 0, 8
	s_cselect_b64 vcc, -1, 0
	v_cndmask_b32_e32 v5, v5, v7, vcc
	v_cndmask_b32_e32 v4, v4, v6, vcc
	global_load_dwordx2 v[4:5], v[4:5], off
	s_load_dwordx2 s[4:5], s[2:3], 0x48
	s_movk_i32 s6, 0x48
	v_mov_b64_e32 v[6:7], s[10:11]
	s_cmp_eq_u32 s1, 1
	s_waitcnt vmcnt(1)
	v_subrev_co_u32_e32 v8, vcc, s16, v8
	s_nop 1
	v_subbrev_co_u32_e32 v9, vcc, 0, v9, vcc
	v_lshl_add_u64 v[10:11], v[8:9], 0, v[2:3]
	v_mad_u64_u32 v[22:23], s[0:1], v10, s6, v[6:7]
	s_waitcnt vmcnt(0)
	v_subrev_co_u32_e32 v20, vcc, s16, v4
	v_mov_b32_e32 v4, v23
	s_nop 0
	v_subbrev_co_u32_e32 v21, vcc, 0, v5, vcc
	v_mad_u64_u32 v[4:5], s[0:1], v11, s6, v[4:5]
	v_mov_b32_e32 v23, v4
	v_cmp_lt_i64_e64 s[0:1], v[10:11], v[20:21]
	s_cbranch_scc1 .LBB172_21
; %bb.16:
	v_mov_b64_e32 v[8:9], 0
	s_mov_b64 s[6:7], 0
	v_mov_b64_e32 v[28:29], v[8:9]
	v_mov_b64_e32 v[6:7], v[8:9]
	;; [unrolled: 1-line block ×5, first 2 shown]
	s_and_saveexec_b64 s[10:11], s[0:1]
	s_cbranch_execz .LBB172_20
; %bb.17:
	v_mov_b64_e32 v[8:9], 0
	v_lshl_add_u64 v[30:31], v[10:11], 2, s[8:9]
	s_mov_b64 s[12:13], 0
	s_mov_b64 s[14:15], 0x480
	v_mov_b64_e32 v[32:33], v[10:11]
	v_mov_b64_e32 v[34:35], v[22:23]
	;; [unrolled: 1-line block ×7, first 2 shown]
.LBB172_18:                             ; =>This Inner Loop Header: Depth=1
	global_load_dword v1, v[30:31], off
	global_load_dwordx4 v[36:39], v[34:35], off
	global_load_dwordx4 v[40:43], v[34:35], off offset:16
	global_load_dwordx4 v[44:47], v[34:35], off offset:32
	;; [unrolled: 1-line block ×3, first 2 shown]
	global_load_dwordx2 v[64:65], v[34:35], off offset:64
	v_lshl_add_u64 v[32:33], v[32:33], 0, 16
	v_cmp_ge_i64_e32 vcc, v[32:33], v[20:21]
	v_lshl_add_u64 v[34:35], v[34:35], 0, s[14:15]
	v_lshl_add_u64 v[30:31], v[30:31], 0, 64
	s_or_b64 s[12:13], vcc, s[12:13]
	s_waitcnt vmcnt(5)
	v_subrev_u32_e32 v1, s16, v1
	v_lshl_add_u32 v52, v1, 1, v1
	v_ashrrev_i32_e32 v53, 31, v52
	s_waitcnt lgkmcnt(0)
	v_lshl_add_u64 v[66:67], v[52:53], 4, s[4:5]
	global_load_dwordx4 v[52:55], v[66:67], off
	global_load_dwordx4 v[56:59], v[66:67], off offset:16
	global_load_dwordx4 v[60:63], v[66:67], off offset:32
	s_waitcnt vmcnt(7)
	v_cvt_f64_f32_e32 v[66:67], v36
	v_cvt_f64_f32_e32 v[36:37], v37
	s_waitcnt vmcnt(6)
	v_cvt_f64_f32_e32 v[72:73], v42
	v_cvt_f64_f32_e32 v[42:43], v43
	;; [unrolled: 3-line block ×3, first 2 shown]
	v_cvt_f64_f32_e32 v[68:69], v38
	v_cvt_f64_f32_e32 v[38:39], v39
	;; [unrolled: 1-line block ×10, first 2 shown]
	s_waitcnt vmcnt(3)
	v_cvt_f64_f32_e32 v[82:83], v64
	v_cvt_f64_f32_e32 v[64:65], v65
	s_waitcnt vmcnt(2)
	v_fmac_f64_e32 v[28:29], v[66:67], v[52:53]
	v_fmac_f64_e32 v[8:9], v[36:37], v[52:53]
	v_fmac_f64_e32 v[26:27], v[72:73], v[52:53]
	v_fmac_f64_e32 v[6:7], v[42:43], v[52:53]
	v_fmac_f64_e32 v[24:25], v[78:79], v[52:53]
	v_fmac_f64_e32 v[4:5], v[48:49], v[52:53]
	v_fma_f64 v[28:29], -v[36:37], v[54:55], v[28:29]
	v_fmac_f64_e32 v[8:9], v[66:67], v[54:55]
	v_fma_f64 v[26:27], -v[42:43], v[54:55], v[26:27]
	v_fmac_f64_e32 v[6:7], v[72:73], v[54:55]
	v_fma_f64 v[24:25], -v[48:49], v[54:55], v[24:25]
	v_fmac_f64_e32 v[4:5], v[78:79], v[54:55]
	s_waitcnt vmcnt(1)
	v_fmac_f64_e32 v[28:29], v[68:69], v[56:57]
	v_fmac_f64_e32 v[8:9], v[38:39], v[56:57]
	v_fmac_f64_e32 v[26:27], v[74:75], v[56:57]
	v_fmac_f64_e32 v[6:7], v[44:45], v[56:57]
	v_fmac_f64_e32 v[24:25], v[80:81], v[56:57]
	v_fmac_f64_e32 v[4:5], v[50:51], v[56:57]
	v_fma_f64 v[28:29], -v[38:39], v[58:59], v[28:29]
	v_fmac_f64_e32 v[8:9], v[68:69], v[58:59]
	v_fma_f64 v[26:27], -v[44:45], v[58:59], v[26:27]
	v_fmac_f64_e32 v[6:7], v[74:75], v[58:59]
	v_fma_f64 v[24:25], -v[50:51], v[58:59], v[24:25]
	v_fmac_f64_e32 v[4:5], v[80:81], v[58:59]
	;; [unrolled: 13-line block ×3, first 2 shown]
	s_andn2_b64 exec, exec, s[12:13]
	s_cbranch_execnz .LBB172_18
; %bb.19:
	s_or_b64 exec, exec, s[12:13]
.LBB172_20:
	s_or_b64 exec, exec, s[10:11]
	s_andn2_b64 vcc, exec, s[6:7]
	s_cbranch_vccz .LBB172_22
	s_branch .LBB172_27
.LBB172_21:
                                        ; implicit-def: $vgpr8_vgpr9
                                        ; implicit-def: $vgpr28_vgpr29
                                        ; implicit-def: $vgpr6_vgpr7
                                        ; implicit-def: $vgpr26_vgpr27
                                        ; implicit-def: $vgpr4_vgpr5
                                        ; implicit-def: $vgpr24_vgpr25
.LBB172_22:
	v_mov_b64_e32 v[8:9], 0
	v_mov_b64_e32 v[28:29], v[8:9]
	;; [unrolled: 1-line block ×6, first 2 shown]
	s_and_saveexec_b64 s[6:7], s[0:1]
	s_cbranch_execz .LBB172_26
; %bb.23:
	v_mov_b64_e32 v[8:9], 0
	v_lshl_add_u64 v[30:31], v[10:11], 2, s[8:9]
	s_mov_b64 s[0:1], 0
	s_mov_b64 s[8:9], 0x480
	v_mov_b64_e32 v[28:29], v[8:9]
	v_mov_b64_e32 v[6:7], v[8:9]
	;; [unrolled: 1-line block ×5, first 2 shown]
.LBB172_24:                             ; =>This Inner Loop Header: Depth=1
	global_load_dword v1, v[30:31], off
	global_load_dwordx4 v[32:35], v[22:23], off
	global_load_dwordx4 v[36:39], v[22:23], off offset:16
	global_load_dwordx4 v[40:43], v[22:23], off offset:32
	;; [unrolled: 1-line block ×3, first 2 shown]
	global_load_dwordx2 v[60:61], v[22:23], off offset:64
	v_lshl_add_u64 v[10:11], v[10:11], 0, 16
	v_cmp_ge_i64_e32 vcc, v[10:11], v[20:21]
	v_lshl_add_u64 v[22:23], v[22:23], 0, s[8:9]
	v_lshl_add_u64 v[30:31], v[30:31], 0, 64
	s_or_b64 s[0:1], vcc, s[0:1]
	s_waitcnt vmcnt(5)
	v_subrev_u32_e32 v1, s16, v1
	v_lshl_add_u32 v48, v1, 1, v1
	v_ashrrev_i32_e32 v49, 31, v48
	s_waitcnt lgkmcnt(0)
	v_lshl_add_u64 v[62:63], v[48:49], 4, s[4:5]
	global_load_dwordx4 v[48:51], v[62:63], off
	global_load_dwordx4 v[52:55], v[62:63], off offset:16
	global_load_dwordx4 v[56:59], v[62:63], off offset:32
	s_waitcnt vmcnt(7)
	v_cvt_f64_f32_e32 v[62:63], v32
	v_cvt_f64_f32_e32 v[32:33], v33
	v_cvt_f64_f32_e32 v[64:65], v34
	v_cvt_f64_f32_e32 v[34:35], v35
	s_waitcnt vmcnt(6)
	v_cvt_f64_f32_e32 v[66:67], v36
	v_cvt_f64_f32_e32 v[36:37], v37
	v_cvt_f64_f32_e32 v[68:69], v38
	v_cvt_f64_f32_e32 v[38:39], v39
	;; [unrolled: 5-line block ×4, first 2 shown]
	s_waitcnt vmcnt(3)
	v_cvt_f64_f32_e32 v[78:79], v60
	v_cvt_f64_f32_e32 v[60:61], v61
	s_waitcnt vmcnt(2)
	v_fmac_f64_e32 v[28:29], v[62:63], v[48:49]
	v_fmac_f64_e32 v[8:9], v[32:33], v[48:49]
	v_fmac_f64_e32 v[26:27], v[64:65], v[48:49]
	v_fmac_f64_e32 v[6:7], v[34:35], v[48:49]
	v_fmac_f64_e32 v[24:25], v[66:67], v[48:49]
	v_fmac_f64_e32 v[4:5], v[36:37], v[48:49]
	v_fma_f64 v[28:29], -v[32:33], v[50:51], v[28:29]
	v_fmac_f64_e32 v[8:9], v[62:63], v[50:51]
	v_fma_f64 v[26:27], -v[34:35], v[50:51], v[26:27]
	v_fmac_f64_e32 v[6:7], v[64:65], v[50:51]
	v_fma_f64 v[24:25], -v[36:37], v[50:51], v[24:25]
	v_fmac_f64_e32 v[4:5], v[66:67], v[50:51]
	s_waitcnt vmcnt(1)
	v_fmac_f64_e32 v[28:29], v[68:69], v[52:53]
	v_fmac_f64_e32 v[8:9], v[38:39], v[52:53]
	v_fmac_f64_e32 v[26:27], v[70:71], v[52:53]
	v_fmac_f64_e32 v[6:7], v[40:41], v[52:53]
	v_fmac_f64_e32 v[24:25], v[72:73], v[52:53]
	v_fmac_f64_e32 v[4:5], v[42:43], v[52:53]
	v_fma_f64 v[28:29], -v[38:39], v[54:55], v[28:29]
	v_fmac_f64_e32 v[8:9], v[68:69], v[54:55]
	v_fma_f64 v[26:27], -v[40:41], v[54:55], v[26:27]
	v_fmac_f64_e32 v[6:7], v[70:71], v[54:55]
	v_fma_f64 v[24:25], -v[42:43], v[54:55], v[24:25]
	v_fmac_f64_e32 v[4:5], v[72:73], v[54:55]
	;; [unrolled: 13-line block ×3, first 2 shown]
	s_andn2_b64 exec, exec, s[0:1]
	s_cbranch_execnz .LBB172_24
; %bb.25:
	s_or_b64 exec, exec, s[0:1]
.LBB172_26:
	s_or_b64 exec, exec, s[6:7]
.LBB172_27:
	v_mov_b32_dpp v10, v28 row_shr:1 row_mask:0xf bank_mask:0xf
	v_mov_b32_dpp v11, v29 row_shr:1 row_mask:0xf bank_mask:0xf
	v_add_f64 v[10:11], v[28:29], v[10:11]
	v_mov_b32_dpp v22, v8 row_shr:1 row_mask:0xf bank_mask:0xf
	v_mov_b32_dpp v23, v9 row_shr:1 row_mask:0xf bank_mask:0xf
	;; [unrolled: 1-line block ×10, first 2 shown]
	v_add_f64 v[8:9], v[8:9], v[22:23]
	v_add_f64 v[26:27], v[26:27], v[28:29]
	;; [unrolled: 1-line block ×5, first 2 shown]
	v_mov_b32_dpp v20, v10 row_shr:2 row_mask:0xf bank_mask:0xf
	v_mov_b32_dpp v21, v11 row_shr:2 row_mask:0xf bank_mask:0xf
	;; [unrolled: 1-line block ×12, first 2 shown]
	v_add_f64 v[10:11], v[10:11], v[20:21]
	v_add_f64 v[8:9], v[8:9], v[22:23]
	;; [unrolled: 1-line block ×6, first 2 shown]
	v_mov_b32_dpp v20, v10 row_shr:4 row_mask:0xf bank_mask:0xe
	v_mov_b32_dpp v21, v11 row_shr:4 row_mask:0xf bank_mask:0xe
	;; [unrolled: 1-line block ×12, first 2 shown]
	v_add_f64 v[10:11], v[10:11], v[20:21]
	v_add_f64 v[8:9], v[8:9], v[22:23]
	;; [unrolled: 1-line block ×6, first 2 shown]
	v_mov_b32_dpp v20, v10 row_shr:8 row_mask:0xf bank_mask:0xc
	v_mov_b32_dpp v21, v11 row_shr:8 row_mask:0xf bank_mask:0xc
	;; [unrolled: 1-line block ×12, first 2 shown]
	v_cmp_eq_u32_e32 vcc, 15, v2
	s_and_b64 exec, exec, vcc
	s_cbranch_execz .LBB172_12
; %bb.28:
	s_load_dwordx2 s[2:3], s[2:3], 0x60
	v_add_f64 v[2:3], v[8:9], v[22:23]
	v_add_f64 v[22:23], v[26:27], v[28:29]
	v_add_f64 v[6:7], v[6:7], v[30:31]
	v_add_f64 v[26:27], v[4:5], v[34:35]
	v_add_f64 v[36:37], v[10:11], v[20:21]
	v_add_f64 v[24:25], v[24:25], v[32:33]
	v_cmp_eq_f64_e32 vcc, 0, v[12:13]
	v_cmp_eq_f64_e64 s[0:1], 0, v[14:15]
	v_mul_f64 v[8:9], v[2:3], -v[18:19]
	v_mul_f64 v[10:11], v[16:17], v[2:3]
	v_lshl_add_u32 v20, v0, 1, v0
	v_mul_f64 v[4:5], v[6:7], -v[18:19]
	v_mul_f64 v[6:7], v[16:17], v[6:7]
	v_mul_f64 v[0:1], v[26:27], -v[18:19]
	v_mul_f64 v[2:3], v[16:17], v[26:27]
	s_and_b64 s[0:1], vcc, s[0:1]
	v_fmac_f64_e32 v[8:9], v[16:17], v[36:37]
	v_fmac_f64_e32 v[10:11], v[18:19], v[36:37]
	v_ashrrev_i32_e32 v21, 31, v20
	v_fmac_f64_e32 v[4:5], v[16:17], v[22:23]
	v_fmac_f64_e32 v[6:7], v[18:19], v[22:23]
	;; [unrolled: 1-line block ×4, first 2 shown]
	s_waitcnt lgkmcnt(0)
	s_and_saveexec_b64 s[4:5], s[0:1]
	s_xor_b64 s[0:1], exec, s[4:5]
	s_cbranch_execz .LBB172_30
; %bb.29:
	v_lshl_add_u64 v[12:13], v[20:21], 4, s[2:3]
	global_store_dwordx4 v[12:13], v[8:11], off
	global_store_dwordx4 v[12:13], v[4:7], off offset:16
	global_store_dwordx4 v[12:13], v[0:3], off offset:32
                                        ; implicit-def: $vgpr12_vgpr13
                                        ; implicit-def: $vgpr14_vgpr15
                                        ; implicit-def: $vgpr20
                                        ; implicit-def: $vgpr8_vgpr9
                                        ; implicit-def: $vgpr4_vgpr5
                                        ; implicit-def: $vgpr0_vgpr1
.LBB172_30:
	s_andn2_saveexec_b64 s[0:1], s[0:1]
	s_cbranch_execz .LBB172_12
; %bb.31:
	v_lshl_add_u64 v[28:29], v[20:21], 4, s[2:3]
	global_load_dwordx4 v[16:19], v[28:29], off
	global_load_dwordx4 v[20:23], v[28:29], off offset:16
	global_load_dwordx4 v[24:27], v[28:29], off offset:32
	s_waitcnt vmcnt(2)
	v_fmac_f64_e32 v[8:9], v[12:13], v[16:17]
	v_fmac_f64_e32 v[10:11], v[14:15], v[16:17]
	s_waitcnt vmcnt(1)
	v_fmac_f64_e32 v[4:5], v[12:13], v[20:21]
	v_fmac_f64_e32 v[6:7], v[14:15], v[20:21]
	s_waitcnt vmcnt(0)
	v_fmac_f64_e32 v[0:1], v[12:13], v[24:25]
	v_fmac_f64_e32 v[2:3], v[14:15], v[24:25]
	v_fma_f64 v[8:9], -v[14:15], v[18:19], v[8:9]
	v_fmac_f64_e32 v[10:11], v[12:13], v[18:19]
	v_fma_f64 v[4:5], -v[14:15], v[22:23], v[4:5]
	v_fmac_f64_e32 v[6:7], v[12:13], v[22:23]
	;; [unrolled: 2-line block ×3, first 2 shown]
	global_store_dwordx4 v[28:29], v[8:11], off
	global_store_dwordx4 v[28:29], v[4:7], off offset:16
	global_store_dwordx4 v[28:29], v[0:3], off offset:32
	s_endpgm
	.section	.rodata,"a",@progbits
	.p2align	6, 0x0
	.amdhsa_kernel _ZN9rocsparseL18bsrxmvn_3x3_kernelILj256ELj16E21rocsparse_complex_numIdEliS1_IfES2_S2_EEvT3_20rocsparse_direction_NS_24const_host_device_scalarIT1_EES4_PKS4_PKT2_SD_SA_PKT4_PKT5_S8_PT6_21rocsparse_index_base_b
		.amdhsa_group_segment_fixed_size 4096
		.amdhsa_private_segment_fixed_size 0
		.amdhsa_kernarg_size 112
		.amdhsa_user_sgpr_count 4
		.amdhsa_user_sgpr_dispatch_ptr 1
		.amdhsa_user_sgpr_queue_ptr 0
		.amdhsa_user_sgpr_kernarg_segment_ptr 1
		.amdhsa_user_sgpr_dispatch_id 0
		.amdhsa_user_sgpr_kernarg_preload_length 0
		.amdhsa_user_sgpr_kernarg_preload_offset 0
		.amdhsa_user_sgpr_private_segment_size 0
		.amdhsa_uses_dynamic_stack 0
		.amdhsa_enable_private_segment 0
		.amdhsa_system_sgpr_workgroup_id_x 1
		.amdhsa_system_sgpr_workgroup_id_y 0
		.amdhsa_system_sgpr_workgroup_id_z 0
		.amdhsa_system_sgpr_workgroup_info 0
		.amdhsa_system_vgpr_workitem_id 2
		.amdhsa_next_free_vgpr 84
		.amdhsa_next_free_sgpr 20
		.amdhsa_accum_offset 84
		.amdhsa_reserve_vcc 1
		.amdhsa_float_round_mode_32 0
		.amdhsa_float_round_mode_16_64 0
		.amdhsa_float_denorm_mode_32 3
		.amdhsa_float_denorm_mode_16_64 3
		.amdhsa_dx10_clamp 1
		.amdhsa_ieee_mode 1
		.amdhsa_fp16_overflow 0
		.amdhsa_tg_split 0
		.amdhsa_exception_fp_ieee_invalid_op 0
		.amdhsa_exception_fp_denorm_src 0
		.amdhsa_exception_fp_ieee_div_zero 0
		.amdhsa_exception_fp_ieee_overflow 0
		.amdhsa_exception_fp_ieee_underflow 0
		.amdhsa_exception_fp_ieee_inexact 0
		.amdhsa_exception_int_div_zero 0
	.end_amdhsa_kernel
	.section	.text._ZN9rocsparseL18bsrxmvn_3x3_kernelILj256ELj16E21rocsparse_complex_numIdEliS1_IfES2_S2_EEvT3_20rocsparse_direction_NS_24const_host_device_scalarIT1_EES4_PKS4_PKT2_SD_SA_PKT4_PKT5_S8_PT6_21rocsparse_index_base_b,"axG",@progbits,_ZN9rocsparseL18bsrxmvn_3x3_kernelILj256ELj16E21rocsparse_complex_numIdEliS1_IfES2_S2_EEvT3_20rocsparse_direction_NS_24const_host_device_scalarIT1_EES4_PKS4_PKT2_SD_SA_PKT4_PKT5_S8_PT6_21rocsparse_index_base_b,comdat
.Lfunc_end172:
	.size	_ZN9rocsparseL18bsrxmvn_3x3_kernelILj256ELj16E21rocsparse_complex_numIdEliS1_IfES2_S2_EEvT3_20rocsparse_direction_NS_24const_host_device_scalarIT1_EES4_PKS4_PKT2_SD_SA_PKT4_PKT5_S8_PT6_21rocsparse_index_base_b, .Lfunc_end172-_ZN9rocsparseL18bsrxmvn_3x3_kernelILj256ELj16E21rocsparse_complex_numIdEliS1_IfES2_S2_EEvT3_20rocsparse_direction_NS_24const_host_device_scalarIT1_EES4_PKS4_PKT2_SD_SA_PKT4_PKT5_S8_PT6_21rocsparse_index_base_b
                                        ; -- End function
	.section	.AMDGPU.csdata,"",@progbits
; Kernel info:
; codeLenInByte = 2568
; NumSgprs: 26
; NumVgprs: 84
; NumAgprs: 0
; TotalNumVgprs: 84
; ScratchSize: 0
; MemoryBound: 0
; FloatMode: 240
; IeeeMode: 1
; LDSByteSize: 4096 bytes/workgroup (compile time only)
; SGPRBlocks: 3
; VGPRBlocks: 10
; NumSGPRsForWavesPerEU: 26
; NumVGPRsForWavesPerEU: 84
; AccumOffset: 84
; Occupancy: 5
; WaveLimiterHint : 1
; COMPUTE_PGM_RSRC2:SCRATCH_EN: 0
; COMPUTE_PGM_RSRC2:USER_SGPR: 4
; COMPUTE_PGM_RSRC2:TRAP_HANDLER: 0
; COMPUTE_PGM_RSRC2:TGID_X_EN: 1
; COMPUTE_PGM_RSRC2:TGID_Y_EN: 0
; COMPUTE_PGM_RSRC2:TGID_Z_EN: 0
; COMPUTE_PGM_RSRC2:TIDIG_COMP_CNT: 2
; COMPUTE_PGM_RSRC3_GFX90A:ACCUM_OFFSET: 20
; COMPUTE_PGM_RSRC3_GFX90A:TG_SPLIT: 0
	.section	.text._ZN9rocsparseL18bsrxmvn_3x3_kernelILj256ELj32E21rocsparse_complex_numIdEliS1_IfES2_S2_EEvT3_20rocsparse_direction_NS_24const_host_device_scalarIT1_EES4_PKS4_PKT2_SD_SA_PKT4_PKT5_S8_PT6_21rocsparse_index_base_b,"axG",@progbits,_ZN9rocsparseL18bsrxmvn_3x3_kernelILj256ELj32E21rocsparse_complex_numIdEliS1_IfES2_S2_EEvT3_20rocsparse_direction_NS_24const_host_device_scalarIT1_EES4_PKS4_PKT2_SD_SA_PKT4_PKT5_S8_PT6_21rocsparse_index_base_b,comdat
	.globl	_ZN9rocsparseL18bsrxmvn_3x3_kernelILj256ELj32E21rocsparse_complex_numIdEliS1_IfES2_S2_EEvT3_20rocsparse_direction_NS_24const_host_device_scalarIT1_EES4_PKS4_PKT2_SD_SA_PKT4_PKT5_S8_PT6_21rocsparse_index_base_b ; -- Begin function _ZN9rocsparseL18bsrxmvn_3x3_kernelILj256ELj32E21rocsparse_complex_numIdEliS1_IfES2_S2_EEvT3_20rocsparse_direction_NS_24const_host_device_scalarIT1_EES4_PKS4_PKT2_SD_SA_PKT4_PKT5_S8_PT6_21rocsparse_index_base_b
	.p2align	8
	.type	_ZN9rocsparseL18bsrxmvn_3x3_kernelILj256ELj32E21rocsparse_complex_numIdEliS1_IfES2_S2_EEvT3_20rocsparse_direction_NS_24const_host_device_scalarIT1_EES4_PKS4_PKT2_SD_SA_PKT4_PKT5_S8_PT6_21rocsparse_index_base_b,@function
_ZN9rocsparseL18bsrxmvn_3x3_kernelILj256ELj32E21rocsparse_complex_numIdEliS1_IfES2_S2_EEvT3_20rocsparse_direction_NS_24const_host_device_scalarIT1_EES4_PKS4_PKT2_SD_SA_PKT4_PKT5_S8_PT6_21rocsparse_index_base_b: ; @_ZN9rocsparseL18bsrxmvn_3x3_kernelILj256ELj32E21rocsparse_complex_numIdEliS1_IfES2_S2_EEvT3_20rocsparse_direction_NS_24const_host_device_scalarIT1_EES4_PKS4_PKT2_SD_SA_PKT4_PKT5_S8_PT6_21rocsparse_index_base_b
; %bb.0:
	s_load_dwordx2 s[16:17], s[2:3], 0x68
	s_load_dwordx4 s[8:11], s[2:3], 0x8
	s_load_dwordx2 s[18:19], s[0:1], 0x4
	s_load_dwordx4 s[12:15], s[2:3], 0x50
	s_mov_b64 s[6:7], src_shared_base
	v_and_b32_e32 v2, 0x3ff, v0
	s_waitcnt lgkmcnt(0)
	s_bitcmp1_b32 s17, 0
	s_cselect_b64 s[0:1], -1, 0
	s_and_b64 vcc, s[0:1], exec
	s_cselect_b32 s5, s7, s9
	s_lshr_b32 s6, s18, 16
	s_mul_i32 s6, s6, s19
	v_mul_lo_u32 v3, s6, v2
	v_bfe_u32 v4, v0, 10, 10
	v_mad_u32_u24 v3, v4, s19, v3
	v_bfe_u32 v0, v0, 20, 10
	v_add_lshl_u32 v0, v3, v0, 3
	v_mov_b32_e32 v1, s8
	v_add_u32_e32 v3, 0x800, v0
	v_mov_b64_e32 v[4:5], s[8:9]
	v_mov_b64_e32 v[6:7], s[12:13]
	ds_write2st64_b64 v0, v[6:7], v[4:5] offset1:4
	v_cndmask_b32_e64 v4, v1, v3, s[0:1]
	v_mov_b32_e32 v5, s5
	flat_load_dwordx2 v[16:17], v[4:5]
	s_xor_b64 s[18:19], s[0:1], -1
	v_mov_b64_e32 v[18:19], s[10:11]
	s_cbranch_vccnz .LBB173_2
; %bb.1:
	v_mov_b64_e32 v[4:5], s[8:9]
	flat_load_dwordx2 v[18:19], v[4:5] offset:8
.LBB173_2:
	s_and_b64 s[8:9], s[0:1], exec
	s_cselect_b32 s5, s7, s13
	v_mov_b32_e32 v1, s12
	v_cndmask_b32_e64 v0, v1, v0, s[0:1]
	v_mov_b32_e32 v1, s5
	flat_load_dwordx2 v[12:13], v[0:1]
	s_andn2_b64 vcc, exec, s[18:19]
	v_mov_b64_e32 v[14:15], s[14:15]
	s_cbranch_vccnz .LBB173_4
; %bb.3:
	v_mov_b64_e32 v[0:1], s[12:13]
	flat_load_dwordx2 v[14:15], v[0:1] offset:8
.LBB173_4:
	s_waitcnt vmcnt(0) lgkmcnt(0)
	v_cmp_eq_f64_e32 vcc, 0, v[16:17]
	v_cmp_eq_f64_e64 s[0:1], 0, v[18:19]
	s_and_b64 s[8:9], vcc, s[0:1]
	s_mov_b64 s[0:1], -1
	s_and_saveexec_b64 s[6:7], s[8:9]
; %bb.5:
	v_cmp_neq_f64_e32 vcc, 1.0, v[12:13]
	v_cmp_neq_f64_e64 s[0:1], 0, v[14:15]
	s_or_b64 s[0:1], vcc, s[0:1]
	s_orn2_b64 s[0:1], s[0:1], exec
; %bb.6:
	s_or_b64 exec, exec, s[6:7]
	s_and_saveexec_b64 s[6:7], s[0:1]
	s_cbranch_execz .LBB173_12
; %bb.7:
	s_load_dwordx2 s[6:7], s[2:3], 0x20
	s_load_dwordx2 s[0:1], s[2:3], 0x0
	v_lshrrev_b32_e32 v0, 5, v2
	v_lshl_or_b32 v0, s4, 3, v0
	s_mov_b64 s[4:5], 0
	s_waitcnt lgkmcnt(0)
	s_cmp_lg_u64 s[6:7], 0
	s_cbranch_scc0 .LBB173_13
; %bb.8:
	s_load_dword s8, s[2:3], 0x18
                                        ; implicit-def: $vgpr1
	s_waitcnt lgkmcnt(0)
	v_cmp_gt_i32_e32 vcc, s8, v0
	s_and_saveexec_b64 s[8:9], vcc
	s_xor_b64 s[8:9], exec, s[8:9]
	s_cbranch_execz .LBB173_10
; %bb.9:
	v_ashrrev_i32_e32 v1, 31, v0
	v_lshl_add_u64 v[4:5], v[0:1], 2, s[6:7]
	global_load_dword v1, v[4:5], off
	s_mov_b64 s[4:5], exec
	s_waitcnt vmcnt(0)
	v_subrev_u32_e32 v1, s16, v1
.LBB173_10:
	s_or_b64 exec, exec, s[8:9]
	s_branch .LBB173_14
.LBB173_11:
	v_cmp_gt_i32_e32 vcc, s0, v0
	s_andn2_b64 s[4:5], s[4:5], exec
	s_and_b64 s[6:7], vcc, exec
	s_or_b64 s[4:5], s[4:5], s[6:7]
	s_and_b64 exec, exec, s[4:5]
	s_cbranch_execnz .LBB173_15
.LBB173_12:
	s_endpgm
.LBB173_13:
                                        ; implicit-def: $vgpr1
	s_cbranch_execnz .LBB173_11
.LBB173_14:
	v_mov_b32_e32 v0, v1
	s_and_b64 exec, exec, s[4:5]
	s_cbranch_execz .LBB173_12
.LBB173_15:
	s_load_dwordx8 s[4:11], s[2:3], 0x28
	v_ashrrev_i32_e32 v1, 31, v0
	v_lshlrev_b64 v[4:5], 3, v[0:1]
	v_and_b32_e32 v2, 31, v2
	v_mov_b32_e32 v3, 0
	s_waitcnt lgkmcnt(0)
	v_lshl_add_u64 v[6:7], s[4:5], 0, v[4:5]
	global_load_dwordx2 v[8:9], v[6:7], off
	s_cmp_eq_u64 s[6:7], 0
	v_lshl_add_u64 v[4:5], s[6:7], 0, v[4:5]
	v_lshl_add_u64 v[6:7], v[6:7], 0, 8
	s_cselect_b64 vcc, -1, 0
	v_cndmask_b32_e32 v5, v5, v7, vcc
	v_cndmask_b32_e32 v4, v4, v6, vcc
	global_load_dwordx2 v[4:5], v[4:5], off
	s_load_dwordx2 s[4:5], s[2:3], 0x48
	s_movk_i32 s6, 0x48
	v_mov_b64_e32 v[6:7], s[10:11]
	s_cmp_eq_u32 s1, 1
	s_waitcnt vmcnt(1)
	v_subrev_co_u32_e32 v8, vcc, s16, v8
	s_nop 1
	v_subbrev_co_u32_e32 v9, vcc, 0, v9, vcc
	v_lshl_add_u64 v[20:21], v[8:9], 0, v[2:3]
	v_mad_u64_u32 v[24:25], s[0:1], v20, s6, v[6:7]
	s_waitcnt vmcnt(0)
	v_subrev_co_u32_e32 v22, vcc, s16, v4
	v_mov_b32_e32 v4, v25
	s_nop 0
	v_subbrev_co_u32_e32 v23, vcc, 0, v5, vcc
	v_mad_u64_u32 v[4:5], s[0:1], v21, s6, v[4:5]
	v_mov_b32_e32 v25, v4
	v_cmp_lt_i64_e64 s[0:1], v[20:21], v[22:23]
	s_cbranch_scc1 .LBB173_21
; %bb.16:
	v_mov_b64_e32 v[8:9], 0
	s_mov_b64 s[6:7], 0
	v_mov_b64_e32 v[28:29], v[8:9]
	v_mov_b64_e32 v[6:7], v[8:9]
	v_mov_b64_e32 v[26:27], v[8:9]
	v_mov_b64_e32 v[4:5], v[8:9]
	v_mov_b64_e32 v[10:11], v[8:9]
	s_and_saveexec_b64 s[10:11], s[0:1]
	s_cbranch_execz .LBB173_20
; %bb.17:
	v_mov_b64_e32 v[8:9], 0
	v_lshl_add_u64 v[30:31], v[20:21], 2, s[8:9]
	s_mov_b64 s[12:13], 0
	s_mov_b64 s[14:15], 0x900
	s_mov_b64 s[18:19], 0x80
	v_mov_b64_e32 v[32:33], v[20:21]
	v_mov_b64_e32 v[34:35], v[24:25]
	;; [unrolled: 1-line block ×7, first 2 shown]
.LBB173_18:                             ; =>This Inner Loop Header: Depth=1
	global_load_dword v1, v[30:31], off
	global_load_dwordx4 v[36:39], v[34:35], off
	global_load_dwordx4 v[40:43], v[34:35], off offset:16
	global_load_dwordx4 v[44:47], v[34:35], off offset:32
	;; [unrolled: 1-line block ×3, first 2 shown]
	global_load_dwordx2 v[64:65], v[34:35], off offset:64
	v_lshl_add_u64 v[32:33], v[32:33], 0, 32
	v_cmp_ge_i64_e32 vcc, v[32:33], v[22:23]
	v_lshl_add_u64 v[34:35], v[34:35], 0, s[14:15]
	v_lshl_add_u64 v[30:31], v[30:31], 0, s[18:19]
	s_or_b64 s[12:13], vcc, s[12:13]
	s_waitcnt vmcnt(5)
	v_subrev_u32_e32 v1, s16, v1
	v_lshl_add_u32 v52, v1, 1, v1
	v_ashrrev_i32_e32 v53, 31, v52
	s_waitcnt lgkmcnt(0)
	v_lshl_add_u64 v[66:67], v[52:53], 4, s[4:5]
	global_load_dwordx4 v[52:55], v[66:67], off
	global_load_dwordx4 v[56:59], v[66:67], off offset:16
	global_load_dwordx4 v[60:63], v[66:67], off offset:32
	s_waitcnt vmcnt(7)
	v_cvt_f64_f32_e32 v[66:67], v36
	v_cvt_f64_f32_e32 v[36:37], v37
	s_waitcnt vmcnt(6)
	v_cvt_f64_f32_e32 v[72:73], v42
	v_cvt_f64_f32_e32 v[42:43], v43
	;; [unrolled: 3-line block ×3, first 2 shown]
	v_cvt_f64_f32_e32 v[68:69], v38
	v_cvt_f64_f32_e32 v[38:39], v39
	;; [unrolled: 1-line block ×10, first 2 shown]
	s_waitcnt vmcnt(3)
	v_cvt_f64_f32_e32 v[82:83], v64
	v_cvt_f64_f32_e32 v[64:65], v65
	s_waitcnt vmcnt(2)
	v_fmac_f64_e32 v[28:29], v[66:67], v[52:53]
	v_fmac_f64_e32 v[8:9], v[36:37], v[52:53]
	v_fmac_f64_e32 v[26:27], v[72:73], v[52:53]
	v_fmac_f64_e32 v[6:7], v[42:43], v[52:53]
	v_fmac_f64_e32 v[10:11], v[78:79], v[52:53]
	v_fmac_f64_e32 v[4:5], v[48:49], v[52:53]
	v_fma_f64 v[28:29], -v[36:37], v[54:55], v[28:29]
	v_fmac_f64_e32 v[8:9], v[66:67], v[54:55]
	v_fma_f64 v[26:27], -v[42:43], v[54:55], v[26:27]
	v_fmac_f64_e32 v[6:7], v[72:73], v[54:55]
	v_fma_f64 v[10:11], -v[48:49], v[54:55], v[10:11]
	v_fmac_f64_e32 v[4:5], v[78:79], v[54:55]
	s_waitcnt vmcnt(1)
	v_fmac_f64_e32 v[28:29], v[68:69], v[56:57]
	v_fmac_f64_e32 v[8:9], v[38:39], v[56:57]
	v_fmac_f64_e32 v[26:27], v[74:75], v[56:57]
	v_fmac_f64_e32 v[6:7], v[44:45], v[56:57]
	v_fmac_f64_e32 v[10:11], v[80:81], v[56:57]
	v_fmac_f64_e32 v[4:5], v[50:51], v[56:57]
	v_fma_f64 v[28:29], -v[38:39], v[58:59], v[28:29]
	v_fmac_f64_e32 v[8:9], v[68:69], v[58:59]
	v_fma_f64 v[26:27], -v[44:45], v[58:59], v[26:27]
	v_fmac_f64_e32 v[6:7], v[74:75], v[58:59]
	v_fma_f64 v[10:11], -v[50:51], v[58:59], v[10:11]
	v_fmac_f64_e32 v[4:5], v[80:81], v[58:59]
	;; [unrolled: 13-line block ×3, first 2 shown]
	s_andn2_b64 exec, exec, s[12:13]
	s_cbranch_execnz .LBB173_18
; %bb.19:
	s_or_b64 exec, exec, s[12:13]
.LBB173_20:
	s_or_b64 exec, exec, s[10:11]
	s_andn2_b64 vcc, exec, s[6:7]
	s_cbranch_vccz .LBB173_22
	s_branch .LBB173_27
.LBB173_21:
                                        ; implicit-def: $vgpr8_vgpr9
                                        ; implicit-def: $vgpr28_vgpr29
                                        ; implicit-def: $vgpr6_vgpr7
                                        ; implicit-def: $vgpr26_vgpr27
                                        ; implicit-def: $vgpr4_vgpr5
                                        ; implicit-def: $vgpr10_vgpr11
.LBB173_22:
	v_mov_b64_e32 v[8:9], 0
	v_mov_b64_e32 v[28:29], v[8:9]
	;; [unrolled: 1-line block ×6, first 2 shown]
	s_and_saveexec_b64 s[6:7], s[0:1]
	s_cbranch_execz .LBB173_26
; %bb.23:
	v_mov_b64_e32 v[8:9], 0
	v_lshl_add_u64 v[30:31], v[20:21], 2, s[8:9]
	s_mov_b64 s[0:1], 0
	s_mov_b64 s[8:9], 0x900
	;; [unrolled: 1-line block ×3, first 2 shown]
	v_mov_b64_e32 v[28:29], v[8:9]
	v_mov_b64_e32 v[6:7], v[8:9]
	;; [unrolled: 1-line block ×5, first 2 shown]
.LBB173_24:                             ; =>This Inner Loop Header: Depth=1
	global_load_dword v1, v[30:31], off
	global_load_dwordx4 v[32:35], v[24:25], off
	global_load_dwordx4 v[36:39], v[24:25], off offset:16
	global_load_dwordx4 v[40:43], v[24:25], off offset:32
	;; [unrolled: 1-line block ×3, first 2 shown]
	global_load_dwordx2 v[60:61], v[24:25], off offset:64
	v_lshl_add_u64 v[20:21], v[20:21], 0, 32
	v_cmp_ge_i64_e32 vcc, v[20:21], v[22:23]
	v_lshl_add_u64 v[24:25], v[24:25], 0, s[8:9]
	v_lshl_add_u64 v[30:31], v[30:31], 0, s[10:11]
	s_or_b64 s[0:1], vcc, s[0:1]
	s_waitcnt vmcnt(5)
	v_subrev_u32_e32 v1, s16, v1
	v_lshl_add_u32 v48, v1, 1, v1
	v_ashrrev_i32_e32 v49, 31, v48
	s_waitcnt lgkmcnt(0)
	v_lshl_add_u64 v[62:63], v[48:49], 4, s[4:5]
	global_load_dwordx4 v[48:51], v[62:63], off
	global_load_dwordx4 v[52:55], v[62:63], off offset:16
	global_load_dwordx4 v[56:59], v[62:63], off offset:32
	s_waitcnt vmcnt(7)
	v_cvt_f64_f32_e32 v[62:63], v32
	v_cvt_f64_f32_e32 v[32:33], v33
	v_cvt_f64_f32_e32 v[64:65], v34
	v_cvt_f64_f32_e32 v[34:35], v35
	s_waitcnt vmcnt(6)
	v_cvt_f64_f32_e32 v[66:67], v36
	v_cvt_f64_f32_e32 v[36:37], v37
	v_cvt_f64_f32_e32 v[68:69], v38
	v_cvt_f64_f32_e32 v[38:39], v39
	;; [unrolled: 5-line block ×4, first 2 shown]
	s_waitcnt vmcnt(3)
	v_cvt_f64_f32_e32 v[78:79], v60
	v_cvt_f64_f32_e32 v[60:61], v61
	s_waitcnt vmcnt(2)
	v_fmac_f64_e32 v[28:29], v[62:63], v[48:49]
	v_fmac_f64_e32 v[8:9], v[32:33], v[48:49]
	v_fmac_f64_e32 v[26:27], v[64:65], v[48:49]
	v_fmac_f64_e32 v[6:7], v[34:35], v[48:49]
	v_fmac_f64_e32 v[10:11], v[66:67], v[48:49]
	v_fmac_f64_e32 v[4:5], v[36:37], v[48:49]
	v_fma_f64 v[28:29], -v[32:33], v[50:51], v[28:29]
	v_fmac_f64_e32 v[8:9], v[62:63], v[50:51]
	v_fma_f64 v[26:27], -v[34:35], v[50:51], v[26:27]
	v_fmac_f64_e32 v[6:7], v[64:65], v[50:51]
	v_fma_f64 v[10:11], -v[36:37], v[50:51], v[10:11]
	v_fmac_f64_e32 v[4:5], v[66:67], v[50:51]
	s_waitcnt vmcnt(1)
	v_fmac_f64_e32 v[28:29], v[68:69], v[52:53]
	v_fmac_f64_e32 v[8:9], v[38:39], v[52:53]
	v_fmac_f64_e32 v[26:27], v[70:71], v[52:53]
	v_fmac_f64_e32 v[6:7], v[40:41], v[52:53]
	v_fmac_f64_e32 v[10:11], v[72:73], v[52:53]
	v_fmac_f64_e32 v[4:5], v[42:43], v[52:53]
	v_fma_f64 v[28:29], -v[38:39], v[54:55], v[28:29]
	v_fmac_f64_e32 v[8:9], v[68:69], v[54:55]
	v_fma_f64 v[26:27], -v[40:41], v[54:55], v[26:27]
	v_fmac_f64_e32 v[6:7], v[70:71], v[54:55]
	v_fma_f64 v[10:11], -v[42:43], v[54:55], v[10:11]
	v_fmac_f64_e32 v[4:5], v[72:73], v[54:55]
	s_waitcnt vmcnt(0)
	v_fmac_f64_e32 v[28:29], v[74:75], v[56:57]
	v_fmac_f64_e32 v[8:9], v[44:45], v[56:57]
	v_fmac_f64_e32 v[26:27], v[76:77], v[56:57]
	v_fmac_f64_e32 v[6:7], v[46:47], v[56:57]
	v_fmac_f64_e32 v[10:11], v[78:79], v[56:57]
	v_fmac_f64_e32 v[4:5], v[60:61], v[56:57]
	v_fma_f64 v[28:29], -v[44:45], v[58:59], v[28:29]
	v_fmac_f64_e32 v[8:9], v[74:75], v[58:59]
	v_fma_f64 v[26:27], -v[46:47], v[58:59], v[26:27]
	v_fmac_f64_e32 v[6:7], v[76:77], v[58:59]
	v_fma_f64 v[10:11], -v[60:61], v[58:59], v[10:11]
	v_fmac_f64_e32 v[4:5], v[78:79], v[58:59]
	s_andn2_b64 exec, exec, s[0:1]
	s_cbranch_execnz .LBB173_24
; %bb.25:
	s_or_b64 exec, exec, s[0:1]
.LBB173_26:
	s_or_b64 exec, exec, s[6:7]
.LBB173_27:
	v_mov_b32_dpp v20, v28 row_shr:1 row_mask:0xf bank_mask:0xf
	v_mov_b32_dpp v21, v29 row_shr:1 row_mask:0xf bank_mask:0xf
	v_add_f64 v[20:21], v[28:29], v[20:21]
	v_mov_b32_dpp v24, v8 row_shr:1 row_mask:0xf bank_mask:0xf
	v_mov_b32_dpp v25, v9 row_shr:1 row_mask:0xf bank_mask:0xf
	;; [unrolled: 1-line block ×10, first 2 shown]
	v_add_f64 v[8:9], v[8:9], v[24:25]
	v_add_f64 v[26:27], v[26:27], v[28:29]
	v_add_f64 v[6:7], v[6:7], v[30:31]
	v_add_f64 v[10:11], v[10:11], v[32:33]
	v_add_f64 v[4:5], v[4:5], v[34:35]
	v_mov_b32_dpp v22, v20 row_shr:2 row_mask:0xf bank_mask:0xf
	v_mov_b32_dpp v23, v21 row_shr:2 row_mask:0xf bank_mask:0xf
	v_mov_b32_dpp v24, v8 row_shr:2 row_mask:0xf bank_mask:0xf
	v_mov_b32_dpp v25, v9 row_shr:2 row_mask:0xf bank_mask:0xf
	v_mov_b32_dpp v28, v26 row_shr:2 row_mask:0xf bank_mask:0xf
	v_mov_b32_dpp v29, v27 row_shr:2 row_mask:0xf bank_mask:0xf
	v_mov_b32_dpp v30, v6 row_shr:2 row_mask:0xf bank_mask:0xf
	v_mov_b32_dpp v31, v7 row_shr:2 row_mask:0xf bank_mask:0xf
	v_mov_b32_dpp v32, v10 row_shr:2 row_mask:0xf bank_mask:0xf
	v_mov_b32_dpp v33, v11 row_shr:2 row_mask:0xf bank_mask:0xf
	v_mov_b32_dpp v34, v4 row_shr:2 row_mask:0xf bank_mask:0xf
	v_mov_b32_dpp v35, v5 row_shr:2 row_mask:0xf bank_mask:0xf
	v_add_f64 v[20:21], v[20:21], v[22:23]
	v_add_f64 v[8:9], v[8:9], v[24:25]
	v_add_f64 v[26:27], v[26:27], v[28:29]
	v_add_f64 v[6:7], v[6:7], v[30:31]
	v_add_f64 v[10:11], v[10:11], v[32:33]
	v_add_f64 v[4:5], v[4:5], v[34:35]
	v_mov_b32_dpp v22, v20 row_shr:4 row_mask:0xf bank_mask:0xe
	v_mov_b32_dpp v23, v21 row_shr:4 row_mask:0xf bank_mask:0xe
	v_mov_b32_dpp v24, v8 row_shr:4 row_mask:0xf bank_mask:0xe
	v_mov_b32_dpp v25, v9 row_shr:4 row_mask:0xf bank_mask:0xe
	v_mov_b32_dpp v28, v26 row_shr:4 row_mask:0xf bank_mask:0xe
	v_mov_b32_dpp v29, v27 row_shr:4 row_mask:0xf bank_mask:0xe
	v_mov_b32_dpp v30, v6 row_shr:4 row_mask:0xf bank_mask:0xe
	v_mov_b32_dpp v31, v7 row_shr:4 row_mask:0xf bank_mask:0xe
	v_mov_b32_dpp v32, v10 row_shr:4 row_mask:0xf bank_mask:0xe
	v_mov_b32_dpp v33, v11 row_shr:4 row_mask:0xf bank_mask:0xe
	v_mov_b32_dpp v34, v4 row_shr:4 row_mask:0xf bank_mask:0xe
	v_mov_b32_dpp v35, v5 row_shr:4 row_mask:0xf bank_mask:0xe
	v_add_f64 v[20:21], v[20:21], v[22:23]
	;; [unrolled: 18-line block ×3, first 2 shown]
	v_add_f64 v[8:9], v[8:9], v[24:25]
	v_add_f64 v[26:27], v[26:27], v[28:29]
	v_add_f64 v[6:7], v[6:7], v[30:31]
	v_add_f64 v[10:11], v[10:11], v[32:33]
	v_add_f64 v[4:5], v[4:5], v[34:35]
	v_mov_b32_dpp v22, v20 row_bcast:15 row_mask:0xa bank_mask:0xf
	v_mov_b32_dpp v23, v21 row_bcast:15 row_mask:0xa bank_mask:0xf
	;; [unrolled: 1-line block ×12, first 2 shown]
	v_cmp_eq_u32_e32 vcc, 31, v2
	s_and_b64 exec, exec, vcc
	s_cbranch_execz .LBB173_12
; %bb.28:
	s_load_dwordx2 s[2:3], s[2:3], 0x60
	v_add_f64 v[2:3], v[8:9], v[24:25]
	v_add_f64 v[24:25], v[26:27], v[28:29]
	;; [unrolled: 1-line block ×6, first 2 shown]
	v_cmp_eq_f64_e32 vcc, 0, v[12:13]
	v_cmp_eq_f64_e64 s[0:1], 0, v[14:15]
	v_mul_f64 v[8:9], v[2:3], -v[18:19]
	v_mul_f64 v[10:11], v[16:17], v[2:3]
	v_lshl_add_u32 v20, v0, 1, v0
	v_mul_f64 v[4:5], v[6:7], -v[18:19]
	v_mul_f64 v[6:7], v[16:17], v[6:7]
	v_mul_f64 v[0:1], v[28:29], -v[18:19]
	v_mul_f64 v[2:3], v[16:17], v[28:29]
	s_and_b64 s[0:1], vcc, s[0:1]
	v_fmac_f64_e32 v[8:9], v[16:17], v[22:23]
	v_fmac_f64_e32 v[10:11], v[18:19], v[22:23]
	v_ashrrev_i32_e32 v21, 31, v20
	v_fmac_f64_e32 v[4:5], v[16:17], v[24:25]
	v_fmac_f64_e32 v[6:7], v[18:19], v[24:25]
	;; [unrolled: 1-line block ×4, first 2 shown]
	s_waitcnt lgkmcnt(0)
	s_and_saveexec_b64 s[4:5], s[0:1]
	s_xor_b64 s[0:1], exec, s[4:5]
	s_cbranch_execz .LBB173_30
; %bb.29:
	v_lshl_add_u64 v[12:13], v[20:21], 4, s[2:3]
	global_store_dwordx4 v[12:13], v[8:11], off
	global_store_dwordx4 v[12:13], v[4:7], off offset:16
	global_store_dwordx4 v[12:13], v[0:3], off offset:32
                                        ; implicit-def: $vgpr12_vgpr13
                                        ; implicit-def: $vgpr14_vgpr15
                                        ; implicit-def: $vgpr20
                                        ; implicit-def: $vgpr8_vgpr9
                                        ; implicit-def: $vgpr4_vgpr5
                                        ; implicit-def: $vgpr0_vgpr1
.LBB173_30:
	s_andn2_saveexec_b64 s[0:1], s[0:1]
	s_cbranch_execz .LBB173_12
; %bb.31:
	v_lshl_add_u64 v[28:29], v[20:21], 4, s[2:3]
	global_load_dwordx4 v[16:19], v[28:29], off
	global_load_dwordx4 v[20:23], v[28:29], off offset:16
	global_load_dwordx4 v[24:27], v[28:29], off offset:32
	s_waitcnt vmcnt(2)
	v_fmac_f64_e32 v[8:9], v[12:13], v[16:17]
	v_fmac_f64_e32 v[10:11], v[14:15], v[16:17]
	s_waitcnt vmcnt(1)
	v_fmac_f64_e32 v[4:5], v[12:13], v[20:21]
	v_fmac_f64_e32 v[6:7], v[14:15], v[20:21]
	;; [unrolled: 3-line block ×3, first 2 shown]
	v_fma_f64 v[8:9], -v[14:15], v[18:19], v[8:9]
	v_fmac_f64_e32 v[10:11], v[12:13], v[18:19]
	v_fma_f64 v[4:5], -v[14:15], v[22:23], v[4:5]
	v_fmac_f64_e32 v[6:7], v[12:13], v[22:23]
	;; [unrolled: 2-line block ×3, first 2 shown]
	global_store_dwordx4 v[28:29], v[8:11], off
	global_store_dwordx4 v[28:29], v[4:7], off offset:16
	global_store_dwordx4 v[28:29], v[0:3], off offset:32
	s_endpgm
	.section	.rodata,"a",@progbits
	.p2align	6, 0x0
	.amdhsa_kernel _ZN9rocsparseL18bsrxmvn_3x3_kernelILj256ELj32E21rocsparse_complex_numIdEliS1_IfES2_S2_EEvT3_20rocsparse_direction_NS_24const_host_device_scalarIT1_EES4_PKS4_PKT2_SD_SA_PKT4_PKT5_S8_PT6_21rocsparse_index_base_b
		.amdhsa_group_segment_fixed_size 4096
		.amdhsa_private_segment_fixed_size 0
		.amdhsa_kernarg_size 112
		.amdhsa_user_sgpr_count 4
		.amdhsa_user_sgpr_dispatch_ptr 1
		.amdhsa_user_sgpr_queue_ptr 0
		.amdhsa_user_sgpr_kernarg_segment_ptr 1
		.amdhsa_user_sgpr_dispatch_id 0
		.amdhsa_user_sgpr_kernarg_preload_length 0
		.amdhsa_user_sgpr_kernarg_preload_offset 0
		.amdhsa_user_sgpr_private_segment_size 0
		.amdhsa_uses_dynamic_stack 0
		.amdhsa_enable_private_segment 0
		.amdhsa_system_sgpr_workgroup_id_x 1
		.amdhsa_system_sgpr_workgroup_id_y 0
		.amdhsa_system_sgpr_workgroup_id_z 0
		.amdhsa_system_sgpr_workgroup_info 0
		.amdhsa_system_vgpr_workitem_id 2
		.amdhsa_next_free_vgpr 84
		.amdhsa_next_free_sgpr 20
		.amdhsa_accum_offset 84
		.amdhsa_reserve_vcc 1
		.amdhsa_float_round_mode_32 0
		.amdhsa_float_round_mode_16_64 0
		.amdhsa_float_denorm_mode_32 3
		.amdhsa_float_denorm_mode_16_64 3
		.amdhsa_dx10_clamp 1
		.amdhsa_ieee_mode 1
		.amdhsa_fp16_overflow 0
		.amdhsa_tg_split 0
		.amdhsa_exception_fp_ieee_invalid_op 0
		.amdhsa_exception_fp_denorm_src 0
		.amdhsa_exception_fp_ieee_div_zero 0
		.amdhsa_exception_fp_ieee_overflow 0
		.amdhsa_exception_fp_ieee_underflow 0
		.amdhsa_exception_fp_ieee_inexact 0
		.amdhsa_exception_int_div_zero 0
	.end_amdhsa_kernel
	.section	.text._ZN9rocsparseL18bsrxmvn_3x3_kernelILj256ELj32E21rocsparse_complex_numIdEliS1_IfES2_S2_EEvT3_20rocsparse_direction_NS_24const_host_device_scalarIT1_EES4_PKS4_PKT2_SD_SA_PKT4_PKT5_S8_PT6_21rocsparse_index_base_b,"axG",@progbits,_ZN9rocsparseL18bsrxmvn_3x3_kernelILj256ELj32E21rocsparse_complex_numIdEliS1_IfES2_S2_EEvT3_20rocsparse_direction_NS_24const_host_device_scalarIT1_EES4_PKS4_PKT2_SD_SA_PKT4_PKT5_S8_PT6_21rocsparse_index_base_b,comdat
.Lfunc_end173:
	.size	_ZN9rocsparseL18bsrxmvn_3x3_kernelILj256ELj32E21rocsparse_complex_numIdEliS1_IfES2_S2_EEvT3_20rocsparse_direction_NS_24const_host_device_scalarIT1_EES4_PKS4_PKT2_SD_SA_PKT4_PKT5_S8_PT6_21rocsparse_index_base_b, .Lfunc_end173-_ZN9rocsparseL18bsrxmvn_3x3_kernelILj256ELj32E21rocsparse_complex_numIdEliS1_IfES2_S2_EEvT3_20rocsparse_direction_NS_24const_host_device_scalarIT1_EES4_PKS4_PKT2_SD_SA_PKT4_PKT5_S8_PT6_21rocsparse_index_base_b
                                        ; -- End function
	.section	.AMDGPU.csdata,"",@progbits
; Kernel info:
; codeLenInByte = 2728
; NumSgprs: 26
; NumVgprs: 84
; NumAgprs: 0
; TotalNumVgprs: 84
; ScratchSize: 0
; MemoryBound: 0
; FloatMode: 240
; IeeeMode: 1
; LDSByteSize: 4096 bytes/workgroup (compile time only)
; SGPRBlocks: 3
; VGPRBlocks: 10
; NumSGPRsForWavesPerEU: 26
; NumVGPRsForWavesPerEU: 84
; AccumOffset: 84
; Occupancy: 5
; WaveLimiterHint : 1
; COMPUTE_PGM_RSRC2:SCRATCH_EN: 0
; COMPUTE_PGM_RSRC2:USER_SGPR: 4
; COMPUTE_PGM_RSRC2:TRAP_HANDLER: 0
; COMPUTE_PGM_RSRC2:TGID_X_EN: 1
; COMPUTE_PGM_RSRC2:TGID_Y_EN: 0
; COMPUTE_PGM_RSRC2:TGID_Z_EN: 0
; COMPUTE_PGM_RSRC2:TIDIG_COMP_CNT: 2
; COMPUTE_PGM_RSRC3_GFX90A:ACCUM_OFFSET: 20
; COMPUTE_PGM_RSRC3_GFX90A:TG_SPLIT: 0
	.section	.text._ZN9rocsparseL18bsrxmvn_3x3_kernelILj256ELj64E21rocsparse_complex_numIdEliS1_IfES2_S2_EEvT3_20rocsparse_direction_NS_24const_host_device_scalarIT1_EES4_PKS4_PKT2_SD_SA_PKT4_PKT5_S8_PT6_21rocsparse_index_base_b,"axG",@progbits,_ZN9rocsparseL18bsrxmvn_3x3_kernelILj256ELj64E21rocsparse_complex_numIdEliS1_IfES2_S2_EEvT3_20rocsparse_direction_NS_24const_host_device_scalarIT1_EES4_PKS4_PKT2_SD_SA_PKT4_PKT5_S8_PT6_21rocsparse_index_base_b,comdat
	.globl	_ZN9rocsparseL18bsrxmvn_3x3_kernelILj256ELj64E21rocsparse_complex_numIdEliS1_IfES2_S2_EEvT3_20rocsparse_direction_NS_24const_host_device_scalarIT1_EES4_PKS4_PKT2_SD_SA_PKT4_PKT5_S8_PT6_21rocsparse_index_base_b ; -- Begin function _ZN9rocsparseL18bsrxmvn_3x3_kernelILj256ELj64E21rocsparse_complex_numIdEliS1_IfES2_S2_EEvT3_20rocsparse_direction_NS_24const_host_device_scalarIT1_EES4_PKS4_PKT2_SD_SA_PKT4_PKT5_S8_PT6_21rocsparse_index_base_b
	.p2align	8
	.type	_ZN9rocsparseL18bsrxmvn_3x3_kernelILj256ELj64E21rocsparse_complex_numIdEliS1_IfES2_S2_EEvT3_20rocsparse_direction_NS_24const_host_device_scalarIT1_EES4_PKS4_PKT2_SD_SA_PKT4_PKT5_S8_PT6_21rocsparse_index_base_b,@function
_ZN9rocsparseL18bsrxmvn_3x3_kernelILj256ELj64E21rocsparse_complex_numIdEliS1_IfES2_S2_EEvT3_20rocsparse_direction_NS_24const_host_device_scalarIT1_EES4_PKS4_PKT2_SD_SA_PKT4_PKT5_S8_PT6_21rocsparse_index_base_b: ; @_ZN9rocsparseL18bsrxmvn_3x3_kernelILj256ELj64E21rocsparse_complex_numIdEliS1_IfES2_S2_EEvT3_20rocsparse_direction_NS_24const_host_device_scalarIT1_EES4_PKS4_PKT2_SD_SA_PKT4_PKT5_S8_PT6_21rocsparse_index_base_b
; %bb.0:
	s_load_dwordx2 s[16:17], s[2:3], 0x68
	s_load_dwordx4 s[8:11], s[2:3], 0x8
	s_load_dwordx2 s[18:19], s[0:1], 0x4
	s_load_dwordx4 s[12:15], s[2:3], 0x50
	s_mov_b64 s[6:7], src_shared_base
	v_and_b32_e32 v2, 0x3ff, v0
	s_waitcnt lgkmcnt(0)
	s_bitcmp1_b32 s17, 0
	s_cselect_b64 s[0:1], -1, 0
	s_and_b64 vcc, s[0:1], exec
	s_cselect_b32 s5, s7, s9
	s_lshr_b32 s6, s18, 16
	s_mul_i32 s6, s6, s19
	v_mul_lo_u32 v3, s6, v2
	v_bfe_u32 v4, v0, 10, 10
	v_mad_u32_u24 v3, v4, s19, v3
	v_bfe_u32 v0, v0, 20, 10
	v_add_lshl_u32 v0, v3, v0, 3
	v_mov_b32_e32 v1, s8
	v_add_u32_e32 v3, 0x800, v0
	v_mov_b64_e32 v[4:5], s[8:9]
	v_mov_b64_e32 v[6:7], s[12:13]
	ds_write2st64_b64 v0, v[6:7], v[4:5] offset1:4
	v_cndmask_b32_e64 v4, v1, v3, s[0:1]
	v_mov_b32_e32 v5, s5
	flat_load_dwordx2 v[16:17], v[4:5]
	s_xor_b64 s[18:19], s[0:1], -1
	v_mov_b64_e32 v[18:19], s[10:11]
	s_cbranch_vccnz .LBB174_2
; %bb.1:
	v_mov_b64_e32 v[4:5], s[8:9]
	flat_load_dwordx2 v[18:19], v[4:5] offset:8
.LBB174_2:
	s_and_b64 s[8:9], s[0:1], exec
	s_cselect_b32 s5, s7, s13
	v_mov_b32_e32 v1, s12
	v_cndmask_b32_e64 v0, v1, v0, s[0:1]
	v_mov_b32_e32 v1, s5
	flat_load_dwordx2 v[12:13], v[0:1]
	s_andn2_b64 vcc, exec, s[18:19]
	v_mov_b64_e32 v[14:15], s[14:15]
	s_cbranch_vccnz .LBB174_4
; %bb.3:
	v_mov_b64_e32 v[0:1], s[12:13]
	flat_load_dwordx2 v[14:15], v[0:1] offset:8
.LBB174_4:
	s_waitcnt vmcnt(0) lgkmcnt(0)
	v_cmp_eq_f64_e32 vcc, 0, v[16:17]
	v_cmp_eq_f64_e64 s[0:1], 0, v[18:19]
	s_and_b64 s[8:9], vcc, s[0:1]
	s_mov_b64 s[0:1], -1
	s_and_saveexec_b64 s[6:7], s[8:9]
; %bb.5:
	v_cmp_neq_f64_e32 vcc, 1.0, v[12:13]
	v_cmp_neq_f64_e64 s[0:1], 0, v[14:15]
	s_or_b64 s[0:1], vcc, s[0:1]
	s_orn2_b64 s[0:1], s[0:1], exec
; %bb.6:
	s_or_b64 exec, exec, s[6:7]
	s_and_saveexec_b64 s[6:7], s[0:1]
	s_cbranch_execz .LBB174_12
; %bb.7:
	s_load_dwordx2 s[6:7], s[2:3], 0x20
	s_load_dwordx2 s[0:1], s[2:3], 0x0
	v_lshrrev_b32_e32 v0, 6, v2
	v_lshl_or_b32 v0, s4, 2, v0
	s_mov_b64 s[4:5], 0
	s_waitcnt lgkmcnt(0)
	s_cmp_lg_u64 s[6:7], 0
	s_cbranch_scc0 .LBB174_13
; %bb.8:
	s_load_dword s8, s[2:3], 0x18
                                        ; implicit-def: $vgpr1
	s_waitcnt lgkmcnt(0)
	v_cmp_gt_i32_e32 vcc, s8, v0
	s_and_saveexec_b64 s[8:9], vcc
	s_xor_b64 s[8:9], exec, s[8:9]
	s_cbranch_execz .LBB174_10
; %bb.9:
	v_ashrrev_i32_e32 v1, 31, v0
	v_lshl_add_u64 v[4:5], v[0:1], 2, s[6:7]
	global_load_dword v1, v[4:5], off
	s_mov_b64 s[4:5], exec
	s_waitcnt vmcnt(0)
	v_subrev_u32_e32 v1, s16, v1
.LBB174_10:
	s_or_b64 exec, exec, s[8:9]
	s_branch .LBB174_14
.LBB174_11:
	v_cmp_gt_i32_e32 vcc, s0, v0
	s_andn2_b64 s[4:5], s[4:5], exec
	s_and_b64 s[6:7], vcc, exec
	s_or_b64 s[4:5], s[4:5], s[6:7]
	s_and_b64 exec, exec, s[4:5]
	s_cbranch_execnz .LBB174_15
.LBB174_12:
	s_endpgm
.LBB174_13:
                                        ; implicit-def: $vgpr1
	s_cbranch_execnz .LBB174_11
.LBB174_14:
	v_mov_b32_e32 v0, v1
	s_and_b64 exec, exec, s[4:5]
	s_cbranch_execz .LBB174_12
.LBB174_15:
	s_load_dwordx8 s[4:11], s[2:3], 0x28
	v_ashrrev_i32_e32 v1, 31, v0
	v_lshlrev_b64 v[4:5], 3, v[0:1]
	v_and_b32_e32 v2, 63, v2
	v_mov_b32_e32 v3, 0
	s_waitcnt lgkmcnt(0)
	v_lshl_add_u64 v[6:7], s[4:5], 0, v[4:5]
	global_load_dwordx2 v[8:9], v[6:7], off
	s_cmp_eq_u64 s[6:7], 0
	v_lshl_add_u64 v[4:5], s[6:7], 0, v[4:5]
	v_lshl_add_u64 v[6:7], v[6:7], 0, 8
	s_cselect_b64 vcc, -1, 0
	v_cndmask_b32_e32 v5, v5, v7, vcc
	v_cndmask_b32_e32 v4, v4, v6, vcc
	global_load_dwordx2 v[4:5], v[4:5], off
	s_load_dwordx2 s[4:5], s[2:3], 0x48
	s_movk_i32 s6, 0x48
	v_mov_b64_e32 v[6:7], s[10:11]
	s_cmp_eq_u32 s1, 1
	s_waitcnt vmcnt(1)
	v_subrev_co_u32_e32 v8, vcc, s16, v8
	s_nop 1
	v_subbrev_co_u32_e32 v9, vcc, 0, v9, vcc
	v_lshl_add_u64 v[20:21], v[8:9], 0, v[2:3]
	v_mad_u64_u32 v[24:25], s[0:1], v20, s6, v[6:7]
	s_waitcnt vmcnt(0)
	v_subrev_co_u32_e32 v22, vcc, s16, v4
	v_mov_b32_e32 v4, v25
	s_nop 0
	v_subbrev_co_u32_e32 v23, vcc, 0, v5, vcc
	v_mad_u64_u32 v[4:5], s[0:1], v21, s6, v[4:5]
	v_mov_b32_e32 v25, v4
	v_cmp_lt_i64_e64 s[0:1], v[20:21], v[22:23]
	s_cbranch_scc1 .LBB174_21
; %bb.16:
	v_mov_b64_e32 v[8:9], 0
	s_mov_b64 s[6:7], 0
	v_mov_b64_e32 v[28:29], v[8:9]
	v_mov_b64_e32 v[6:7], v[8:9]
	;; [unrolled: 1-line block ×5, first 2 shown]
	s_and_saveexec_b64 s[10:11], s[0:1]
	s_cbranch_execz .LBB174_20
; %bb.17:
	v_mov_b64_e32 v[8:9], 0
	v_lshl_add_u64 v[30:31], v[20:21], 2, s[8:9]
	s_mov_b64 s[12:13], 0
	s_mov_b64 s[14:15], 0x1200
	;; [unrolled: 1-line block ×3, first 2 shown]
	v_mov_b64_e32 v[32:33], v[20:21]
	v_mov_b64_e32 v[34:35], v[24:25]
	;; [unrolled: 1-line block ×7, first 2 shown]
.LBB174_18:                             ; =>This Inner Loop Header: Depth=1
	global_load_dword v1, v[30:31], off
	global_load_dwordx4 v[36:39], v[34:35], off
	global_load_dwordx4 v[40:43], v[34:35], off offset:16
	global_load_dwordx4 v[44:47], v[34:35], off offset:32
	;; [unrolled: 1-line block ×3, first 2 shown]
	global_load_dwordx2 v[64:65], v[34:35], off offset:64
	v_lshl_add_u64 v[32:33], v[32:33], 0, 64
	v_cmp_ge_i64_e32 vcc, v[32:33], v[22:23]
	v_lshl_add_u64 v[34:35], v[34:35], 0, s[14:15]
	v_lshl_add_u64 v[30:31], v[30:31], 0, s[18:19]
	s_or_b64 s[12:13], vcc, s[12:13]
	s_waitcnt vmcnt(5)
	v_subrev_u32_e32 v1, s16, v1
	v_lshl_add_u32 v52, v1, 1, v1
	v_ashrrev_i32_e32 v53, 31, v52
	s_waitcnt lgkmcnt(0)
	v_lshl_add_u64 v[66:67], v[52:53], 4, s[4:5]
	global_load_dwordx4 v[52:55], v[66:67], off
	global_load_dwordx4 v[56:59], v[66:67], off offset:16
	global_load_dwordx4 v[60:63], v[66:67], off offset:32
	s_waitcnt vmcnt(7)
	v_cvt_f64_f32_e32 v[66:67], v36
	v_cvt_f64_f32_e32 v[36:37], v37
	s_waitcnt vmcnt(6)
	v_cvt_f64_f32_e32 v[72:73], v42
	v_cvt_f64_f32_e32 v[42:43], v43
	;; [unrolled: 3-line block ×3, first 2 shown]
	v_cvt_f64_f32_e32 v[68:69], v38
	v_cvt_f64_f32_e32 v[38:39], v39
	;; [unrolled: 1-line block ×10, first 2 shown]
	s_waitcnt vmcnt(3)
	v_cvt_f64_f32_e32 v[82:83], v64
	v_cvt_f64_f32_e32 v[64:65], v65
	s_waitcnt vmcnt(2)
	v_fmac_f64_e32 v[28:29], v[66:67], v[52:53]
	v_fmac_f64_e32 v[8:9], v[36:37], v[52:53]
	v_fmac_f64_e32 v[26:27], v[72:73], v[52:53]
	v_fmac_f64_e32 v[6:7], v[42:43], v[52:53]
	v_fmac_f64_e32 v[10:11], v[78:79], v[52:53]
	v_fmac_f64_e32 v[4:5], v[48:49], v[52:53]
	v_fma_f64 v[28:29], -v[36:37], v[54:55], v[28:29]
	v_fmac_f64_e32 v[8:9], v[66:67], v[54:55]
	v_fma_f64 v[26:27], -v[42:43], v[54:55], v[26:27]
	v_fmac_f64_e32 v[6:7], v[72:73], v[54:55]
	v_fma_f64 v[10:11], -v[48:49], v[54:55], v[10:11]
	v_fmac_f64_e32 v[4:5], v[78:79], v[54:55]
	s_waitcnt vmcnt(1)
	v_fmac_f64_e32 v[28:29], v[68:69], v[56:57]
	v_fmac_f64_e32 v[8:9], v[38:39], v[56:57]
	v_fmac_f64_e32 v[26:27], v[74:75], v[56:57]
	v_fmac_f64_e32 v[6:7], v[44:45], v[56:57]
	v_fmac_f64_e32 v[10:11], v[80:81], v[56:57]
	v_fmac_f64_e32 v[4:5], v[50:51], v[56:57]
	v_fma_f64 v[28:29], -v[38:39], v[58:59], v[28:29]
	v_fmac_f64_e32 v[8:9], v[68:69], v[58:59]
	v_fma_f64 v[26:27], -v[44:45], v[58:59], v[26:27]
	v_fmac_f64_e32 v[6:7], v[74:75], v[58:59]
	v_fma_f64 v[10:11], -v[50:51], v[58:59], v[10:11]
	v_fmac_f64_e32 v[4:5], v[80:81], v[58:59]
	;; [unrolled: 13-line block ×3, first 2 shown]
	s_andn2_b64 exec, exec, s[12:13]
	s_cbranch_execnz .LBB174_18
; %bb.19:
	s_or_b64 exec, exec, s[12:13]
.LBB174_20:
	s_or_b64 exec, exec, s[10:11]
	s_andn2_b64 vcc, exec, s[6:7]
	s_cbranch_vccz .LBB174_22
	s_branch .LBB174_27
.LBB174_21:
                                        ; implicit-def: $vgpr8_vgpr9
                                        ; implicit-def: $vgpr28_vgpr29
                                        ; implicit-def: $vgpr6_vgpr7
                                        ; implicit-def: $vgpr26_vgpr27
                                        ; implicit-def: $vgpr4_vgpr5
                                        ; implicit-def: $vgpr10_vgpr11
.LBB174_22:
	v_mov_b64_e32 v[8:9], 0
	v_mov_b64_e32 v[28:29], v[8:9]
	;; [unrolled: 1-line block ×6, first 2 shown]
	s_and_saveexec_b64 s[6:7], s[0:1]
	s_cbranch_execz .LBB174_26
; %bb.23:
	v_mov_b64_e32 v[8:9], 0
	v_lshl_add_u64 v[30:31], v[20:21], 2, s[8:9]
	s_mov_b64 s[0:1], 0
	s_mov_b64 s[8:9], 0x1200
	;; [unrolled: 1-line block ×3, first 2 shown]
	v_mov_b64_e32 v[28:29], v[8:9]
	v_mov_b64_e32 v[6:7], v[8:9]
	;; [unrolled: 1-line block ×5, first 2 shown]
.LBB174_24:                             ; =>This Inner Loop Header: Depth=1
	global_load_dword v1, v[30:31], off
	global_load_dwordx4 v[32:35], v[24:25], off
	global_load_dwordx4 v[36:39], v[24:25], off offset:16
	global_load_dwordx4 v[40:43], v[24:25], off offset:32
	;; [unrolled: 1-line block ×3, first 2 shown]
	global_load_dwordx2 v[60:61], v[24:25], off offset:64
	v_lshl_add_u64 v[20:21], v[20:21], 0, 64
	v_cmp_ge_i64_e32 vcc, v[20:21], v[22:23]
	v_lshl_add_u64 v[24:25], v[24:25], 0, s[8:9]
	v_lshl_add_u64 v[30:31], v[30:31], 0, s[10:11]
	s_or_b64 s[0:1], vcc, s[0:1]
	s_waitcnt vmcnt(5)
	v_subrev_u32_e32 v1, s16, v1
	v_lshl_add_u32 v48, v1, 1, v1
	v_ashrrev_i32_e32 v49, 31, v48
	s_waitcnt lgkmcnt(0)
	v_lshl_add_u64 v[62:63], v[48:49], 4, s[4:5]
	global_load_dwordx4 v[48:51], v[62:63], off
	global_load_dwordx4 v[52:55], v[62:63], off offset:16
	global_load_dwordx4 v[56:59], v[62:63], off offset:32
	s_waitcnt vmcnt(7)
	v_cvt_f64_f32_e32 v[62:63], v32
	v_cvt_f64_f32_e32 v[32:33], v33
	v_cvt_f64_f32_e32 v[64:65], v34
	v_cvt_f64_f32_e32 v[34:35], v35
	s_waitcnt vmcnt(6)
	v_cvt_f64_f32_e32 v[66:67], v36
	v_cvt_f64_f32_e32 v[36:37], v37
	v_cvt_f64_f32_e32 v[68:69], v38
	v_cvt_f64_f32_e32 v[38:39], v39
	;; [unrolled: 5-line block ×4, first 2 shown]
	s_waitcnt vmcnt(3)
	v_cvt_f64_f32_e32 v[78:79], v60
	v_cvt_f64_f32_e32 v[60:61], v61
	s_waitcnt vmcnt(2)
	v_fmac_f64_e32 v[28:29], v[62:63], v[48:49]
	v_fmac_f64_e32 v[8:9], v[32:33], v[48:49]
	v_fmac_f64_e32 v[26:27], v[64:65], v[48:49]
	v_fmac_f64_e32 v[6:7], v[34:35], v[48:49]
	v_fmac_f64_e32 v[10:11], v[66:67], v[48:49]
	v_fmac_f64_e32 v[4:5], v[36:37], v[48:49]
	v_fma_f64 v[28:29], -v[32:33], v[50:51], v[28:29]
	v_fmac_f64_e32 v[8:9], v[62:63], v[50:51]
	v_fma_f64 v[26:27], -v[34:35], v[50:51], v[26:27]
	v_fmac_f64_e32 v[6:7], v[64:65], v[50:51]
	v_fma_f64 v[10:11], -v[36:37], v[50:51], v[10:11]
	v_fmac_f64_e32 v[4:5], v[66:67], v[50:51]
	s_waitcnt vmcnt(1)
	v_fmac_f64_e32 v[28:29], v[68:69], v[52:53]
	v_fmac_f64_e32 v[8:9], v[38:39], v[52:53]
	v_fmac_f64_e32 v[26:27], v[70:71], v[52:53]
	v_fmac_f64_e32 v[6:7], v[40:41], v[52:53]
	v_fmac_f64_e32 v[10:11], v[72:73], v[52:53]
	v_fmac_f64_e32 v[4:5], v[42:43], v[52:53]
	v_fma_f64 v[28:29], -v[38:39], v[54:55], v[28:29]
	v_fmac_f64_e32 v[8:9], v[68:69], v[54:55]
	v_fma_f64 v[26:27], -v[40:41], v[54:55], v[26:27]
	v_fmac_f64_e32 v[6:7], v[70:71], v[54:55]
	v_fma_f64 v[10:11], -v[42:43], v[54:55], v[10:11]
	v_fmac_f64_e32 v[4:5], v[72:73], v[54:55]
	;; [unrolled: 13-line block ×3, first 2 shown]
	s_andn2_b64 exec, exec, s[0:1]
	s_cbranch_execnz .LBB174_24
; %bb.25:
	s_or_b64 exec, exec, s[0:1]
.LBB174_26:
	s_or_b64 exec, exec, s[6:7]
.LBB174_27:
	v_mov_b32_dpp v20, v28 row_shr:1 row_mask:0xf bank_mask:0xf
	v_mov_b32_dpp v21, v29 row_shr:1 row_mask:0xf bank_mask:0xf
	v_add_f64 v[20:21], v[28:29], v[20:21]
	v_mov_b32_dpp v24, v8 row_shr:1 row_mask:0xf bank_mask:0xf
	v_mov_b32_dpp v25, v9 row_shr:1 row_mask:0xf bank_mask:0xf
	;; [unrolled: 1-line block ×10, first 2 shown]
	v_add_f64 v[8:9], v[8:9], v[24:25]
	v_add_f64 v[26:27], v[26:27], v[28:29]
	v_add_f64 v[6:7], v[6:7], v[30:31]
	v_add_f64 v[10:11], v[10:11], v[32:33]
	v_add_f64 v[4:5], v[4:5], v[34:35]
	v_mov_b32_dpp v22, v20 row_shr:2 row_mask:0xf bank_mask:0xf
	v_mov_b32_dpp v23, v21 row_shr:2 row_mask:0xf bank_mask:0xf
	v_mov_b32_dpp v24, v8 row_shr:2 row_mask:0xf bank_mask:0xf
	v_mov_b32_dpp v25, v9 row_shr:2 row_mask:0xf bank_mask:0xf
	v_mov_b32_dpp v28, v26 row_shr:2 row_mask:0xf bank_mask:0xf
	v_mov_b32_dpp v29, v27 row_shr:2 row_mask:0xf bank_mask:0xf
	v_mov_b32_dpp v30, v6 row_shr:2 row_mask:0xf bank_mask:0xf
	v_mov_b32_dpp v31, v7 row_shr:2 row_mask:0xf bank_mask:0xf
	v_mov_b32_dpp v32, v10 row_shr:2 row_mask:0xf bank_mask:0xf
	v_mov_b32_dpp v33, v11 row_shr:2 row_mask:0xf bank_mask:0xf
	v_mov_b32_dpp v34, v4 row_shr:2 row_mask:0xf bank_mask:0xf
	v_mov_b32_dpp v35, v5 row_shr:2 row_mask:0xf bank_mask:0xf
	v_add_f64 v[20:21], v[20:21], v[22:23]
	v_add_f64 v[8:9], v[8:9], v[24:25]
	v_add_f64 v[26:27], v[26:27], v[28:29]
	v_add_f64 v[6:7], v[6:7], v[30:31]
	v_add_f64 v[10:11], v[10:11], v[32:33]
	v_add_f64 v[4:5], v[4:5], v[34:35]
	v_mov_b32_dpp v22, v20 row_shr:4 row_mask:0xf bank_mask:0xe
	v_mov_b32_dpp v23, v21 row_shr:4 row_mask:0xf bank_mask:0xe
	v_mov_b32_dpp v24, v8 row_shr:4 row_mask:0xf bank_mask:0xe
	v_mov_b32_dpp v25, v9 row_shr:4 row_mask:0xf bank_mask:0xe
	v_mov_b32_dpp v28, v26 row_shr:4 row_mask:0xf bank_mask:0xe
	v_mov_b32_dpp v29, v27 row_shr:4 row_mask:0xf bank_mask:0xe
	v_mov_b32_dpp v30, v6 row_shr:4 row_mask:0xf bank_mask:0xe
	v_mov_b32_dpp v31, v7 row_shr:4 row_mask:0xf bank_mask:0xe
	v_mov_b32_dpp v32, v10 row_shr:4 row_mask:0xf bank_mask:0xe
	v_mov_b32_dpp v33, v11 row_shr:4 row_mask:0xf bank_mask:0xe
	v_mov_b32_dpp v34, v4 row_shr:4 row_mask:0xf bank_mask:0xe
	v_mov_b32_dpp v35, v5 row_shr:4 row_mask:0xf bank_mask:0xe
	v_add_f64 v[20:21], v[20:21], v[22:23]
	;; [unrolled: 18-line block ×3, first 2 shown]
	v_add_f64 v[8:9], v[8:9], v[24:25]
	v_add_f64 v[26:27], v[26:27], v[28:29]
	;; [unrolled: 1-line block ×5, first 2 shown]
	v_mov_b32_dpp v22, v20 row_bcast:15 row_mask:0xa bank_mask:0xf
	v_mov_b32_dpp v23, v21 row_bcast:15 row_mask:0xa bank_mask:0xf
	v_mov_b32_dpp v24, v8 row_bcast:15 row_mask:0xa bank_mask:0xf
	v_mov_b32_dpp v25, v9 row_bcast:15 row_mask:0xa bank_mask:0xf
	v_mov_b32_dpp v28, v26 row_bcast:15 row_mask:0xa bank_mask:0xf
	v_mov_b32_dpp v29, v27 row_bcast:15 row_mask:0xa bank_mask:0xf
	v_mov_b32_dpp v30, v6 row_bcast:15 row_mask:0xa bank_mask:0xf
	v_mov_b32_dpp v31, v7 row_bcast:15 row_mask:0xa bank_mask:0xf
	v_mov_b32_dpp v32, v10 row_bcast:15 row_mask:0xa bank_mask:0xf
	v_mov_b32_dpp v33, v11 row_bcast:15 row_mask:0xa bank_mask:0xf
	v_mov_b32_dpp v34, v4 row_bcast:15 row_mask:0xa bank_mask:0xf
	v_mov_b32_dpp v35, v5 row_bcast:15 row_mask:0xa bank_mask:0xf
	v_add_f64 v[20:21], v[20:21], v[22:23]
	v_add_f64 v[8:9], v[8:9], v[24:25]
	;; [unrolled: 1-line block ×6, first 2 shown]
	v_mov_b32_dpp v22, v20 row_bcast:31 row_mask:0xc bank_mask:0xf
	v_mov_b32_dpp v23, v21 row_bcast:31 row_mask:0xc bank_mask:0xf
	;; [unrolled: 1-line block ×12, first 2 shown]
	v_cmp_eq_u32_e32 vcc, 63, v2
	s_and_b64 exec, exec, vcc
	s_cbranch_execz .LBB174_12
; %bb.28:
	s_load_dwordx2 s[2:3], s[2:3], 0x60
	v_add_f64 v[2:3], v[8:9], v[24:25]
	v_add_f64 v[24:25], v[26:27], v[28:29]
	;; [unrolled: 1-line block ×6, first 2 shown]
	v_cmp_eq_f64_e32 vcc, 0, v[12:13]
	v_cmp_eq_f64_e64 s[0:1], 0, v[14:15]
	v_mul_f64 v[8:9], v[2:3], -v[18:19]
	v_mul_f64 v[10:11], v[16:17], v[2:3]
	v_lshl_add_u32 v20, v0, 1, v0
	v_mul_f64 v[4:5], v[6:7], -v[18:19]
	v_mul_f64 v[6:7], v[16:17], v[6:7]
	v_mul_f64 v[0:1], v[28:29], -v[18:19]
	v_mul_f64 v[2:3], v[16:17], v[28:29]
	s_and_b64 s[0:1], vcc, s[0:1]
	v_fmac_f64_e32 v[8:9], v[16:17], v[22:23]
	v_fmac_f64_e32 v[10:11], v[18:19], v[22:23]
	v_ashrrev_i32_e32 v21, 31, v20
	v_fmac_f64_e32 v[4:5], v[16:17], v[24:25]
	v_fmac_f64_e32 v[6:7], v[18:19], v[24:25]
	;; [unrolled: 1-line block ×4, first 2 shown]
	s_waitcnt lgkmcnt(0)
	s_and_saveexec_b64 s[4:5], s[0:1]
	s_xor_b64 s[0:1], exec, s[4:5]
	s_cbranch_execz .LBB174_30
; %bb.29:
	v_lshl_add_u64 v[12:13], v[20:21], 4, s[2:3]
	global_store_dwordx4 v[12:13], v[8:11], off
	global_store_dwordx4 v[12:13], v[4:7], off offset:16
	global_store_dwordx4 v[12:13], v[0:3], off offset:32
                                        ; implicit-def: $vgpr12_vgpr13
                                        ; implicit-def: $vgpr14_vgpr15
                                        ; implicit-def: $vgpr20
                                        ; implicit-def: $vgpr8_vgpr9
                                        ; implicit-def: $vgpr4_vgpr5
                                        ; implicit-def: $vgpr0_vgpr1
.LBB174_30:
	s_andn2_saveexec_b64 s[0:1], s[0:1]
	s_cbranch_execz .LBB174_12
; %bb.31:
	v_lshl_add_u64 v[28:29], v[20:21], 4, s[2:3]
	global_load_dwordx4 v[16:19], v[28:29], off
	global_load_dwordx4 v[20:23], v[28:29], off offset:16
	global_load_dwordx4 v[24:27], v[28:29], off offset:32
	s_waitcnt vmcnt(2)
	v_fmac_f64_e32 v[8:9], v[12:13], v[16:17]
	v_fmac_f64_e32 v[10:11], v[14:15], v[16:17]
	s_waitcnt vmcnt(1)
	v_fmac_f64_e32 v[4:5], v[12:13], v[20:21]
	v_fmac_f64_e32 v[6:7], v[14:15], v[20:21]
	;; [unrolled: 3-line block ×3, first 2 shown]
	v_fma_f64 v[8:9], -v[14:15], v[18:19], v[8:9]
	v_fmac_f64_e32 v[10:11], v[12:13], v[18:19]
	v_fma_f64 v[4:5], -v[14:15], v[22:23], v[4:5]
	v_fmac_f64_e32 v[6:7], v[12:13], v[22:23]
	;; [unrolled: 2-line block ×3, first 2 shown]
	global_store_dwordx4 v[28:29], v[8:11], off
	global_store_dwordx4 v[28:29], v[4:7], off offset:16
	global_store_dwordx4 v[28:29], v[0:3], off offset:32
	s_endpgm
	.section	.rodata,"a",@progbits
	.p2align	6, 0x0
	.amdhsa_kernel _ZN9rocsparseL18bsrxmvn_3x3_kernelILj256ELj64E21rocsparse_complex_numIdEliS1_IfES2_S2_EEvT3_20rocsparse_direction_NS_24const_host_device_scalarIT1_EES4_PKS4_PKT2_SD_SA_PKT4_PKT5_S8_PT6_21rocsparse_index_base_b
		.amdhsa_group_segment_fixed_size 4096
		.amdhsa_private_segment_fixed_size 0
		.amdhsa_kernarg_size 112
		.amdhsa_user_sgpr_count 4
		.amdhsa_user_sgpr_dispatch_ptr 1
		.amdhsa_user_sgpr_queue_ptr 0
		.amdhsa_user_sgpr_kernarg_segment_ptr 1
		.amdhsa_user_sgpr_dispatch_id 0
		.amdhsa_user_sgpr_kernarg_preload_length 0
		.amdhsa_user_sgpr_kernarg_preload_offset 0
		.amdhsa_user_sgpr_private_segment_size 0
		.amdhsa_uses_dynamic_stack 0
		.amdhsa_enable_private_segment 0
		.amdhsa_system_sgpr_workgroup_id_x 1
		.amdhsa_system_sgpr_workgroup_id_y 0
		.amdhsa_system_sgpr_workgroup_id_z 0
		.amdhsa_system_sgpr_workgroup_info 0
		.amdhsa_system_vgpr_workitem_id 2
		.amdhsa_next_free_vgpr 84
		.amdhsa_next_free_sgpr 20
		.amdhsa_accum_offset 84
		.amdhsa_reserve_vcc 1
		.amdhsa_float_round_mode_32 0
		.amdhsa_float_round_mode_16_64 0
		.amdhsa_float_denorm_mode_32 3
		.amdhsa_float_denorm_mode_16_64 3
		.amdhsa_dx10_clamp 1
		.amdhsa_ieee_mode 1
		.amdhsa_fp16_overflow 0
		.amdhsa_tg_split 0
		.amdhsa_exception_fp_ieee_invalid_op 0
		.amdhsa_exception_fp_denorm_src 0
		.amdhsa_exception_fp_ieee_div_zero 0
		.amdhsa_exception_fp_ieee_overflow 0
		.amdhsa_exception_fp_ieee_underflow 0
		.amdhsa_exception_fp_ieee_inexact 0
		.amdhsa_exception_int_div_zero 0
	.end_amdhsa_kernel
	.section	.text._ZN9rocsparseL18bsrxmvn_3x3_kernelILj256ELj64E21rocsparse_complex_numIdEliS1_IfES2_S2_EEvT3_20rocsparse_direction_NS_24const_host_device_scalarIT1_EES4_PKS4_PKT2_SD_SA_PKT4_PKT5_S8_PT6_21rocsparse_index_base_b,"axG",@progbits,_ZN9rocsparseL18bsrxmvn_3x3_kernelILj256ELj64E21rocsparse_complex_numIdEliS1_IfES2_S2_EEvT3_20rocsparse_direction_NS_24const_host_device_scalarIT1_EES4_PKS4_PKT2_SD_SA_PKT4_PKT5_S8_PT6_21rocsparse_index_base_b,comdat
.Lfunc_end174:
	.size	_ZN9rocsparseL18bsrxmvn_3x3_kernelILj256ELj64E21rocsparse_complex_numIdEliS1_IfES2_S2_EEvT3_20rocsparse_direction_NS_24const_host_device_scalarIT1_EES4_PKS4_PKT2_SD_SA_PKT4_PKT5_S8_PT6_21rocsparse_index_base_b, .Lfunc_end174-_ZN9rocsparseL18bsrxmvn_3x3_kernelILj256ELj64E21rocsparse_complex_numIdEliS1_IfES2_S2_EEvT3_20rocsparse_direction_NS_24const_host_device_scalarIT1_EES4_PKS4_PKT2_SD_SA_PKT4_PKT5_S8_PT6_21rocsparse_index_base_b
                                        ; -- End function
	.section	.AMDGPU.csdata,"",@progbits
; Kernel info:
; codeLenInByte = 2872
; NumSgprs: 26
; NumVgprs: 84
; NumAgprs: 0
; TotalNumVgprs: 84
; ScratchSize: 0
; MemoryBound: 0
; FloatMode: 240
; IeeeMode: 1
; LDSByteSize: 4096 bytes/workgroup (compile time only)
; SGPRBlocks: 3
; VGPRBlocks: 10
; NumSGPRsForWavesPerEU: 26
; NumVGPRsForWavesPerEU: 84
; AccumOffset: 84
; Occupancy: 5
; WaveLimiterHint : 1
; COMPUTE_PGM_RSRC2:SCRATCH_EN: 0
; COMPUTE_PGM_RSRC2:USER_SGPR: 4
; COMPUTE_PGM_RSRC2:TRAP_HANDLER: 0
; COMPUTE_PGM_RSRC2:TGID_X_EN: 1
; COMPUTE_PGM_RSRC2:TGID_Y_EN: 0
; COMPUTE_PGM_RSRC2:TGID_Z_EN: 0
; COMPUTE_PGM_RSRC2:TIDIG_COMP_CNT: 2
; COMPUTE_PGM_RSRC3_GFX90A:ACCUM_OFFSET: 20
; COMPUTE_PGM_RSRC3_GFX90A:TG_SPLIT: 0
	.section	.text._ZN9rocsparseL18bsrxmvn_3x3_kernelILj256ELj4E21rocsparse_complex_numIdEllS1_IfES2_S2_EEvT3_20rocsparse_direction_NS_24const_host_device_scalarIT1_EES4_PKS4_PKT2_SD_SA_PKT4_PKT5_S8_PT6_21rocsparse_index_base_b,"axG",@progbits,_ZN9rocsparseL18bsrxmvn_3x3_kernelILj256ELj4E21rocsparse_complex_numIdEllS1_IfES2_S2_EEvT3_20rocsparse_direction_NS_24const_host_device_scalarIT1_EES4_PKS4_PKT2_SD_SA_PKT4_PKT5_S8_PT6_21rocsparse_index_base_b,comdat
	.globl	_ZN9rocsparseL18bsrxmvn_3x3_kernelILj256ELj4E21rocsparse_complex_numIdEllS1_IfES2_S2_EEvT3_20rocsparse_direction_NS_24const_host_device_scalarIT1_EES4_PKS4_PKT2_SD_SA_PKT4_PKT5_S8_PT6_21rocsparse_index_base_b ; -- Begin function _ZN9rocsparseL18bsrxmvn_3x3_kernelILj256ELj4E21rocsparse_complex_numIdEllS1_IfES2_S2_EEvT3_20rocsparse_direction_NS_24const_host_device_scalarIT1_EES4_PKS4_PKT2_SD_SA_PKT4_PKT5_S8_PT6_21rocsparse_index_base_b
	.p2align	8
	.type	_ZN9rocsparseL18bsrxmvn_3x3_kernelILj256ELj4E21rocsparse_complex_numIdEllS1_IfES2_S2_EEvT3_20rocsparse_direction_NS_24const_host_device_scalarIT1_EES4_PKS4_PKT2_SD_SA_PKT4_PKT5_S8_PT6_21rocsparse_index_base_b,@function
_ZN9rocsparseL18bsrxmvn_3x3_kernelILj256ELj4E21rocsparse_complex_numIdEllS1_IfES2_S2_EEvT3_20rocsparse_direction_NS_24const_host_device_scalarIT1_EES4_PKS4_PKT2_SD_SA_PKT4_PKT5_S8_PT6_21rocsparse_index_base_b: ; @_ZN9rocsparseL18bsrxmvn_3x3_kernelILj256ELj4E21rocsparse_complex_numIdEllS1_IfES2_S2_EEvT3_20rocsparse_direction_NS_24const_host_device_scalarIT1_EES4_PKS4_PKT2_SD_SA_PKT4_PKT5_S8_PT6_21rocsparse_index_base_b
; %bb.0:
	s_load_dwordx2 s[16:17], s[2:3], 0x70
	s_load_dwordx4 s[12:15], s[2:3], 0x10
	s_load_dwordx2 s[18:19], s[0:1], 0x4
	s_load_dwordx4 s[8:11], s[2:3], 0x58
	s_mov_b64 s[6:7], src_shared_base
	v_and_b32_e32 v2, 0x3ff, v0
	s_waitcnt lgkmcnt(0)
	s_bitcmp1_b32 s17, 0
	s_cselect_b64 s[0:1], -1, 0
	s_and_b64 vcc, s[0:1], exec
	s_cselect_b32 s5, s7, s13
	s_lshr_b32 s6, s18, 16
	s_mul_i32 s6, s6, s19
	v_mul_lo_u32 v3, s6, v2
	v_bfe_u32 v4, v0, 10, 10
	v_mad_u32_u24 v3, v4, s19, v3
	v_bfe_u32 v0, v0, 20, 10
	v_add_lshl_u32 v0, v3, v0, 3
	v_mov_b32_e32 v1, s12
	v_add_u32_e32 v3, 0x800, v0
	v_mov_b64_e32 v[4:5], s[12:13]
	v_mov_b64_e32 v[6:7], s[8:9]
	ds_write2st64_b64 v0, v[6:7], v[4:5] offset1:4
	v_cndmask_b32_e64 v4, v1, v3, s[0:1]
	v_mov_b32_e32 v5, s5
	flat_load_dwordx2 v[16:17], v[4:5]
	s_xor_b64 s[18:19], s[0:1], -1
	v_mov_b64_e32 v[18:19], s[14:15]
	s_cbranch_vccnz .LBB175_2
; %bb.1:
	v_mov_b64_e32 v[4:5], s[12:13]
	flat_load_dwordx2 v[18:19], v[4:5] offset:8
.LBB175_2:
	s_and_b64 s[12:13], s[0:1], exec
	s_cselect_b32 s5, s7, s9
	v_mov_b32_e32 v1, s8
	v_cndmask_b32_e64 v0, v1, v0, s[0:1]
	v_mov_b32_e32 v1, s5
	flat_load_dwordx2 v[12:13], v[0:1]
	s_andn2_b64 vcc, exec, s[18:19]
	v_mov_b64_e32 v[14:15], s[10:11]
	s_cbranch_vccnz .LBB175_4
; %bb.3:
	v_mov_b64_e32 v[0:1], s[8:9]
	flat_load_dwordx2 v[14:15], v[0:1] offset:8
.LBB175_4:
	s_waitcnt vmcnt(0) lgkmcnt(0)
	v_cmp_eq_f64_e32 vcc, 0, v[16:17]
	v_cmp_eq_f64_e64 s[0:1], 0, v[18:19]
	s_and_b64 s[8:9], vcc, s[0:1]
	s_mov_b64 s[0:1], -1
	s_and_saveexec_b64 s[6:7], s[8:9]
; %bb.5:
	v_cmp_neq_f64_e32 vcc, 1.0, v[12:13]
	v_cmp_neq_f64_e64 s[0:1], 0, v[14:15]
	s_or_b64 s[0:1], vcc, s[0:1]
	s_orn2_b64 s[0:1], s[0:1], exec
; %bb.6:
	s_or_b64 exec, exec, s[6:7]
	s_and_saveexec_b64 s[6:7], s[0:1]
	s_cbranch_execz .LBB175_12
; %bb.7:
	s_load_dwordx2 s[6:7], s[2:3], 0x28
	v_lshrrev_b32_e32 v0, 2, v2
	v_lshl_or_b32 v0, s4, 6, v0
	v_mov_b32_e32 v1, 0
	s_mov_b64 s[0:1], 0
	s_waitcnt lgkmcnt(0)
	s_cmp_lg_u64 s[6:7], 0
	s_cbranch_scc0 .LBB175_13
; %bb.8:
	s_load_dwordx2 s[4:5], s[2:3], 0x20
                                        ; implicit-def: $vgpr20_vgpr21
	s_waitcnt lgkmcnt(0)
	v_cmp_gt_i64_e32 vcc, s[4:5], v[0:1]
	s_and_saveexec_b64 s[4:5], vcc
	s_xor_b64 s[4:5], exec, s[4:5]
                                        ; implicit-def: $sgpr12_sgpr13
	s_cbranch_execz .LBB175_10
; %bb.9:
	v_lshl_add_u64 v[4:5], v[0:1], 3, s[6:7]
	global_load_dwordx2 v[4:5], v[4:5], off
	s_mov_b64 s[0:1], exec
	s_mov_b32 s13, 0
	s_waitcnt vmcnt(0)
	v_subrev_co_u32_e32 v20, vcc, s16, v4
	s_nop 1
	v_subbrev_co_u32_e32 v21, vcc, 0, v5, vcc
.LBB175_10:
	s_or_b64 exec, exec, s[4:5]
.LBB175_11:
	s_and_b64 exec, exec, s[0:1]
	s_cbranch_execnz .LBB175_17
.LBB175_12:
	s_endpgm
.LBB175_13:
                                        ; implicit-def: $vgpr20_vgpr21
                                        ; implicit-def: $sgpr12_sgpr13
	s_cbranch_execz .LBB175_11
; %bb.14:
	s_load_dwordx2 s[4:5], s[2:3], 0x0
                                        ; implicit-def: $vgpr20_vgpr21
	s_waitcnt lgkmcnt(0)
	v_cmp_gt_i64_e32 vcc, s[4:5], v[0:1]
	s_and_saveexec_b64 s[4:5], vcc
                                        ; implicit-def: $sgpr12_sgpr13
; %bb.15:
	s_mov_b32 s13, 0
	s_or_b64 s[0:1], s[0:1], exec
	v_mov_b64_e32 v[20:21], v[0:1]
; %bb.16:
	s_or_b64 exec, exec, s[4:5]
	s_and_b64 exec, exec, s[0:1]
	s_cbranch_execz .LBB175_12
.LBB175_17:
	s_load_dwordx8 s[4:11], s[2:3], 0x30
	v_lshlrev_b64 v[0:1], 3, v[20:21]
	s_load_dword s0, s[2:3], 0x8
	v_mov_b32_e32 v11, s13
	s_waitcnt lgkmcnt(0)
	v_lshl_add_u64 v[4:5], s[4:5], 0, v[0:1]
	global_load_dwordx2 v[6:7], v[4:5], off
	s_cmp_eq_u64 s[6:7], 0
	v_lshl_add_u64 v[0:1], s[6:7], 0, v[0:1]
	v_lshl_add_u64 v[4:5], v[4:5], 0, 8
	s_cselect_b64 vcc, -1, 0
	v_cndmask_b32_e32 v1, v1, v5, vcc
	v_cndmask_b32_e32 v0, v0, v4, vcc
	global_load_dwordx2 v[4:5], v[0:1], off
	v_and_b32_e32 v0, 3, v2
	v_mov_b32_e32 v1, 0
	s_load_dwordx2 s[4:5], s[2:3], 0x50
	s_movk_i32 s6, 0x48
	v_mov_b64_e32 v[2:3], s[10:11]
	s_cmp_eq_u32 s0, 1
	s_waitcnt vmcnt(1)
	v_subrev_co_u32_e32 v6, vcc, s16, v6
	s_nop 1
	v_subb_co_u32_e32 v7, vcc, v7, v11, vcc
	v_lshl_add_u64 v[8:9], v[6:7], 0, v[0:1]
	v_mad_u64_u32 v[22:23], s[0:1], v8, s6, v[2:3]
	s_waitcnt vmcnt(0)
	v_subrev_co_u32_e32 v10, vcc, s16, v4
	v_mov_b32_e32 v2, v23
	s_nop 0
	v_subb_co_u32_e32 v11, vcc, v5, v11, vcc
	v_mad_u64_u32 v[2:3], s[0:1], v9, s6, v[2:3]
	v_mov_b32_e32 v23, v2
	v_cmp_lt_i64_e64 s[0:1], v[8:9], v[10:11]
	s_cbranch_scc1 .LBB175_23
; %bb.18:
	v_mov_b64_e32 v[2:3], 0
	s_mov_b64 s[6:7], 0
	v_mov_b64_e32 v[28:29], v[2:3]
	v_mov_b64_e32 v[6:7], v[2:3]
	;; [unrolled: 1-line block ×5, first 2 shown]
	s_and_saveexec_b64 s[10:11], s[0:1]
	s_cbranch_execz .LBB175_22
; %bb.19:
	v_mov_b64_e32 v[2:3], 0
	v_lshl_add_u64 v[30:31], v[8:9], 3, s[8:9]
	s_mov_b64 s[14:15], 0
	v_mov_b32_e32 v1, s13
	s_mov_b64 s[18:19], 0x120
	v_mov_b64_e32 v[32:33], v[8:9]
	v_mov_b64_e32 v[34:35], v[22:23]
	;; [unrolled: 1-line block ×7, first 2 shown]
.LBB175_20:                             ; =>This Inner Loop Header: Depth=1
	global_load_dwordx2 v[52:53], v[30:31], off
	global_load_dwordx4 v[36:39], v[34:35], off
	global_load_dwordx4 v[40:43], v[34:35], off offset:16
	global_load_dwordx4 v[44:47], v[34:35], off offset:32
	global_load_dwordx4 v[48:51], v[34:35], off offset:48
	global_load_dwordx2 v[64:65], v[34:35], off offset:64
	v_lshl_add_u64 v[32:33], v[32:33], 0, 4
	v_lshl_add_u64 v[34:35], v[34:35], 0, s[18:19]
	v_lshl_add_u64 v[30:31], v[30:31], 0, 32
	s_waitcnt vmcnt(5)
	v_subrev_co_u32_e32 v52, vcc, s16, v52
	s_waitcnt lgkmcnt(0)
	v_mad_u64_u32 v[66:67], s[20:21], v52, 48, s[4:5]
	v_subb_co_u32_e32 v53, vcc, v53, v1, vcc
	v_mov_b32_e32 v52, v67
	v_mad_u64_u32 v[52:53], s[20:21], v53, 48, v[52:53]
	v_mov_b32_e32 v67, v52
	global_load_dwordx4 v[52:55], v[66:67], off
	global_load_dwordx4 v[56:59], v[66:67], off offset:16
	global_load_dwordx4 v[60:63], v[66:67], off offset:32
	s_waitcnt vmcnt(7)
	v_cvt_f64_f32_e32 v[66:67], v36
	v_cvt_f64_f32_e32 v[36:37], v37
	s_waitcnt vmcnt(6)
	v_cvt_f64_f32_e32 v[72:73], v42
	v_cvt_f64_f32_e32 v[42:43], v43
	;; [unrolled: 3-line block ×3, first 2 shown]
	v_cvt_f64_f32_e32 v[68:69], v38
	v_cvt_f64_f32_e32 v[38:39], v39
	;; [unrolled: 1-line block ×10, first 2 shown]
	s_waitcnt vmcnt(3)
	v_cvt_f64_f32_e32 v[82:83], v64
	v_cvt_f64_f32_e32 v[64:65], v65
	v_cmp_ge_i64_e32 vcc, v[32:33], v[10:11]
	s_or_b64 s[14:15], vcc, s[14:15]
	s_waitcnt vmcnt(2)
	v_fmac_f64_e32 v[28:29], v[66:67], v[52:53]
	v_fmac_f64_e32 v[2:3], v[36:37], v[52:53]
	v_fmac_f64_e32 v[26:27], v[72:73], v[52:53]
	v_fmac_f64_e32 v[6:7], v[42:43], v[52:53]
	v_fmac_f64_e32 v[24:25], v[78:79], v[52:53]
	v_fmac_f64_e32 v[4:5], v[48:49], v[52:53]
	v_fma_f64 v[28:29], -v[36:37], v[54:55], v[28:29]
	v_fmac_f64_e32 v[2:3], v[66:67], v[54:55]
	v_fma_f64 v[26:27], -v[42:43], v[54:55], v[26:27]
	v_fmac_f64_e32 v[6:7], v[72:73], v[54:55]
	v_fma_f64 v[24:25], -v[48:49], v[54:55], v[24:25]
	v_fmac_f64_e32 v[4:5], v[78:79], v[54:55]
	s_waitcnt vmcnt(1)
	v_fmac_f64_e32 v[28:29], v[68:69], v[56:57]
	v_fmac_f64_e32 v[2:3], v[38:39], v[56:57]
	v_fmac_f64_e32 v[26:27], v[74:75], v[56:57]
	v_fmac_f64_e32 v[6:7], v[44:45], v[56:57]
	v_fmac_f64_e32 v[24:25], v[80:81], v[56:57]
	v_fmac_f64_e32 v[4:5], v[50:51], v[56:57]
	v_fma_f64 v[28:29], -v[38:39], v[58:59], v[28:29]
	v_fmac_f64_e32 v[2:3], v[68:69], v[58:59]
	v_fma_f64 v[26:27], -v[44:45], v[58:59], v[26:27]
	v_fmac_f64_e32 v[6:7], v[74:75], v[58:59]
	v_fma_f64 v[24:25], -v[50:51], v[58:59], v[24:25]
	v_fmac_f64_e32 v[4:5], v[80:81], v[58:59]
	s_waitcnt vmcnt(0)
	v_fmac_f64_e32 v[28:29], v[70:71], v[60:61]
	v_fmac_f64_e32 v[2:3], v[40:41], v[60:61]
	v_fmac_f64_e32 v[26:27], v[76:77], v[60:61]
	v_fmac_f64_e32 v[6:7], v[46:47], v[60:61]
	v_fmac_f64_e32 v[24:25], v[82:83], v[60:61]
	v_fmac_f64_e32 v[4:5], v[64:65], v[60:61]
	v_fma_f64 v[28:29], -v[40:41], v[62:63], v[28:29]
	v_fmac_f64_e32 v[2:3], v[70:71], v[62:63]
	v_fma_f64 v[26:27], -v[46:47], v[62:63], v[26:27]
	v_fmac_f64_e32 v[6:7], v[76:77], v[62:63]
	v_fma_f64 v[24:25], -v[64:65], v[62:63], v[24:25]
	v_fmac_f64_e32 v[4:5], v[82:83], v[62:63]
	s_andn2_b64 exec, exec, s[14:15]
	s_cbranch_execnz .LBB175_20
; %bb.21:
	s_or_b64 exec, exec, s[14:15]
.LBB175_22:
	s_or_b64 exec, exec, s[10:11]
	s_andn2_b64 vcc, exec, s[6:7]
	s_cbranch_vccz .LBB175_24
	s_branch .LBB175_29
.LBB175_23:
                                        ; implicit-def: $vgpr2_vgpr3
                                        ; implicit-def: $vgpr28_vgpr29
                                        ; implicit-def: $vgpr6_vgpr7
                                        ; implicit-def: $vgpr26_vgpr27
                                        ; implicit-def: $vgpr4_vgpr5
                                        ; implicit-def: $vgpr24_vgpr25
.LBB175_24:
	v_mov_b64_e32 v[2:3], 0
	v_mov_b64_e32 v[28:29], v[2:3]
	;; [unrolled: 1-line block ×6, first 2 shown]
	s_and_saveexec_b64 s[6:7], s[0:1]
	s_cbranch_execz .LBB175_28
; %bb.25:
	v_mov_b64_e32 v[2:3], 0
	v_lshl_add_u64 v[30:31], v[8:9], 3, s[8:9]
	s_mov_b64 s[0:1], 0
	v_mov_b32_e32 v1, s13
	s_mov_b64 s[8:9], 0x120
	v_mov_b64_e32 v[28:29], v[2:3]
	v_mov_b64_e32 v[6:7], v[2:3]
	;; [unrolled: 1-line block ×5, first 2 shown]
.LBB175_26:                             ; =>This Inner Loop Header: Depth=1
	global_load_dwordx2 v[48:49], v[30:31], off
	global_load_dwordx4 v[32:35], v[22:23], off
	global_load_dwordx4 v[36:39], v[22:23], off offset:16
	global_load_dwordx4 v[40:43], v[22:23], off offset:32
	;; [unrolled: 1-line block ×3, first 2 shown]
	global_load_dwordx2 v[60:61], v[22:23], off offset:64
	v_lshl_add_u64 v[8:9], v[8:9], 0, 4
	v_lshl_add_u64 v[22:23], v[22:23], 0, s[8:9]
	;; [unrolled: 1-line block ×3, first 2 shown]
	s_waitcnt vmcnt(5)
	v_subrev_co_u32_e32 v48, vcc, s16, v48
	s_waitcnt lgkmcnt(0)
	v_mad_u64_u32 v[62:63], s[10:11], v48, 48, s[4:5]
	v_subb_co_u32_e32 v49, vcc, v49, v1, vcc
	v_mov_b32_e32 v48, v63
	v_mad_u64_u32 v[48:49], s[10:11], v49, 48, v[48:49]
	v_mov_b32_e32 v63, v48
	global_load_dwordx4 v[48:51], v[62:63], off
	global_load_dwordx4 v[52:55], v[62:63], off offset:16
	global_load_dwordx4 v[56:59], v[62:63], off offset:32
	s_waitcnt vmcnt(7)
	v_cvt_f64_f32_e32 v[62:63], v32
	v_cvt_f64_f32_e32 v[32:33], v33
	v_cvt_f64_f32_e32 v[64:65], v34
	v_cvt_f64_f32_e32 v[34:35], v35
	s_waitcnt vmcnt(6)
	v_cvt_f64_f32_e32 v[66:67], v36
	v_cvt_f64_f32_e32 v[36:37], v37
	v_cvt_f64_f32_e32 v[68:69], v38
	v_cvt_f64_f32_e32 v[38:39], v39
	;; [unrolled: 5-line block ×4, first 2 shown]
	s_waitcnt vmcnt(3)
	v_cvt_f64_f32_e32 v[78:79], v60
	v_cvt_f64_f32_e32 v[60:61], v61
	v_cmp_ge_i64_e32 vcc, v[8:9], v[10:11]
	s_or_b64 s[0:1], vcc, s[0:1]
	s_waitcnt vmcnt(2)
	v_fmac_f64_e32 v[28:29], v[62:63], v[48:49]
	v_fmac_f64_e32 v[2:3], v[32:33], v[48:49]
	v_fmac_f64_e32 v[26:27], v[64:65], v[48:49]
	v_fmac_f64_e32 v[6:7], v[34:35], v[48:49]
	v_fmac_f64_e32 v[24:25], v[66:67], v[48:49]
	v_fmac_f64_e32 v[4:5], v[36:37], v[48:49]
	v_fma_f64 v[28:29], -v[32:33], v[50:51], v[28:29]
	v_fmac_f64_e32 v[2:3], v[62:63], v[50:51]
	v_fma_f64 v[26:27], -v[34:35], v[50:51], v[26:27]
	v_fmac_f64_e32 v[6:7], v[64:65], v[50:51]
	v_fma_f64 v[24:25], -v[36:37], v[50:51], v[24:25]
	v_fmac_f64_e32 v[4:5], v[66:67], v[50:51]
	s_waitcnt vmcnt(1)
	v_fmac_f64_e32 v[28:29], v[68:69], v[52:53]
	v_fmac_f64_e32 v[2:3], v[38:39], v[52:53]
	v_fmac_f64_e32 v[26:27], v[70:71], v[52:53]
	v_fmac_f64_e32 v[6:7], v[40:41], v[52:53]
	v_fmac_f64_e32 v[24:25], v[72:73], v[52:53]
	v_fmac_f64_e32 v[4:5], v[42:43], v[52:53]
	v_fma_f64 v[28:29], -v[38:39], v[54:55], v[28:29]
	v_fmac_f64_e32 v[2:3], v[68:69], v[54:55]
	v_fma_f64 v[26:27], -v[40:41], v[54:55], v[26:27]
	v_fmac_f64_e32 v[6:7], v[70:71], v[54:55]
	v_fma_f64 v[24:25], -v[42:43], v[54:55], v[24:25]
	v_fmac_f64_e32 v[4:5], v[72:73], v[54:55]
	;; [unrolled: 13-line block ×3, first 2 shown]
	s_andn2_b64 exec, exec, s[0:1]
	s_cbranch_execnz .LBB175_26
; %bb.27:
	s_or_b64 exec, exec, s[0:1]
.LBB175_28:
	s_or_b64 exec, exec, s[6:7]
.LBB175_29:
	v_mov_b32_dpp v8, v28 row_shr:1 row_mask:0xf bank_mask:0xf
	v_mov_b32_dpp v9, v29 row_shr:1 row_mask:0xf bank_mask:0xf
	v_add_f64 v[8:9], v[28:29], v[8:9]
	v_mov_b32_dpp v22, v2 row_shr:1 row_mask:0xf bank_mask:0xf
	v_mov_b32_dpp v23, v3 row_shr:1 row_mask:0xf bank_mask:0xf
	;; [unrolled: 1-line block ×10, first 2 shown]
	v_add_f64 v[2:3], v[2:3], v[22:23]
	v_add_f64 v[26:27], v[26:27], v[28:29]
	;; [unrolled: 1-line block ×5, first 2 shown]
	v_mov_b32_dpp v10, v8 row_shr:2 row_mask:0xf bank_mask:0xf
	v_mov_b32_dpp v11, v9 row_shr:2 row_mask:0xf bank_mask:0xf
	;; [unrolled: 1-line block ×12, first 2 shown]
	v_cmp_eq_u32_e32 vcc, 3, v0
	s_and_b64 exec, exec, vcc
	s_cbranch_execz .LBB175_12
; %bb.30:
	s_load_dwordx2 s[2:3], s[2:3], 0x68
	v_add_f64 v[0:1], v[2:3], v[22:23]
	v_add_f64 v[22:23], v[26:27], v[28:29]
	;; [unrolled: 1-line block ×6, first 2 shown]
	v_cmp_eq_f64_e32 vcc, 0, v[12:13]
	v_cmp_eq_f64_e64 s[0:1], 0, v[14:15]
	v_mul_f64 v[8:9], v[0:1], -v[18:19]
	v_mul_f64 v[10:11], v[16:17], v[0:1]
	v_mul_f64 v[4:5], v[2:3], -v[18:19]
	v_mul_f64 v[6:7], v[16:17], v[2:3]
	;; [unrolled: 2-line block ×3, first 2 shown]
	s_and_b64 s[0:1], vcc, s[0:1]
	v_fmac_f64_e32 v[8:9], v[16:17], v[36:37]
	v_fmac_f64_e32 v[10:11], v[18:19], v[36:37]
	;; [unrolled: 1-line block ×6, first 2 shown]
	s_waitcnt lgkmcnt(0)
	s_and_saveexec_b64 s[4:5], s[0:1]
	s_xor_b64 s[0:1], exec, s[4:5]
	s_cbranch_execz .LBB175_32
; %bb.31:
	v_mad_u64_u32 v[12:13], s[4:5], v20, 48, s[2:3]
	v_mov_b32_e32 v14, v13
	v_mad_u64_u32 v[14:15], s[4:5], v21, 48, v[14:15]
	v_mov_b32_e32 v13, v14
	global_store_dwordx4 v[12:13], v[8:11], off
	global_store_dwordx4 v[12:13], v[4:7], off offset:16
	global_store_dwordx4 v[12:13], v[0:3], off offset:32
                                        ; implicit-def: $vgpr12_vgpr13
                                        ; implicit-def: $vgpr14_vgpr15
                                        ; implicit-def: $vgpr20_vgpr21
                                        ; implicit-def: $vgpr8_vgpr9
                                        ; implicit-def: $vgpr4_vgpr5
                                        ; implicit-def: $vgpr0_vgpr1
.LBB175_32:
	s_andn2_saveexec_b64 s[0:1], s[0:1]
	s_cbranch_execz .LBB175_12
; %bb.33:
	v_mad_u64_u32 v[28:29], s[0:1], v20, 48, s[2:3]
	v_mov_b32_e32 v16, v29
	v_mad_u64_u32 v[16:17], s[0:1], v21, 48, v[16:17]
	v_mov_b32_e32 v29, v16
	global_load_dwordx4 v[16:19], v[28:29], off
	global_load_dwordx4 v[20:23], v[28:29], off offset:16
	global_load_dwordx4 v[24:27], v[28:29], off offset:32
	s_waitcnt vmcnt(2)
	v_fmac_f64_e32 v[8:9], v[12:13], v[16:17]
	v_fmac_f64_e32 v[10:11], v[14:15], v[16:17]
	s_waitcnt vmcnt(1)
	v_fmac_f64_e32 v[4:5], v[12:13], v[20:21]
	v_fmac_f64_e32 v[6:7], v[14:15], v[20:21]
	;; [unrolled: 3-line block ×3, first 2 shown]
	v_fma_f64 v[8:9], -v[14:15], v[18:19], v[8:9]
	v_fmac_f64_e32 v[10:11], v[12:13], v[18:19]
	v_fma_f64 v[4:5], -v[14:15], v[22:23], v[4:5]
	v_fmac_f64_e32 v[6:7], v[12:13], v[22:23]
	;; [unrolled: 2-line block ×3, first 2 shown]
	global_store_dwordx4 v[28:29], v[8:11], off
	global_store_dwordx4 v[28:29], v[4:7], off offset:16
	global_store_dwordx4 v[28:29], v[0:3], off offset:32
	s_endpgm
	.section	.rodata,"a",@progbits
	.p2align	6, 0x0
	.amdhsa_kernel _ZN9rocsparseL18bsrxmvn_3x3_kernelILj256ELj4E21rocsparse_complex_numIdEllS1_IfES2_S2_EEvT3_20rocsparse_direction_NS_24const_host_device_scalarIT1_EES4_PKS4_PKT2_SD_SA_PKT4_PKT5_S8_PT6_21rocsparse_index_base_b
		.amdhsa_group_segment_fixed_size 4096
		.amdhsa_private_segment_fixed_size 0
		.amdhsa_kernarg_size 120
		.amdhsa_user_sgpr_count 4
		.amdhsa_user_sgpr_dispatch_ptr 1
		.amdhsa_user_sgpr_queue_ptr 0
		.amdhsa_user_sgpr_kernarg_segment_ptr 1
		.amdhsa_user_sgpr_dispatch_id 0
		.amdhsa_user_sgpr_kernarg_preload_length 0
		.amdhsa_user_sgpr_kernarg_preload_offset 0
		.amdhsa_user_sgpr_private_segment_size 0
		.amdhsa_uses_dynamic_stack 0
		.amdhsa_enable_private_segment 0
		.amdhsa_system_sgpr_workgroup_id_x 1
		.amdhsa_system_sgpr_workgroup_id_y 0
		.amdhsa_system_sgpr_workgroup_id_z 0
		.amdhsa_system_sgpr_workgroup_info 0
		.amdhsa_system_vgpr_workitem_id 2
		.amdhsa_next_free_vgpr 84
		.amdhsa_next_free_sgpr 22
		.amdhsa_accum_offset 84
		.amdhsa_reserve_vcc 1
		.amdhsa_float_round_mode_32 0
		.amdhsa_float_round_mode_16_64 0
		.amdhsa_float_denorm_mode_32 3
		.amdhsa_float_denorm_mode_16_64 3
		.amdhsa_dx10_clamp 1
		.amdhsa_ieee_mode 1
		.amdhsa_fp16_overflow 0
		.amdhsa_tg_split 0
		.amdhsa_exception_fp_ieee_invalid_op 0
		.amdhsa_exception_fp_denorm_src 0
		.amdhsa_exception_fp_ieee_div_zero 0
		.amdhsa_exception_fp_ieee_overflow 0
		.amdhsa_exception_fp_ieee_underflow 0
		.amdhsa_exception_fp_ieee_inexact 0
		.amdhsa_exception_int_div_zero 0
	.end_amdhsa_kernel
	.section	.text._ZN9rocsparseL18bsrxmvn_3x3_kernelILj256ELj4E21rocsparse_complex_numIdEllS1_IfES2_S2_EEvT3_20rocsparse_direction_NS_24const_host_device_scalarIT1_EES4_PKS4_PKT2_SD_SA_PKT4_PKT5_S8_PT6_21rocsparse_index_base_b,"axG",@progbits,_ZN9rocsparseL18bsrxmvn_3x3_kernelILj256ELj4E21rocsparse_complex_numIdEllS1_IfES2_S2_EEvT3_20rocsparse_direction_NS_24const_host_device_scalarIT1_EES4_PKS4_PKT2_SD_SA_PKT4_PKT5_S8_PT6_21rocsparse_index_base_b,comdat
.Lfunc_end175:
	.size	_ZN9rocsparseL18bsrxmvn_3x3_kernelILj256ELj4E21rocsparse_complex_numIdEllS1_IfES2_S2_EEvT3_20rocsparse_direction_NS_24const_host_device_scalarIT1_EES4_PKS4_PKT2_SD_SA_PKT4_PKT5_S8_PT6_21rocsparse_index_base_b, .Lfunc_end175-_ZN9rocsparseL18bsrxmvn_3x3_kernelILj256ELj4E21rocsparse_complex_numIdEllS1_IfES2_S2_EEvT3_20rocsparse_direction_NS_24const_host_device_scalarIT1_EES4_PKS4_PKT2_SD_SA_PKT4_PKT5_S8_PT6_21rocsparse_index_base_b
                                        ; -- End function
	.section	.AMDGPU.csdata,"",@progbits
; Kernel info:
; codeLenInByte = 2348
; NumSgprs: 28
; NumVgprs: 84
; NumAgprs: 0
; TotalNumVgprs: 84
; ScratchSize: 0
; MemoryBound: 0
; FloatMode: 240
; IeeeMode: 1
; LDSByteSize: 4096 bytes/workgroup (compile time only)
; SGPRBlocks: 3
; VGPRBlocks: 10
; NumSGPRsForWavesPerEU: 28
; NumVGPRsForWavesPerEU: 84
; AccumOffset: 84
; Occupancy: 5
; WaveLimiterHint : 1
; COMPUTE_PGM_RSRC2:SCRATCH_EN: 0
; COMPUTE_PGM_RSRC2:USER_SGPR: 4
; COMPUTE_PGM_RSRC2:TRAP_HANDLER: 0
; COMPUTE_PGM_RSRC2:TGID_X_EN: 1
; COMPUTE_PGM_RSRC2:TGID_Y_EN: 0
; COMPUTE_PGM_RSRC2:TGID_Z_EN: 0
; COMPUTE_PGM_RSRC2:TIDIG_COMP_CNT: 2
; COMPUTE_PGM_RSRC3_GFX90A:ACCUM_OFFSET: 20
; COMPUTE_PGM_RSRC3_GFX90A:TG_SPLIT: 0
	.section	.text._ZN9rocsparseL18bsrxmvn_3x3_kernelILj256ELj8E21rocsparse_complex_numIdEllS1_IfES2_S2_EEvT3_20rocsparse_direction_NS_24const_host_device_scalarIT1_EES4_PKS4_PKT2_SD_SA_PKT4_PKT5_S8_PT6_21rocsparse_index_base_b,"axG",@progbits,_ZN9rocsparseL18bsrxmvn_3x3_kernelILj256ELj8E21rocsparse_complex_numIdEllS1_IfES2_S2_EEvT3_20rocsparse_direction_NS_24const_host_device_scalarIT1_EES4_PKS4_PKT2_SD_SA_PKT4_PKT5_S8_PT6_21rocsparse_index_base_b,comdat
	.globl	_ZN9rocsparseL18bsrxmvn_3x3_kernelILj256ELj8E21rocsparse_complex_numIdEllS1_IfES2_S2_EEvT3_20rocsparse_direction_NS_24const_host_device_scalarIT1_EES4_PKS4_PKT2_SD_SA_PKT4_PKT5_S8_PT6_21rocsparse_index_base_b ; -- Begin function _ZN9rocsparseL18bsrxmvn_3x3_kernelILj256ELj8E21rocsparse_complex_numIdEllS1_IfES2_S2_EEvT3_20rocsparse_direction_NS_24const_host_device_scalarIT1_EES4_PKS4_PKT2_SD_SA_PKT4_PKT5_S8_PT6_21rocsparse_index_base_b
	.p2align	8
	.type	_ZN9rocsparseL18bsrxmvn_3x3_kernelILj256ELj8E21rocsparse_complex_numIdEllS1_IfES2_S2_EEvT3_20rocsparse_direction_NS_24const_host_device_scalarIT1_EES4_PKS4_PKT2_SD_SA_PKT4_PKT5_S8_PT6_21rocsparse_index_base_b,@function
_ZN9rocsparseL18bsrxmvn_3x3_kernelILj256ELj8E21rocsparse_complex_numIdEllS1_IfES2_S2_EEvT3_20rocsparse_direction_NS_24const_host_device_scalarIT1_EES4_PKS4_PKT2_SD_SA_PKT4_PKT5_S8_PT6_21rocsparse_index_base_b: ; @_ZN9rocsparseL18bsrxmvn_3x3_kernelILj256ELj8E21rocsparse_complex_numIdEllS1_IfES2_S2_EEvT3_20rocsparse_direction_NS_24const_host_device_scalarIT1_EES4_PKS4_PKT2_SD_SA_PKT4_PKT5_S8_PT6_21rocsparse_index_base_b
; %bb.0:
	s_load_dwordx2 s[16:17], s[2:3], 0x70
	s_load_dwordx4 s[12:15], s[2:3], 0x10
	s_load_dwordx2 s[18:19], s[0:1], 0x4
	s_load_dwordx4 s[8:11], s[2:3], 0x58
	s_mov_b64 s[6:7], src_shared_base
	v_and_b32_e32 v2, 0x3ff, v0
	s_waitcnt lgkmcnt(0)
	s_bitcmp1_b32 s17, 0
	s_cselect_b64 s[0:1], -1, 0
	s_and_b64 vcc, s[0:1], exec
	s_cselect_b32 s5, s7, s13
	s_lshr_b32 s6, s18, 16
	s_mul_i32 s6, s6, s19
	v_mul_lo_u32 v3, s6, v2
	v_bfe_u32 v4, v0, 10, 10
	v_mad_u32_u24 v3, v4, s19, v3
	v_bfe_u32 v0, v0, 20, 10
	v_add_lshl_u32 v0, v3, v0, 3
	v_mov_b32_e32 v1, s12
	v_add_u32_e32 v3, 0x800, v0
	v_mov_b64_e32 v[4:5], s[12:13]
	v_mov_b64_e32 v[6:7], s[8:9]
	ds_write2st64_b64 v0, v[6:7], v[4:5] offset1:4
	v_cndmask_b32_e64 v4, v1, v3, s[0:1]
	v_mov_b32_e32 v5, s5
	flat_load_dwordx2 v[16:17], v[4:5]
	s_xor_b64 s[18:19], s[0:1], -1
	v_mov_b64_e32 v[18:19], s[14:15]
	s_cbranch_vccnz .LBB176_2
; %bb.1:
	v_mov_b64_e32 v[4:5], s[12:13]
	flat_load_dwordx2 v[18:19], v[4:5] offset:8
.LBB176_2:
	s_and_b64 s[12:13], s[0:1], exec
	s_cselect_b32 s5, s7, s9
	v_mov_b32_e32 v1, s8
	v_cndmask_b32_e64 v0, v1, v0, s[0:1]
	v_mov_b32_e32 v1, s5
	flat_load_dwordx2 v[12:13], v[0:1]
	s_andn2_b64 vcc, exec, s[18:19]
	v_mov_b64_e32 v[14:15], s[10:11]
	s_cbranch_vccnz .LBB176_4
; %bb.3:
	v_mov_b64_e32 v[0:1], s[8:9]
	flat_load_dwordx2 v[14:15], v[0:1] offset:8
.LBB176_4:
	s_waitcnt vmcnt(0) lgkmcnt(0)
	v_cmp_eq_f64_e32 vcc, 0, v[16:17]
	v_cmp_eq_f64_e64 s[0:1], 0, v[18:19]
	s_and_b64 s[8:9], vcc, s[0:1]
	s_mov_b64 s[0:1], -1
	s_and_saveexec_b64 s[6:7], s[8:9]
; %bb.5:
	v_cmp_neq_f64_e32 vcc, 1.0, v[12:13]
	v_cmp_neq_f64_e64 s[0:1], 0, v[14:15]
	s_or_b64 s[0:1], vcc, s[0:1]
	s_orn2_b64 s[0:1], s[0:1], exec
; %bb.6:
	s_or_b64 exec, exec, s[6:7]
	s_and_saveexec_b64 s[6:7], s[0:1]
	s_cbranch_execz .LBB176_12
; %bb.7:
	s_load_dwordx2 s[6:7], s[2:3], 0x28
	v_lshrrev_b32_e32 v0, 3, v2
	v_lshl_or_b32 v0, s4, 5, v0
	v_mov_b32_e32 v1, 0
	s_mov_b64 s[0:1], 0
	s_waitcnt lgkmcnt(0)
	s_cmp_lg_u64 s[6:7], 0
	s_cbranch_scc0 .LBB176_13
; %bb.8:
	s_load_dwordx2 s[4:5], s[2:3], 0x20
                                        ; implicit-def: $vgpr20_vgpr21
	s_waitcnt lgkmcnt(0)
	v_cmp_gt_i64_e32 vcc, s[4:5], v[0:1]
	s_and_saveexec_b64 s[4:5], vcc
	s_xor_b64 s[4:5], exec, s[4:5]
                                        ; implicit-def: $sgpr12_sgpr13
	s_cbranch_execz .LBB176_10
; %bb.9:
	v_lshl_add_u64 v[4:5], v[0:1], 3, s[6:7]
	global_load_dwordx2 v[4:5], v[4:5], off
	s_mov_b64 s[0:1], exec
	s_mov_b32 s13, 0
	s_waitcnt vmcnt(0)
	v_subrev_co_u32_e32 v20, vcc, s16, v4
	s_nop 1
	v_subbrev_co_u32_e32 v21, vcc, 0, v5, vcc
.LBB176_10:
	s_or_b64 exec, exec, s[4:5]
.LBB176_11:
	s_and_b64 exec, exec, s[0:1]
	s_cbranch_execnz .LBB176_17
.LBB176_12:
	s_endpgm
.LBB176_13:
                                        ; implicit-def: $vgpr20_vgpr21
                                        ; implicit-def: $sgpr12_sgpr13
	s_cbranch_execz .LBB176_11
; %bb.14:
	s_load_dwordx2 s[4:5], s[2:3], 0x0
                                        ; implicit-def: $vgpr20_vgpr21
	s_waitcnt lgkmcnt(0)
	v_cmp_gt_i64_e32 vcc, s[4:5], v[0:1]
	s_and_saveexec_b64 s[4:5], vcc
                                        ; implicit-def: $sgpr12_sgpr13
; %bb.15:
	s_mov_b32 s13, 0
	s_or_b64 s[0:1], s[0:1], exec
	v_mov_b64_e32 v[20:21], v[0:1]
; %bb.16:
	s_or_b64 exec, exec, s[4:5]
	s_and_b64 exec, exec, s[0:1]
	s_cbranch_execz .LBB176_12
.LBB176_17:
	s_load_dwordx8 s[4:11], s[2:3], 0x30
	v_lshlrev_b64 v[0:1], 3, v[20:21]
	s_load_dword s0, s[2:3], 0x8
	v_mov_b32_e32 v11, s13
	s_waitcnt lgkmcnt(0)
	v_lshl_add_u64 v[4:5], s[4:5], 0, v[0:1]
	global_load_dwordx2 v[6:7], v[4:5], off
	s_cmp_eq_u64 s[6:7], 0
	v_lshl_add_u64 v[0:1], s[6:7], 0, v[0:1]
	v_lshl_add_u64 v[4:5], v[4:5], 0, 8
	s_cselect_b64 vcc, -1, 0
	v_cndmask_b32_e32 v1, v1, v5, vcc
	v_cndmask_b32_e32 v0, v0, v4, vcc
	global_load_dwordx2 v[4:5], v[0:1], off
	v_and_b32_e32 v0, 7, v2
	v_mov_b32_e32 v1, 0
	s_load_dwordx2 s[4:5], s[2:3], 0x50
	s_movk_i32 s6, 0x48
	v_mov_b64_e32 v[2:3], s[10:11]
	s_cmp_eq_u32 s0, 1
	s_waitcnt vmcnt(1)
	v_subrev_co_u32_e32 v6, vcc, s16, v6
	s_nop 1
	v_subb_co_u32_e32 v7, vcc, v7, v11, vcc
	v_lshl_add_u64 v[8:9], v[6:7], 0, v[0:1]
	v_mad_u64_u32 v[22:23], s[0:1], v8, s6, v[2:3]
	s_waitcnt vmcnt(0)
	v_subrev_co_u32_e32 v10, vcc, s16, v4
	v_mov_b32_e32 v2, v23
	s_nop 0
	v_subb_co_u32_e32 v11, vcc, v5, v11, vcc
	v_mad_u64_u32 v[2:3], s[0:1], v9, s6, v[2:3]
	v_mov_b32_e32 v23, v2
	v_cmp_lt_i64_e64 s[0:1], v[8:9], v[10:11]
	s_cbranch_scc1 .LBB176_23
; %bb.18:
	v_mov_b64_e32 v[4:5], 0
	s_mov_b64 s[6:7], 0
	v_mov_b64_e32 v[28:29], v[4:5]
	v_mov_b64_e32 v[6:7], v[4:5]
	v_mov_b64_e32 v[26:27], v[4:5]
	v_mov_b64_e32 v[2:3], v[4:5]
	v_mov_b64_e32 v[24:25], v[4:5]
	s_and_saveexec_b64 s[10:11], s[0:1]
	s_cbranch_execz .LBB176_22
; %bb.19:
	v_mov_b64_e32 v[4:5], 0
	v_lshl_add_u64 v[30:31], v[8:9], 3, s[8:9]
	s_mov_b64 s[14:15], 0
	v_mov_b32_e32 v1, s13
	s_mov_b64 s[18:19], 0x240
	v_mov_b64_e32 v[32:33], v[8:9]
	v_mov_b64_e32 v[34:35], v[22:23]
	;; [unrolled: 1-line block ×7, first 2 shown]
.LBB176_20:                             ; =>This Inner Loop Header: Depth=1
	global_load_dwordx2 v[52:53], v[30:31], off
	global_load_dwordx4 v[36:39], v[34:35], off
	global_load_dwordx4 v[40:43], v[34:35], off offset:16
	global_load_dwordx4 v[44:47], v[34:35], off offset:32
	;; [unrolled: 1-line block ×3, first 2 shown]
	global_load_dwordx2 v[64:65], v[34:35], off offset:64
	v_lshl_add_u64 v[32:33], v[32:33], 0, 8
	v_lshl_add_u64 v[34:35], v[34:35], 0, s[18:19]
	;; [unrolled: 1-line block ×3, first 2 shown]
	s_waitcnt vmcnt(5)
	v_subrev_co_u32_e32 v52, vcc, s16, v52
	s_waitcnt lgkmcnt(0)
	v_mad_u64_u32 v[66:67], s[20:21], v52, 48, s[4:5]
	v_subb_co_u32_e32 v53, vcc, v53, v1, vcc
	v_mov_b32_e32 v52, v67
	v_mad_u64_u32 v[52:53], s[20:21], v53, 48, v[52:53]
	v_mov_b32_e32 v67, v52
	global_load_dwordx4 v[52:55], v[66:67], off
	global_load_dwordx4 v[56:59], v[66:67], off offset:16
	global_load_dwordx4 v[60:63], v[66:67], off offset:32
	s_waitcnt vmcnt(7)
	v_cvt_f64_f32_e32 v[66:67], v36
	v_cvt_f64_f32_e32 v[36:37], v37
	s_waitcnt vmcnt(6)
	v_cvt_f64_f32_e32 v[72:73], v42
	v_cvt_f64_f32_e32 v[42:43], v43
	;; [unrolled: 3-line block ×3, first 2 shown]
	v_cvt_f64_f32_e32 v[68:69], v38
	v_cvt_f64_f32_e32 v[38:39], v39
	;; [unrolled: 1-line block ×10, first 2 shown]
	s_waitcnt vmcnt(3)
	v_cvt_f64_f32_e32 v[82:83], v64
	v_cvt_f64_f32_e32 v[64:65], v65
	v_cmp_ge_i64_e32 vcc, v[32:33], v[10:11]
	s_or_b64 s[14:15], vcc, s[14:15]
	s_waitcnt vmcnt(2)
	v_fmac_f64_e32 v[28:29], v[66:67], v[52:53]
	v_fmac_f64_e32 v[4:5], v[36:37], v[52:53]
	v_fmac_f64_e32 v[26:27], v[72:73], v[52:53]
	v_fmac_f64_e32 v[6:7], v[42:43], v[52:53]
	v_fmac_f64_e32 v[24:25], v[78:79], v[52:53]
	v_fmac_f64_e32 v[2:3], v[48:49], v[52:53]
	v_fma_f64 v[28:29], -v[36:37], v[54:55], v[28:29]
	v_fmac_f64_e32 v[4:5], v[66:67], v[54:55]
	v_fma_f64 v[26:27], -v[42:43], v[54:55], v[26:27]
	v_fmac_f64_e32 v[6:7], v[72:73], v[54:55]
	v_fma_f64 v[24:25], -v[48:49], v[54:55], v[24:25]
	v_fmac_f64_e32 v[2:3], v[78:79], v[54:55]
	s_waitcnt vmcnt(1)
	v_fmac_f64_e32 v[28:29], v[68:69], v[56:57]
	v_fmac_f64_e32 v[4:5], v[38:39], v[56:57]
	v_fmac_f64_e32 v[26:27], v[74:75], v[56:57]
	v_fmac_f64_e32 v[6:7], v[44:45], v[56:57]
	v_fmac_f64_e32 v[24:25], v[80:81], v[56:57]
	v_fmac_f64_e32 v[2:3], v[50:51], v[56:57]
	v_fma_f64 v[28:29], -v[38:39], v[58:59], v[28:29]
	v_fmac_f64_e32 v[4:5], v[68:69], v[58:59]
	v_fma_f64 v[26:27], -v[44:45], v[58:59], v[26:27]
	v_fmac_f64_e32 v[6:7], v[74:75], v[58:59]
	v_fma_f64 v[24:25], -v[50:51], v[58:59], v[24:25]
	v_fmac_f64_e32 v[2:3], v[80:81], v[58:59]
	;; [unrolled: 13-line block ×3, first 2 shown]
	s_andn2_b64 exec, exec, s[14:15]
	s_cbranch_execnz .LBB176_20
; %bb.21:
	s_or_b64 exec, exec, s[14:15]
.LBB176_22:
	s_or_b64 exec, exec, s[10:11]
	s_andn2_b64 vcc, exec, s[6:7]
	s_cbranch_vccz .LBB176_24
	s_branch .LBB176_29
.LBB176_23:
                                        ; implicit-def: $vgpr4_vgpr5
                                        ; implicit-def: $vgpr28_vgpr29
                                        ; implicit-def: $vgpr6_vgpr7
                                        ; implicit-def: $vgpr26_vgpr27
                                        ; implicit-def: $vgpr2_vgpr3
                                        ; implicit-def: $vgpr24_vgpr25
.LBB176_24:
	v_mov_b64_e32 v[4:5], 0
	v_mov_b64_e32 v[28:29], v[4:5]
	;; [unrolled: 1-line block ×6, first 2 shown]
	s_and_saveexec_b64 s[6:7], s[0:1]
	s_cbranch_execz .LBB176_28
; %bb.25:
	v_mov_b64_e32 v[4:5], 0
	v_lshl_add_u64 v[30:31], v[8:9], 3, s[8:9]
	s_mov_b64 s[0:1], 0
	v_mov_b32_e32 v1, s13
	s_mov_b64 s[8:9], 0x240
	v_mov_b64_e32 v[28:29], v[4:5]
	v_mov_b64_e32 v[6:7], v[4:5]
	;; [unrolled: 1-line block ×5, first 2 shown]
.LBB176_26:                             ; =>This Inner Loop Header: Depth=1
	global_load_dwordx2 v[48:49], v[30:31], off
	global_load_dwordx4 v[32:35], v[22:23], off
	global_load_dwordx4 v[36:39], v[22:23], off offset:16
	global_load_dwordx4 v[40:43], v[22:23], off offset:32
	;; [unrolled: 1-line block ×3, first 2 shown]
	global_load_dwordx2 v[60:61], v[22:23], off offset:64
	v_lshl_add_u64 v[8:9], v[8:9], 0, 8
	v_lshl_add_u64 v[22:23], v[22:23], 0, s[8:9]
	;; [unrolled: 1-line block ×3, first 2 shown]
	s_waitcnt vmcnt(5)
	v_subrev_co_u32_e32 v48, vcc, s16, v48
	s_waitcnt lgkmcnt(0)
	v_mad_u64_u32 v[62:63], s[10:11], v48, 48, s[4:5]
	v_subb_co_u32_e32 v49, vcc, v49, v1, vcc
	v_mov_b32_e32 v48, v63
	v_mad_u64_u32 v[48:49], s[10:11], v49, 48, v[48:49]
	v_mov_b32_e32 v63, v48
	global_load_dwordx4 v[48:51], v[62:63], off
	global_load_dwordx4 v[52:55], v[62:63], off offset:16
	global_load_dwordx4 v[56:59], v[62:63], off offset:32
	s_waitcnt vmcnt(7)
	v_cvt_f64_f32_e32 v[62:63], v32
	v_cvt_f64_f32_e32 v[32:33], v33
	v_cvt_f64_f32_e32 v[64:65], v34
	v_cvt_f64_f32_e32 v[34:35], v35
	s_waitcnt vmcnt(6)
	v_cvt_f64_f32_e32 v[66:67], v36
	v_cvt_f64_f32_e32 v[36:37], v37
	v_cvt_f64_f32_e32 v[68:69], v38
	v_cvt_f64_f32_e32 v[38:39], v39
	;; [unrolled: 5-line block ×4, first 2 shown]
	s_waitcnt vmcnt(3)
	v_cvt_f64_f32_e32 v[78:79], v60
	v_cvt_f64_f32_e32 v[60:61], v61
	v_cmp_ge_i64_e32 vcc, v[8:9], v[10:11]
	s_or_b64 s[0:1], vcc, s[0:1]
	s_waitcnt vmcnt(2)
	v_fmac_f64_e32 v[28:29], v[62:63], v[48:49]
	v_fmac_f64_e32 v[4:5], v[32:33], v[48:49]
	v_fmac_f64_e32 v[26:27], v[64:65], v[48:49]
	v_fmac_f64_e32 v[6:7], v[34:35], v[48:49]
	v_fmac_f64_e32 v[24:25], v[66:67], v[48:49]
	v_fmac_f64_e32 v[2:3], v[36:37], v[48:49]
	v_fma_f64 v[28:29], -v[32:33], v[50:51], v[28:29]
	v_fmac_f64_e32 v[4:5], v[62:63], v[50:51]
	v_fma_f64 v[26:27], -v[34:35], v[50:51], v[26:27]
	v_fmac_f64_e32 v[6:7], v[64:65], v[50:51]
	v_fma_f64 v[24:25], -v[36:37], v[50:51], v[24:25]
	v_fmac_f64_e32 v[2:3], v[66:67], v[50:51]
	s_waitcnt vmcnt(1)
	v_fmac_f64_e32 v[28:29], v[68:69], v[52:53]
	v_fmac_f64_e32 v[4:5], v[38:39], v[52:53]
	v_fmac_f64_e32 v[26:27], v[70:71], v[52:53]
	v_fmac_f64_e32 v[6:7], v[40:41], v[52:53]
	v_fmac_f64_e32 v[24:25], v[72:73], v[52:53]
	v_fmac_f64_e32 v[2:3], v[42:43], v[52:53]
	v_fma_f64 v[28:29], -v[38:39], v[54:55], v[28:29]
	v_fmac_f64_e32 v[4:5], v[68:69], v[54:55]
	v_fma_f64 v[26:27], -v[40:41], v[54:55], v[26:27]
	v_fmac_f64_e32 v[6:7], v[70:71], v[54:55]
	v_fma_f64 v[24:25], -v[42:43], v[54:55], v[24:25]
	v_fmac_f64_e32 v[2:3], v[72:73], v[54:55]
	;; [unrolled: 13-line block ×3, first 2 shown]
	s_andn2_b64 exec, exec, s[0:1]
	s_cbranch_execnz .LBB176_26
; %bb.27:
	s_or_b64 exec, exec, s[0:1]
.LBB176_28:
	s_or_b64 exec, exec, s[6:7]
.LBB176_29:
	v_mov_b32_dpp v8, v28 row_shr:1 row_mask:0xf bank_mask:0xf
	v_mov_b32_dpp v9, v29 row_shr:1 row_mask:0xf bank_mask:0xf
	v_add_f64 v[8:9], v[28:29], v[8:9]
	v_mov_b32_dpp v22, v4 row_shr:1 row_mask:0xf bank_mask:0xf
	v_mov_b32_dpp v23, v5 row_shr:1 row_mask:0xf bank_mask:0xf
	v_mov_b32_dpp v28, v26 row_shr:1 row_mask:0xf bank_mask:0xf
	v_mov_b32_dpp v29, v27 row_shr:1 row_mask:0xf bank_mask:0xf
	v_mov_b32_dpp v30, v6 row_shr:1 row_mask:0xf bank_mask:0xf
	v_mov_b32_dpp v31, v7 row_shr:1 row_mask:0xf bank_mask:0xf
	v_mov_b32_dpp v32, v24 row_shr:1 row_mask:0xf bank_mask:0xf
	v_mov_b32_dpp v33, v25 row_shr:1 row_mask:0xf bank_mask:0xf
	v_mov_b32_dpp v34, v2 row_shr:1 row_mask:0xf bank_mask:0xf
	v_mov_b32_dpp v35, v3 row_shr:1 row_mask:0xf bank_mask:0xf
	v_add_f64 v[4:5], v[4:5], v[22:23]
	v_add_f64 v[26:27], v[26:27], v[28:29]
	;; [unrolled: 1-line block ×5, first 2 shown]
	v_mov_b32_dpp v10, v8 row_shr:2 row_mask:0xf bank_mask:0xf
	v_mov_b32_dpp v11, v9 row_shr:2 row_mask:0xf bank_mask:0xf
	;; [unrolled: 1-line block ×12, first 2 shown]
	v_add_f64 v[8:9], v[8:9], v[10:11]
	v_add_f64 v[4:5], v[4:5], v[22:23]
	;; [unrolled: 1-line block ×6, first 2 shown]
	v_mov_b32_dpp v10, v8 row_shr:4 row_mask:0xf bank_mask:0xe
	v_mov_b32_dpp v11, v9 row_shr:4 row_mask:0xf bank_mask:0xe
	;; [unrolled: 1-line block ×12, first 2 shown]
	v_cmp_eq_u32_e32 vcc, 7, v0
	s_and_b64 exec, exec, vcc
	s_cbranch_execz .LBB176_12
; %bb.30:
	s_load_dwordx2 s[2:3], s[2:3], 0x68
	v_add_f64 v[0:1], v[4:5], v[22:23]
	v_add_f64 v[6:7], v[6:7], v[30:31]
	;; [unrolled: 1-line block ×6, first 2 shown]
	v_cmp_eq_f64_e32 vcc, 0, v[12:13]
	v_cmp_eq_f64_e64 s[0:1], 0, v[14:15]
	v_mul_f64 v[8:9], v[0:1], -v[18:19]
	v_mul_f64 v[10:11], v[16:17], v[0:1]
	v_mul_f64 v[4:5], v[6:7], -v[18:19]
	v_mul_f64 v[6:7], v[16:17], v[6:7]
	;; [unrolled: 2-line block ×3, first 2 shown]
	s_and_b64 s[0:1], vcc, s[0:1]
	v_fmac_f64_e32 v[8:9], v[16:17], v[36:37]
	v_fmac_f64_e32 v[10:11], v[18:19], v[36:37]
	v_fmac_f64_e32 v[4:5], v[16:17], v[22:23]
	v_fmac_f64_e32 v[6:7], v[18:19], v[22:23]
	v_fmac_f64_e32 v[0:1], v[16:17], v[24:25]
	v_fmac_f64_e32 v[2:3], v[18:19], v[24:25]
	s_waitcnt lgkmcnt(0)
	s_and_saveexec_b64 s[4:5], s[0:1]
	s_xor_b64 s[0:1], exec, s[4:5]
	s_cbranch_execz .LBB176_32
; %bb.31:
	v_mad_u64_u32 v[12:13], s[4:5], v20, 48, s[2:3]
	v_mov_b32_e32 v14, v13
	v_mad_u64_u32 v[14:15], s[4:5], v21, 48, v[14:15]
	v_mov_b32_e32 v13, v14
	global_store_dwordx4 v[12:13], v[8:11], off
	global_store_dwordx4 v[12:13], v[4:7], off offset:16
	global_store_dwordx4 v[12:13], v[0:3], off offset:32
                                        ; implicit-def: $vgpr12_vgpr13
                                        ; implicit-def: $vgpr14_vgpr15
                                        ; implicit-def: $vgpr20_vgpr21
                                        ; implicit-def: $vgpr8_vgpr9
                                        ; implicit-def: $vgpr4_vgpr5
                                        ; implicit-def: $vgpr0_vgpr1
.LBB176_32:
	s_andn2_saveexec_b64 s[0:1], s[0:1]
	s_cbranch_execz .LBB176_12
; %bb.33:
	v_mad_u64_u32 v[28:29], s[0:1], v20, 48, s[2:3]
	v_mov_b32_e32 v16, v29
	v_mad_u64_u32 v[16:17], s[0:1], v21, 48, v[16:17]
	v_mov_b32_e32 v29, v16
	global_load_dwordx4 v[16:19], v[28:29], off
	global_load_dwordx4 v[20:23], v[28:29], off offset:16
	global_load_dwordx4 v[24:27], v[28:29], off offset:32
	s_waitcnt vmcnt(2)
	v_fmac_f64_e32 v[8:9], v[12:13], v[16:17]
	v_fmac_f64_e32 v[10:11], v[14:15], v[16:17]
	s_waitcnt vmcnt(1)
	v_fmac_f64_e32 v[4:5], v[12:13], v[20:21]
	v_fmac_f64_e32 v[6:7], v[14:15], v[20:21]
	;; [unrolled: 3-line block ×3, first 2 shown]
	v_fma_f64 v[8:9], -v[14:15], v[18:19], v[8:9]
	v_fmac_f64_e32 v[10:11], v[12:13], v[18:19]
	v_fma_f64 v[4:5], -v[14:15], v[22:23], v[4:5]
	v_fmac_f64_e32 v[6:7], v[12:13], v[22:23]
	;; [unrolled: 2-line block ×3, first 2 shown]
	global_store_dwordx4 v[28:29], v[8:11], off
	global_store_dwordx4 v[28:29], v[4:7], off offset:16
	global_store_dwordx4 v[28:29], v[0:3], off offset:32
	s_endpgm
	.section	.rodata,"a",@progbits
	.p2align	6, 0x0
	.amdhsa_kernel _ZN9rocsparseL18bsrxmvn_3x3_kernelILj256ELj8E21rocsparse_complex_numIdEllS1_IfES2_S2_EEvT3_20rocsparse_direction_NS_24const_host_device_scalarIT1_EES4_PKS4_PKT2_SD_SA_PKT4_PKT5_S8_PT6_21rocsparse_index_base_b
		.amdhsa_group_segment_fixed_size 4096
		.amdhsa_private_segment_fixed_size 0
		.amdhsa_kernarg_size 120
		.amdhsa_user_sgpr_count 4
		.amdhsa_user_sgpr_dispatch_ptr 1
		.amdhsa_user_sgpr_queue_ptr 0
		.amdhsa_user_sgpr_kernarg_segment_ptr 1
		.amdhsa_user_sgpr_dispatch_id 0
		.amdhsa_user_sgpr_kernarg_preload_length 0
		.amdhsa_user_sgpr_kernarg_preload_offset 0
		.amdhsa_user_sgpr_private_segment_size 0
		.amdhsa_uses_dynamic_stack 0
		.amdhsa_enable_private_segment 0
		.amdhsa_system_sgpr_workgroup_id_x 1
		.amdhsa_system_sgpr_workgroup_id_y 0
		.amdhsa_system_sgpr_workgroup_id_z 0
		.amdhsa_system_sgpr_workgroup_info 0
		.amdhsa_system_vgpr_workitem_id 2
		.amdhsa_next_free_vgpr 84
		.amdhsa_next_free_sgpr 22
		.amdhsa_accum_offset 84
		.amdhsa_reserve_vcc 1
		.amdhsa_float_round_mode_32 0
		.amdhsa_float_round_mode_16_64 0
		.amdhsa_float_denorm_mode_32 3
		.amdhsa_float_denorm_mode_16_64 3
		.amdhsa_dx10_clamp 1
		.amdhsa_ieee_mode 1
		.amdhsa_fp16_overflow 0
		.amdhsa_tg_split 0
		.amdhsa_exception_fp_ieee_invalid_op 0
		.amdhsa_exception_fp_denorm_src 0
		.amdhsa_exception_fp_ieee_div_zero 0
		.amdhsa_exception_fp_ieee_overflow 0
		.amdhsa_exception_fp_ieee_underflow 0
		.amdhsa_exception_fp_ieee_inexact 0
		.amdhsa_exception_int_div_zero 0
	.end_amdhsa_kernel
	.section	.text._ZN9rocsparseL18bsrxmvn_3x3_kernelILj256ELj8E21rocsparse_complex_numIdEllS1_IfES2_S2_EEvT3_20rocsparse_direction_NS_24const_host_device_scalarIT1_EES4_PKS4_PKT2_SD_SA_PKT4_PKT5_S8_PT6_21rocsparse_index_base_b,"axG",@progbits,_ZN9rocsparseL18bsrxmvn_3x3_kernelILj256ELj8E21rocsparse_complex_numIdEllS1_IfES2_S2_EEvT3_20rocsparse_direction_NS_24const_host_device_scalarIT1_EES4_PKS4_PKT2_SD_SA_PKT4_PKT5_S8_PT6_21rocsparse_index_base_b,comdat
.Lfunc_end176:
	.size	_ZN9rocsparseL18bsrxmvn_3x3_kernelILj256ELj8E21rocsparse_complex_numIdEllS1_IfES2_S2_EEvT3_20rocsparse_direction_NS_24const_host_device_scalarIT1_EES4_PKS4_PKT2_SD_SA_PKT4_PKT5_S8_PT6_21rocsparse_index_base_b, .Lfunc_end176-_ZN9rocsparseL18bsrxmvn_3x3_kernelILj256ELj8E21rocsparse_complex_numIdEllS1_IfES2_S2_EEvT3_20rocsparse_direction_NS_24const_host_device_scalarIT1_EES4_PKS4_PKT2_SD_SA_PKT4_PKT5_S8_PT6_21rocsparse_index_base_b
                                        ; -- End function
	.section	.AMDGPU.csdata,"",@progbits
; Kernel info:
; codeLenInByte = 2492
; NumSgprs: 28
; NumVgprs: 84
; NumAgprs: 0
; TotalNumVgprs: 84
; ScratchSize: 0
; MemoryBound: 0
; FloatMode: 240
; IeeeMode: 1
; LDSByteSize: 4096 bytes/workgroup (compile time only)
; SGPRBlocks: 3
; VGPRBlocks: 10
; NumSGPRsForWavesPerEU: 28
; NumVGPRsForWavesPerEU: 84
; AccumOffset: 84
; Occupancy: 5
; WaveLimiterHint : 1
; COMPUTE_PGM_RSRC2:SCRATCH_EN: 0
; COMPUTE_PGM_RSRC2:USER_SGPR: 4
; COMPUTE_PGM_RSRC2:TRAP_HANDLER: 0
; COMPUTE_PGM_RSRC2:TGID_X_EN: 1
; COMPUTE_PGM_RSRC2:TGID_Y_EN: 0
; COMPUTE_PGM_RSRC2:TGID_Z_EN: 0
; COMPUTE_PGM_RSRC2:TIDIG_COMP_CNT: 2
; COMPUTE_PGM_RSRC3_GFX90A:ACCUM_OFFSET: 20
; COMPUTE_PGM_RSRC3_GFX90A:TG_SPLIT: 0
	.section	.text._ZN9rocsparseL18bsrxmvn_3x3_kernelILj256ELj16E21rocsparse_complex_numIdEllS1_IfES2_S2_EEvT3_20rocsparse_direction_NS_24const_host_device_scalarIT1_EES4_PKS4_PKT2_SD_SA_PKT4_PKT5_S8_PT6_21rocsparse_index_base_b,"axG",@progbits,_ZN9rocsparseL18bsrxmvn_3x3_kernelILj256ELj16E21rocsparse_complex_numIdEllS1_IfES2_S2_EEvT3_20rocsparse_direction_NS_24const_host_device_scalarIT1_EES4_PKS4_PKT2_SD_SA_PKT4_PKT5_S8_PT6_21rocsparse_index_base_b,comdat
	.globl	_ZN9rocsparseL18bsrxmvn_3x3_kernelILj256ELj16E21rocsparse_complex_numIdEllS1_IfES2_S2_EEvT3_20rocsparse_direction_NS_24const_host_device_scalarIT1_EES4_PKS4_PKT2_SD_SA_PKT4_PKT5_S8_PT6_21rocsparse_index_base_b ; -- Begin function _ZN9rocsparseL18bsrxmvn_3x3_kernelILj256ELj16E21rocsparse_complex_numIdEllS1_IfES2_S2_EEvT3_20rocsparse_direction_NS_24const_host_device_scalarIT1_EES4_PKS4_PKT2_SD_SA_PKT4_PKT5_S8_PT6_21rocsparse_index_base_b
	.p2align	8
	.type	_ZN9rocsparseL18bsrxmvn_3x3_kernelILj256ELj16E21rocsparse_complex_numIdEllS1_IfES2_S2_EEvT3_20rocsparse_direction_NS_24const_host_device_scalarIT1_EES4_PKS4_PKT2_SD_SA_PKT4_PKT5_S8_PT6_21rocsparse_index_base_b,@function
_ZN9rocsparseL18bsrxmvn_3x3_kernelILj256ELj16E21rocsparse_complex_numIdEllS1_IfES2_S2_EEvT3_20rocsparse_direction_NS_24const_host_device_scalarIT1_EES4_PKS4_PKT2_SD_SA_PKT4_PKT5_S8_PT6_21rocsparse_index_base_b: ; @_ZN9rocsparseL18bsrxmvn_3x3_kernelILj256ELj16E21rocsparse_complex_numIdEllS1_IfES2_S2_EEvT3_20rocsparse_direction_NS_24const_host_device_scalarIT1_EES4_PKS4_PKT2_SD_SA_PKT4_PKT5_S8_PT6_21rocsparse_index_base_b
; %bb.0:
	s_load_dwordx2 s[16:17], s[2:3], 0x70
	s_load_dwordx4 s[12:15], s[2:3], 0x10
	s_load_dwordx2 s[18:19], s[0:1], 0x4
	s_load_dwordx4 s[8:11], s[2:3], 0x58
	s_mov_b64 s[6:7], src_shared_base
	v_and_b32_e32 v2, 0x3ff, v0
	s_waitcnt lgkmcnt(0)
	s_bitcmp1_b32 s17, 0
	s_cselect_b64 s[0:1], -1, 0
	s_and_b64 vcc, s[0:1], exec
	s_cselect_b32 s5, s7, s13
	s_lshr_b32 s6, s18, 16
	s_mul_i32 s6, s6, s19
	v_mul_lo_u32 v3, s6, v2
	v_bfe_u32 v4, v0, 10, 10
	v_mad_u32_u24 v3, v4, s19, v3
	v_bfe_u32 v0, v0, 20, 10
	v_add_lshl_u32 v0, v3, v0, 3
	v_mov_b32_e32 v1, s12
	v_add_u32_e32 v3, 0x800, v0
	v_mov_b64_e32 v[4:5], s[12:13]
	v_mov_b64_e32 v[6:7], s[8:9]
	ds_write2st64_b64 v0, v[6:7], v[4:5] offset1:4
	v_cndmask_b32_e64 v4, v1, v3, s[0:1]
	v_mov_b32_e32 v5, s5
	flat_load_dwordx2 v[16:17], v[4:5]
	s_xor_b64 s[18:19], s[0:1], -1
	v_mov_b64_e32 v[18:19], s[14:15]
	s_cbranch_vccnz .LBB177_2
; %bb.1:
	v_mov_b64_e32 v[4:5], s[12:13]
	flat_load_dwordx2 v[18:19], v[4:5] offset:8
.LBB177_2:
	s_and_b64 s[12:13], s[0:1], exec
	s_cselect_b32 s5, s7, s9
	v_mov_b32_e32 v1, s8
	v_cndmask_b32_e64 v0, v1, v0, s[0:1]
	v_mov_b32_e32 v1, s5
	flat_load_dwordx2 v[12:13], v[0:1]
	s_andn2_b64 vcc, exec, s[18:19]
	v_mov_b64_e32 v[14:15], s[10:11]
	s_cbranch_vccnz .LBB177_4
; %bb.3:
	v_mov_b64_e32 v[0:1], s[8:9]
	flat_load_dwordx2 v[14:15], v[0:1] offset:8
.LBB177_4:
	s_waitcnt vmcnt(0) lgkmcnt(0)
	v_cmp_eq_f64_e32 vcc, 0, v[16:17]
	v_cmp_eq_f64_e64 s[0:1], 0, v[18:19]
	s_and_b64 s[8:9], vcc, s[0:1]
	s_mov_b64 s[0:1], -1
	s_and_saveexec_b64 s[6:7], s[8:9]
; %bb.5:
	v_cmp_neq_f64_e32 vcc, 1.0, v[12:13]
	v_cmp_neq_f64_e64 s[0:1], 0, v[14:15]
	s_or_b64 s[0:1], vcc, s[0:1]
	s_orn2_b64 s[0:1], s[0:1], exec
; %bb.6:
	s_or_b64 exec, exec, s[6:7]
	s_and_saveexec_b64 s[6:7], s[0:1]
	s_cbranch_execz .LBB177_12
; %bb.7:
	s_load_dwordx2 s[6:7], s[2:3], 0x28
	v_lshrrev_b32_e32 v0, 4, v2
	v_lshl_or_b32 v0, s4, 4, v0
	v_mov_b32_e32 v1, 0
	s_mov_b64 s[0:1], 0
	s_waitcnt lgkmcnt(0)
	s_cmp_lg_u64 s[6:7], 0
	s_cbranch_scc0 .LBB177_13
; %bb.8:
	s_load_dwordx2 s[4:5], s[2:3], 0x20
                                        ; implicit-def: $vgpr20_vgpr21
	s_waitcnt lgkmcnt(0)
	v_cmp_gt_i64_e32 vcc, s[4:5], v[0:1]
	s_and_saveexec_b64 s[4:5], vcc
	s_xor_b64 s[4:5], exec, s[4:5]
                                        ; implicit-def: $sgpr12_sgpr13
	s_cbranch_execz .LBB177_10
; %bb.9:
	v_lshl_add_u64 v[4:5], v[0:1], 3, s[6:7]
	global_load_dwordx2 v[4:5], v[4:5], off
	s_mov_b64 s[0:1], exec
	s_mov_b32 s13, 0
	s_waitcnt vmcnt(0)
	v_subrev_co_u32_e32 v20, vcc, s16, v4
	s_nop 1
	v_subbrev_co_u32_e32 v21, vcc, 0, v5, vcc
.LBB177_10:
	s_or_b64 exec, exec, s[4:5]
.LBB177_11:
	s_and_b64 exec, exec, s[0:1]
	s_cbranch_execnz .LBB177_17
.LBB177_12:
	s_endpgm
.LBB177_13:
                                        ; implicit-def: $vgpr20_vgpr21
                                        ; implicit-def: $sgpr12_sgpr13
	s_cbranch_execz .LBB177_11
; %bb.14:
	s_load_dwordx2 s[4:5], s[2:3], 0x0
                                        ; implicit-def: $vgpr20_vgpr21
	s_waitcnt lgkmcnt(0)
	v_cmp_gt_i64_e32 vcc, s[4:5], v[0:1]
	s_and_saveexec_b64 s[4:5], vcc
                                        ; implicit-def: $sgpr12_sgpr13
; %bb.15:
	s_mov_b32 s13, 0
	s_or_b64 s[0:1], s[0:1], exec
	v_mov_b64_e32 v[20:21], v[0:1]
; %bb.16:
	s_or_b64 exec, exec, s[4:5]
	s_and_b64 exec, exec, s[0:1]
	s_cbranch_execz .LBB177_12
.LBB177_17:
	s_load_dwordx8 s[4:11], s[2:3], 0x30
	v_lshlrev_b64 v[0:1], 3, v[20:21]
	s_load_dword s0, s[2:3], 0x8
	v_mov_b32_e32 v11, s13
	s_waitcnt lgkmcnt(0)
	v_lshl_add_u64 v[4:5], s[4:5], 0, v[0:1]
	global_load_dwordx2 v[6:7], v[4:5], off
	s_cmp_eq_u64 s[6:7], 0
	v_lshl_add_u64 v[0:1], s[6:7], 0, v[0:1]
	v_lshl_add_u64 v[4:5], v[4:5], 0, 8
	s_cselect_b64 vcc, -1, 0
	v_cndmask_b32_e32 v1, v1, v5, vcc
	v_cndmask_b32_e32 v0, v0, v4, vcc
	global_load_dwordx2 v[4:5], v[0:1], off
	v_and_b32_e32 v0, 15, v2
	v_mov_b32_e32 v1, 0
	s_load_dwordx2 s[4:5], s[2:3], 0x50
	s_movk_i32 s6, 0x48
	v_mov_b64_e32 v[2:3], s[10:11]
	s_cmp_eq_u32 s0, 1
	s_waitcnt vmcnt(1)
	v_subrev_co_u32_e32 v6, vcc, s16, v6
	s_nop 1
	v_subb_co_u32_e32 v7, vcc, v7, v11, vcc
	v_lshl_add_u64 v[8:9], v[6:7], 0, v[0:1]
	v_mad_u64_u32 v[22:23], s[0:1], v8, s6, v[2:3]
	s_waitcnt vmcnt(0)
	v_subrev_co_u32_e32 v10, vcc, s16, v4
	v_mov_b32_e32 v2, v23
	s_nop 0
	v_subb_co_u32_e32 v11, vcc, v5, v11, vcc
	v_mad_u64_u32 v[2:3], s[0:1], v9, s6, v[2:3]
	v_mov_b32_e32 v23, v2
	v_cmp_lt_i64_e64 s[0:1], v[8:9], v[10:11]
	s_cbranch_scc1 .LBB177_23
; %bb.18:
	v_mov_b64_e32 v[6:7], 0
	s_mov_b64 s[6:7], 0
	v_mov_b64_e32 v[28:29], v[6:7]
	v_mov_b64_e32 v[4:5], v[6:7]
	;; [unrolled: 1-line block ×5, first 2 shown]
	s_and_saveexec_b64 s[10:11], s[0:1]
	s_cbranch_execz .LBB177_22
; %bb.19:
	v_mov_b64_e32 v[6:7], 0
	v_lshl_add_u64 v[30:31], v[8:9], 3, s[8:9]
	s_mov_b64 s[14:15], 0
	v_mov_b32_e32 v1, s13
	s_mov_b64 s[18:19], 0x480
	s_mov_b64 s[20:21], 0x80
	v_mov_b64_e32 v[32:33], v[8:9]
	v_mov_b64_e32 v[34:35], v[22:23]
	v_mov_b64_e32 v[28:29], v[6:7]
	v_mov_b64_e32 v[4:5], v[6:7]
	v_mov_b64_e32 v[26:27], v[6:7]
	v_mov_b64_e32 v[2:3], v[6:7]
	v_mov_b64_e32 v[24:25], v[6:7]
.LBB177_20:                             ; =>This Inner Loop Header: Depth=1
	global_load_dwordx2 v[52:53], v[30:31], off
	global_load_dwordx4 v[36:39], v[34:35], off
	global_load_dwordx4 v[40:43], v[34:35], off offset:16
	global_load_dwordx4 v[44:47], v[34:35], off offset:32
	;; [unrolled: 1-line block ×3, first 2 shown]
	global_load_dwordx2 v[64:65], v[34:35], off offset:64
	v_lshl_add_u64 v[32:33], v[32:33], 0, 16
	v_lshl_add_u64 v[34:35], v[34:35], 0, s[18:19]
	;; [unrolled: 1-line block ×3, first 2 shown]
	s_waitcnt vmcnt(5)
	v_subrev_co_u32_e32 v52, vcc, s16, v52
	s_waitcnt lgkmcnt(0)
	v_mad_u64_u32 v[66:67], s[22:23], v52, 48, s[4:5]
	v_subb_co_u32_e32 v53, vcc, v53, v1, vcc
	v_mov_b32_e32 v52, v67
	v_mad_u64_u32 v[52:53], s[22:23], v53, 48, v[52:53]
	v_mov_b32_e32 v67, v52
	global_load_dwordx4 v[52:55], v[66:67], off
	global_load_dwordx4 v[56:59], v[66:67], off offset:16
	global_load_dwordx4 v[60:63], v[66:67], off offset:32
	s_waitcnt vmcnt(7)
	v_cvt_f64_f32_e32 v[66:67], v36
	v_cvt_f64_f32_e32 v[36:37], v37
	s_waitcnt vmcnt(6)
	v_cvt_f64_f32_e32 v[72:73], v42
	v_cvt_f64_f32_e32 v[42:43], v43
	;; [unrolled: 3-line block ×3, first 2 shown]
	v_cvt_f64_f32_e32 v[68:69], v38
	v_cvt_f64_f32_e32 v[38:39], v39
	;; [unrolled: 1-line block ×10, first 2 shown]
	s_waitcnt vmcnt(3)
	v_cvt_f64_f32_e32 v[82:83], v64
	v_cvt_f64_f32_e32 v[64:65], v65
	v_cmp_ge_i64_e32 vcc, v[32:33], v[10:11]
	s_or_b64 s[14:15], vcc, s[14:15]
	s_waitcnt vmcnt(2)
	v_fmac_f64_e32 v[28:29], v[66:67], v[52:53]
	v_fmac_f64_e32 v[6:7], v[36:37], v[52:53]
	v_fmac_f64_e32 v[26:27], v[72:73], v[52:53]
	v_fmac_f64_e32 v[4:5], v[42:43], v[52:53]
	v_fmac_f64_e32 v[24:25], v[78:79], v[52:53]
	v_fmac_f64_e32 v[2:3], v[48:49], v[52:53]
	v_fma_f64 v[28:29], -v[36:37], v[54:55], v[28:29]
	v_fmac_f64_e32 v[6:7], v[66:67], v[54:55]
	v_fma_f64 v[26:27], -v[42:43], v[54:55], v[26:27]
	v_fmac_f64_e32 v[4:5], v[72:73], v[54:55]
	v_fma_f64 v[24:25], -v[48:49], v[54:55], v[24:25]
	v_fmac_f64_e32 v[2:3], v[78:79], v[54:55]
	s_waitcnt vmcnt(1)
	v_fmac_f64_e32 v[28:29], v[68:69], v[56:57]
	v_fmac_f64_e32 v[6:7], v[38:39], v[56:57]
	v_fmac_f64_e32 v[26:27], v[74:75], v[56:57]
	v_fmac_f64_e32 v[4:5], v[44:45], v[56:57]
	v_fmac_f64_e32 v[24:25], v[80:81], v[56:57]
	v_fmac_f64_e32 v[2:3], v[50:51], v[56:57]
	v_fma_f64 v[28:29], -v[38:39], v[58:59], v[28:29]
	v_fmac_f64_e32 v[6:7], v[68:69], v[58:59]
	v_fma_f64 v[26:27], -v[44:45], v[58:59], v[26:27]
	v_fmac_f64_e32 v[4:5], v[74:75], v[58:59]
	v_fma_f64 v[24:25], -v[50:51], v[58:59], v[24:25]
	v_fmac_f64_e32 v[2:3], v[80:81], v[58:59]
	;; [unrolled: 13-line block ×3, first 2 shown]
	s_andn2_b64 exec, exec, s[14:15]
	s_cbranch_execnz .LBB177_20
; %bb.21:
	s_or_b64 exec, exec, s[14:15]
.LBB177_22:
	s_or_b64 exec, exec, s[10:11]
	s_andn2_b64 vcc, exec, s[6:7]
	s_cbranch_vccz .LBB177_24
	s_branch .LBB177_29
.LBB177_23:
                                        ; implicit-def: $vgpr6_vgpr7
                                        ; implicit-def: $vgpr28_vgpr29
                                        ; implicit-def: $vgpr4_vgpr5
                                        ; implicit-def: $vgpr26_vgpr27
                                        ; implicit-def: $vgpr2_vgpr3
                                        ; implicit-def: $vgpr24_vgpr25
.LBB177_24:
	v_mov_b64_e32 v[6:7], 0
	v_mov_b64_e32 v[28:29], v[6:7]
	;; [unrolled: 1-line block ×6, first 2 shown]
	s_and_saveexec_b64 s[6:7], s[0:1]
	s_cbranch_execz .LBB177_28
; %bb.25:
	v_mov_b64_e32 v[6:7], 0
	v_lshl_add_u64 v[30:31], v[8:9], 3, s[8:9]
	s_mov_b64 s[0:1], 0
	v_mov_b32_e32 v1, s13
	s_mov_b64 s[8:9], 0x480
	s_mov_b64 s[10:11], 0x80
	v_mov_b64_e32 v[28:29], v[6:7]
	v_mov_b64_e32 v[4:5], v[6:7]
	v_mov_b64_e32 v[26:27], v[6:7]
	v_mov_b64_e32 v[2:3], v[6:7]
	v_mov_b64_e32 v[24:25], v[6:7]
.LBB177_26:                             ; =>This Inner Loop Header: Depth=1
	global_load_dwordx2 v[48:49], v[30:31], off
	global_load_dwordx4 v[32:35], v[22:23], off
	global_load_dwordx4 v[36:39], v[22:23], off offset:16
	global_load_dwordx4 v[40:43], v[22:23], off offset:32
	;; [unrolled: 1-line block ×3, first 2 shown]
	global_load_dwordx2 v[60:61], v[22:23], off offset:64
	v_lshl_add_u64 v[8:9], v[8:9], 0, 16
	v_lshl_add_u64 v[22:23], v[22:23], 0, s[8:9]
	;; [unrolled: 1-line block ×3, first 2 shown]
	s_waitcnt vmcnt(5)
	v_subrev_co_u32_e32 v48, vcc, s16, v48
	s_waitcnt lgkmcnt(0)
	v_mad_u64_u32 v[62:63], s[12:13], v48, 48, s[4:5]
	v_subb_co_u32_e32 v49, vcc, v49, v1, vcc
	v_mov_b32_e32 v48, v63
	v_mad_u64_u32 v[48:49], s[12:13], v49, 48, v[48:49]
	v_mov_b32_e32 v63, v48
	global_load_dwordx4 v[48:51], v[62:63], off
	global_load_dwordx4 v[52:55], v[62:63], off offset:16
	global_load_dwordx4 v[56:59], v[62:63], off offset:32
	s_waitcnt vmcnt(7)
	v_cvt_f64_f32_e32 v[62:63], v32
	v_cvt_f64_f32_e32 v[32:33], v33
	v_cvt_f64_f32_e32 v[64:65], v34
	v_cvt_f64_f32_e32 v[34:35], v35
	s_waitcnt vmcnt(6)
	v_cvt_f64_f32_e32 v[66:67], v36
	v_cvt_f64_f32_e32 v[36:37], v37
	v_cvt_f64_f32_e32 v[68:69], v38
	v_cvt_f64_f32_e32 v[38:39], v39
	;; [unrolled: 5-line block ×4, first 2 shown]
	s_waitcnt vmcnt(3)
	v_cvt_f64_f32_e32 v[78:79], v60
	v_cvt_f64_f32_e32 v[60:61], v61
	v_cmp_ge_i64_e32 vcc, v[8:9], v[10:11]
	s_or_b64 s[0:1], vcc, s[0:1]
	s_waitcnt vmcnt(2)
	v_fmac_f64_e32 v[28:29], v[62:63], v[48:49]
	v_fmac_f64_e32 v[6:7], v[32:33], v[48:49]
	v_fmac_f64_e32 v[26:27], v[64:65], v[48:49]
	v_fmac_f64_e32 v[4:5], v[34:35], v[48:49]
	v_fmac_f64_e32 v[24:25], v[66:67], v[48:49]
	v_fmac_f64_e32 v[2:3], v[36:37], v[48:49]
	v_fma_f64 v[28:29], -v[32:33], v[50:51], v[28:29]
	v_fmac_f64_e32 v[6:7], v[62:63], v[50:51]
	v_fma_f64 v[26:27], -v[34:35], v[50:51], v[26:27]
	v_fmac_f64_e32 v[4:5], v[64:65], v[50:51]
	v_fma_f64 v[24:25], -v[36:37], v[50:51], v[24:25]
	v_fmac_f64_e32 v[2:3], v[66:67], v[50:51]
	s_waitcnt vmcnt(1)
	v_fmac_f64_e32 v[28:29], v[68:69], v[52:53]
	v_fmac_f64_e32 v[6:7], v[38:39], v[52:53]
	v_fmac_f64_e32 v[26:27], v[70:71], v[52:53]
	v_fmac_f64_e32 v[4:5], v[40:41], v[52:53]
	v_fmac_f64_e32 v[24:25], v[72:73], v[52:53]
	v_fmac_f64_e32 v[2:3], v[42:43], v[52:53]
	v_fma_f64 v[28:29], -v[38:39], v[54:55], v[28:29]
	v_fmac_f64_e32 v[6:7], v[68:69], v[54:55]
	v_fma_f64 v[26:27], -v[40:41], v[54:55], v[26:27]
	v_fmac_f64_e32 v[4:5], v[70:71], v[54:55]
	v_fma_f64 v[24:25], -v[42:43], v[54:55], v[24:25]
	v_fmac_f64_e32 v[2:3], v[72:73], v[54:55]
	;; [unrolled: 13-line block ×3, first 2 shown]
	s_andn2_b64 exec, exec, s[0:1]
	s_cbranch_execnz .LBB177_26
; %bb.27:
	s_or_b64 exec, exec, s[0:1]
.LBB177_28:
	s_or_b64 exec, exec, s[6:7]
.LBB177_29:
	v_mov_b32_dpp v8, v28 row_shr:1 row_mask:0xf bank_mask:0xf
	v_mov_b32_dpp v9, v29 row_shr:1 row_mask:0xf bank_mask:0xf
	v_add_f64 v[8:9], v[28:29], v[8:9]
	v_mov_b32_dpp v22, v6 row_shr:1 row_mask:0xf bank_mask:0xf
	v_mov_b32_dpp v23, v7 row_shr:1 row_mask:0xf bank_mask:0xf
	;; [unrolled: 1-line block ×10, first 2 shown]
	v_add_f64 v[6:7], v[6:7], v[22:23]
	v_add_f64 v[26:27], v[26:27], v[28:29]
	v_add_f64 v[4:5], v[4:5], v[30:31]
	v_add_f64 v[24:25], v[24:25], v[32:33]
	v_add_f64 v[2:3], v[2:3], v[34:35]
	v_mov_b32_dpp v10, v8 row_shr:2 row_mask:0xf bank_mask:0xf
	v_mov_b32_dpp v11, v9 row_shr:2 row_mask:0xf bank_mask:0xf
	;; [unrolled: 1-line block ×12, first 2 shown]
	v_add_f64 v[8:9], v[8:9], v[10:11]
	v_add_f64 v[6:7], v[6:7], v[22:23]
	;; [unrolled: 1-line block ×6, first 2 shown]
	v_mov_b32_dpp v10, v8 row_shr:4 row_mask:0xf bank_mask:0xe
	v_mov_b32_dpp v11, v9 row_shr:4 row_mask:0xf bank_mask:0xe
	;; [unrolled: 1-line block ×12, first 2 shown]
	v_add_f64 v[8:9], v[8:9], v[10:11]
	v_add_f64 v[6:7], v[6:7], v[22:23]
	;; [unrolled: 1-line block ×6, first 2 shown]
	v_mov_b32_dpp v10, v8 row_shr:8 row_mask:0xf bank_mask:0xc
	v_mov_b32_dpp v11, v9 row_shr:8 row_mask:0xf bank_mask:0xc
	;; [unrolled: 1-line block ×12, first 2 shown]
	v_cmp_eq_u32_e32 vcc, 15, v0
	s_and_b64 exec, exec, vcc
	s_cbranch_execz .LBB177_12
; %bb.30:
	s_load_dwordx2 s[2:3], s[2:3], 0x68
	v_add_f64 v[0:1], v[6:7], v[22:23]
	v_add_f64 v[6:7], v[4:5], v[30:31]
	;; [unrolled: 1-line block ×6, first 2 shown]
	v_cmp_eq_f64_e32 vcc, 0, v[12:13]
	v_cmp_eq_f64_e64 s[0:1], 0, v[14:15]
	v_mul_f64 v[8:9], v[0:1], -v[18:19]
	v_mul_f64 v[10:11], v[16:17], v[0:1]
	v_mul_f64 v[4:5], v[6:7], -v[18:19]
	v_mul_f64 v[6:7], v[16:17], v[6:7]
	;; [unrolled: 2-line block ×3, first 2 shown]
	s_and_b64 s[0:1], vcc, s[0:1]
	v_fmac_f64_e32 v[8:9], v[16:17], v[36:37]
	v_fmac_f64_e32 v[10:11], v[18:19], v[36:37]
	;; [unrolled: 1-line block ×6, first 2 shown]
	s_waitcnt lgkmcnt(0)
	s_and_saveexec_b64 s[4:5], s[0:1]
	s_xor_b64 s[0:1], exec, s[4:5]
	s_cbranch_execz .LBB177_32
; %bb.31:
	v_mad_u64_u32 v[12:13], s[4:5], v20, 48, s[2:3]
	v_mov_b32_e32 v14, v13
	v_mad_u64_u32 v[14:15], s[4:5], v21, 48, v[14:15]
	v_mov_b32_e32 v13, v14
	global_store_dwordx4 v[12:13], v[8:11], off
	global_store_dwordx4 v[12:13], v[4:7], off offset:16
	global_store_dwordx4 v[12:13], v[0:3], off offset:32
                                        ; implicit-def: $vgpr12_vgpr13
                                        ; implicit-def: $vgpr14_vgpr15
                                        ; implicit-def: $vgpr20_vgpr21
                                        ; implicit-def: $vgpr8_vgpr9
                                        ; implicit-def: $vgpr4_vgpr5
                                        ; implicit-def: $vgpr0_vgpr1
.LBB177_32:
	s_andn2_saveexec_b64 s[0:1], s[0:1]
	s_cbranch_execz .LBB177_12
; %bb.33:
	v_mad_u64_u32 v[28:29], s[0:1], v20, 48, s[2:3]
	v_mov_b32_e32 v16, v29
	v_mad_u64_u32 v[16:17], s[0:1], v21, 48, v[16:17]
	v_mov_b32_e32 v29, v16
	global_load_dwordx4 v[16:19], v[28:29], off
	global_load_dwordx4 v[20:23], v[28:29], off offset:16
	global_load_dwordx4 v[24:27], v[28:29], off offset:32
	s_waitcnt vmcnt(2)
	v_fmac_f64_e32 v[8:9], v[12:13], v[16:17]
	v_fmac_f64_e32 v[10:11], v[14:15], v[16:17]
	s_waitcnt vmcnt(1)
	v_fmac_f64_e32 v[4:5], v[12:13], v[20:21]
	v_fmac_f64_e32 v[6:7], v[14:15], v[20:21]
	;; [unrolled: 3-line block ×3, first 2 shown]
	v_fma_f64 v[8:9], -v[14:15], v[18:19], v[8:9]
	v_fmac_f64_e32 v[10:11], v[12:13], v[18:19]
	v_fma_f64 v[4:5], -v[14:15], v[22:23], v[4:5]
	v_fmac_f64_e32 v[6:7], v[12:13], v[22:23]
	;; [unrolled: 2-line block ×3, first 2 shown]
	global_store_dwordx4 v[28:29], v[8:11], off
	global_store_dwordx4 v[28:29], v[4:7], off offset:16
	global_store_dwordx4 v[28:29], v[0:3], off offset:32
	s_endpgm
	.section	.rodata,"a",@progbits
	.p2align	6, 0x0
	.amdhsa_kernel _ZN9rocsparseL18bsrxmvn_3x3_kernelILj256ELj16E21rocsparse_complex_numIdEllS1_IfES2_S2_EEvT3_20rocsparse_direction_NS_24const_host_device_scalarIT1_EES4_PKS4_PKT2_SD_SA_PKT4_PKT5_S8_PT6_21rocsparse_index_base_b
		.amdhsa_group_segment_fixed_size 4096
		.amdhsa_private_segment_fixed_size 0
		.amdhsa_kernarg_size 120
		.amdhsa_user_sgpr_count 4
		.amdhsa_user_sgpr_dispatch_ptr 1
		.amdhsa_user_sgpr_queue_ptr 0
		.amdhsa_user_sgpr_kernarg_segment_ptr 1
		.amdhsa_user_sgpr_dispatch_id 0
		.amdhsa_user_sgpr_kernarg_preload_length 0
		.amdhsa_user_sgpr_kernarg_preload_offset 0
		.amdhsa_user_sgpr_private_segment_size 0
		.amdhsa_uses_dynamic_stack 0
		.amdhsa_enable_private_segment 0
		.amdhsa_system_sgpr_workgroup_id_x 1
		.amdhsa_system_sgpr_workgroup_id_y 0
		.amdhsa_system_sgpr_workgroup_id_z 0
		.amdhsa_system_sgpr_workgroup_info 0
		.amdhsa_system_vgpr_workitem_id 2
		.amdhsa_next_free_vgpr 84
		.amdhsa_next_free_sgpr 24
		.amdhsa_accum_offset 84
		.amdhsa_reserve_vcc 1
		.amdhsa_float_round_mode_32 0
		.amdhsa_float_round_mode_16_64 0
		.amdhsa_float_denorm_mode_32 3
		.amdhsa_float_denorm_mode_16_64 3
		.amdhsa_dx10_clamp 1
		.amdhsa_ieee_mode 1
		.amdhsa_fp16_overflow 0
		.amdhsa_tg_split 0
		.amdhsa_exception_fp_ieee_invalid_op 0
		.amdhsa_exception_fp_denorm_src 0
		.amdhsa_exception_fp_ieee_div_zero 0
		.amdhsa_exception_fp_ieee_overflow 0
		.amdhsa_exception_fp_ieee_underflow 0
		.amdhsa_exception_fp_ieee_inexact 0
		.amdhsa_exception_int_div_zero 0
	.end_amdhsa_kernel
	.section	.text._ZN9rocsparseL18bsrxmvn_3x3_kernelILj256ELj16E21rocsparse_complex_numIdEllS1_IfES2_S2_EEvT3_20rocsparse_direction_NS_24const_host_device_scalarIT1_EES4_PKS4_PKT2_SD_SA_PKT4_PKT5_S8_PT6_21rocsparse_index_base_b,"axG",@progbits,_ZN9rocsparseL18bsrxmvn_3x3_kernelILj256ELj16E21rocsparse_complex_numIdEllS1_IfES2_S2_EEvT3_20rocsparse_direction_NS_24const_host_device_scalarIT1_EES4_PKS4_PKT2_SD_SA_PKT4_PKT5_S8_PT6_21rocsparse_index_base_b,comdat
.Lfunc_end177:
	.size	_ZN9rocsparseL18bsrxmvn_3x3_kernelILj256ELj16E21rocsparse_complex_numIdEllS1_IfES2_S2_EEvT3_20rocsparse_direction_NS_24const_host_device_scalarIT1_EES4_PKS4_PKT2_SD_SA_PKT4_PKT5_S8_PT6_21rocsparse_index_base_b, .Lfunc_end177-_ZN9rocsparseL18bsrxmvn_3x3_kernelILj256ELj16E21rocsparse_complex_numIdEllS1_IfES2_S2_EEvT3_20rocsparse_direction_NS_24const_host_device_scalarIT1_EES4_PKS4_PKT2_SD_SA_PKT4_PKT5_S8_PT6_21rocsparse_index_base_b
                                        ; -- End function
	.section	.AMDGPU.csdata,"",@progbits
; Kernel info:
; codeLenInByte = 2652
; NumSgprs: 30
; NumVgprs: 84
; NumAgprs: 0
; TotalNumVgprs: 84
; ScratchSize: 0
; MemoryBound: 0
; FloatMode: 240
; IeeeMode: 1
; LDSByteSize: 4096 bytes/workgroup (compile time only)
; SGPRBlocks: 3
; VGPRBlocks: 10
; NumSGPRsForWavesPerEU: 30
; NumVGPRsForWavesPerEU: 84
; AccumOffset: 84
; Occupancy: 5
; WaveLimiterHint : 1
; COMPUTE_PGM_RSRC2:SCRATCH_EN: 0
; COMPUTE_PGM_RSRC2:USER_SGPR: 4
; COMPUTE_PGM_RSRC2:TRAP_HANDLER: 0
; COMPUTE_PGM_RSRC2:TGID_X_EN: 1
; COMPUTE_PGM_RSRC2:TGID_Y_EN: 0
; COMPUTE_PGM_RSRC2:TGID_Z_EN: 0
; COMPUTE_PGM_RSRC2:TIDIG_COMP_CNT: 2
; COMPUTE_PGM_RSRC3_GFX90A:ACCUM_OFFSET: 20
; COMPUTE_PGM_RSRC3_GFX90A:TG_SPLIT: 0
	.section	.text._ZN9rocsparseL18bsrxmvn_3x3_kernelILj256ELj32E21rocsparse_complex_numIdEllS1_IfES2_S2_EEvT3_20rocsparse_direction_NS_24const_host_device_scalarIT1_EES4_PKS4_PKT2_SD_SA_PKT4_PKT5_S8_PT6_21rocsparse_index_base_b,"axG",@progbits,_ZN9rocsparseL18bsrxmvn_3x3_kernelILj256ELj32E21rocsparse_complex_numIdEllS1_IfES2_S2_EEvT3_20rocsparse_direction_NS_24const_host_device_scalarIT1_EES4_PKS4_PKT2_SD_SA_PKT4_PKT5_S8_PT6_21rocsparse_index_base_b,comdat
	.globl	_ZN9rocsparseL18bsrxmvn_3x3_kernelILj256ELj32E21rocsparse_complex_numIdEllS1_IfES2_S2_EEvT3_20rocsparse_direction_NS_24const_host_device_scalarIT1_EES4_PKS4_PKT2_SD_SA_PKT4_PKT5_S8_PT6_21rocsparse_index_base_b ; -- Begin function _ZN9rocsparseL18bsrxmvn_3x3_kernelILj256ELj32E21rocsparse_complex_numIdEllS1_IfES2_S2_EEvT3_20rocsparse_direction_NS_24const_host_device_scalarIT1_EES4_PKS4_PKT2_SD_SA_PKT4_PKT5_S8_PT6_21rocsparse_index_base_b
	.p2align	8
	.type	_ZN9rocsparseL18bsrxmvn_3x3_kernelILj256ELj32E21rocsparse_complex_numIdEllS1_IfES2_S2_EEvT3_20rocsparse_direction_NS_24const_host_device_scalarIT1_EES4_PKS4_PKT2_SD_SA_PKT4_PKT5_S8_PT6_21rocsparse_index_base_b,@function
_ZN9rocsparseL18bsrxmvn_3x3_kernelILj256ELj32E21rocsparse_complex_numIdEllS1_IfES2_S2_EEvT3_20rocsparse_direction_NS_24const_host_device_scalarIT1_EES4_PKS4_PKT2_SD_SA_PKT4_PKT5_S8_PT6_21rocsparse_index_base_b: ; @_ZN9rocsparseL18bsrxmvn_3x3_kernelILj256ELj32E21rocsparse_complex_numIdEllS1_IfES2_S2_EEvT3_20rocsparse_direction_NS_24const_host_device_scalarIT1_EES4_PKS4_PKT2_SD_SA_PKT4_PKT5_S8_PT6_21rocsparse_index_base_b
; %bb.0:
	s_load_dwordx2 s[16:17], s[2:3], 0x70
	s_load_dwordx4 s[12:15], s[2:3], 0x10
	s_load_dwordx2 s[18:19], s[0:1], 0x4
	s_load_dwordx4 s[8:11], s[2:3], 0x58
	s_mov_b64 s[6:7], src_shared_base
	v_and_b32_e32 v2, 0x3ff, v0
	s_waitcnt lgkmcnt(0)
	s_bitcmp1_b32 s17, 0
	s_cselect_b64 s[0:1], -1, 0
	s_and_b64 vcc, s[0:1], exec
	s_cselect_b32 s5, s7, s13
	s_lshr_b32 s6, s18, 16
	s_mul_i32 s6, s6, s19
	v_mul_lo_u32 v3, s6, v2
	v_bfe_u32 v4, v0, 10, 10
	v_mad_u32_u24 v3, v4, s19, v3
	v_bfe_u32 v0, v0, 20, 10
	v_add_lshl_u32 v0, v3, v0, 3
	v_mov_b32_e32 v1, s12
	v_add_u32_e32 v3, 0x800, v0
	v_mov_b64_e32 v[4:5], s[12:13]
	v_mov_b64_e32 v[6:7], s[8:9]
	ds_write2st64_b64 v0, v[6:7], v[4:5] offset1:4
	v_cndmask_b32_e64 v4, v1, v3, s[0:1]
	v_mov_b32_e32 v5, s5
	flat_load_dwordx2 v[16:17], v[4:5]
	s_xor_b64 s[18:19], s[0:1], -1
	v_mov_b64_e32 v[18:19], s[14:15]
	s_cbranch_vccnz .LBB178_2
; %bb.1:
	v_mov_b64_e32 v[4:5], s[12:13]
	flat_load_dwordx2 v[18:19], v[4:5] offset:8
.LBB178_2:
	s_and_b64 s[12:13], s[0:1], exec
	s_cselect_b32 s5, s7, s9
	v_mov_b32_e32 v1, s8
	v_cndmask_b32_e64 v0, v1, v0, s[0:1]
	v_mov_b32_e32 v1, s5
	flat_load_dwordx2 v[12:13], v[0:1]
	s_andn2_b64 vcc, exec, s[18:19]
	v_mov_b64_e32 v[14:15], s[10:11]
	s_cbranch_vccnz .LBB178_4
; %bb.3:
	v_mov_b64_e32 v[0:1], s[8:9]
	flat_load_dwordx2 v[14:15], v[0:1] offset:8
.LBB178_4:
	s_waitcnt vmcnt(0) lgkmcnt(0)
	v_cmp_eq_f64_e32 vcc, 0, v[16:17]
	v_cmp_eq_f64_e64 s[0:1], 0, v[18:19]
	s_and_b64 s[8:9], vcc, s[0:1]
	s_mov_b64 s[0:1], -1
	s_and_saveexec_b64 s[6:7], s[8:9]
; %bb.5:
	v_cmp_neq_f64_e32 vcc, 1.0, v[12:13]
	v_cmp_neq_f64_e64 s[0:1], 0, v[14:15]
	s_or_b64 s[0:1], vcc, s[0:1]
	s_orn2_b64 s[0:1], s[0:1], exec
; %bb.6:
	s_or_b64 exec, exec, s[6:7]
	s_and_saveexec_b64 s[6:7], s[0:1]
	s_cbranch_execz .LBB178_12
; %bb.7:
	s_load_dwordx2 s[6:7], s[2:3], 0x28
	v_lshrrev_b32_e32 v0, 5, v2
	v_lshl_or_b32 v0, s4, 3, v0
	v_mov_b32_e32 v1, 0
	s_mov_b64 s[0:1], 0
	s_waitcnt lgkmcnt(0)
	s_cmp_lg_u64 s[6:7], 0
	s_cbranch_scc0 .LBB178_13
; %bb.8:
	s_load_dwordx2 s[4:5], s[2:3], 0x20
                                        ; implicit-def: $vgpr20_vgpr21
	s_waitcnt lgkmcnt(0)
	v_cmp_gt_i64_e32 vcc, s[4:5], v[0:1]
	s_and_saveexec_b64 s[4:5], vcc
	s_xor_b64 s[4:5], exec, s[4:5]
                                        ; implicit-def: $sgpr12_sgpr13
	s_cbranch_execz .LBB178_10
; %bb.9:
	v_lshl_add_u64 v[4:5], v[0:1], 3, s[6:7]
	global_load_dwordx2 v[4:5], v[4:5], off
	s_mov_b64 s[0:1], exec
	s_mov_b32 s13, 0
	s_waitcnt vmcnt(0)
	v_subrev_co_u32_e32 v20, vcc, s16, v4
	s_nop 1
	v_subbrev_co_u32_e32 v21, vcc, 0, v5, vcc
.LBB178_10:
	s_or_b64 exec, exec, s[4:5]
.LBB178_11:
	s_and_b64 exec, exec, s[0:1]
	s_cbranch_execnz .LBB178_17
.LBB178_12:
	s_endpgm
.LBB178_13:
                                        ; implicit-def: $vgpr20_vgpr21
                                        ; implicit-def: $sgpr12_sgpr13
	s_cbranch_execz .LBB178_11
; %bb.14:
	s_load_dwordx2 s[4:5], s[2:3], 0x0
                                        ; implicit-def: $vgpr20_vgpr21
	s_waitcnt lgkmcnt(0)
	v_cmp_gt_i64_e32 vcc, s[4:5], v[0:1]
	s_and_saveexec_b64 s[4:5], vcc
                                        ; implicit-def: $sgpr12_sgpr13
; %bb.15:
	s_mov_b32 s13, 0
	s_or_b64 s[0:1], s[0:1], exec
	v_mov_b64_e32 v[20:21], v[0:1]
; %bb.16:
	s_or_b64 exec, exec, s[4:5]
	s_and_b64 exec, exec, s[0:1]
	s_cbranch_execz .LBB178_12
.LBB178_17:
	s_load_dwordx8 s[4:11], s[2:3], 0x30
	v_lshlrev_b64 v[0:1], 3, v[20:21]
	s_load_dword s0, s[2:3], 0x8
	v_mov_b32_e32 v8, s13
	s_waitcnt lgkmcnt(0)
	v_lshl_add_u64 v[4:5], s[4:5], 0, v[0:1]
	global_load_dwordx2 v[6:7], v[4:5], off
	s_cmp_eq_u64 s[6:7], 0
	v_lshl_add_u64 v[0:1], s[6:7], 0, v[0:1]
	v_lshl_add_u64 v[4:5], v[4:5], 0, 8
	s_cselect_b64 vcc, -1, 0
	v_cndmask_b32_e32 v1, v1, v5, vcc
	v_cndmask_b32_e32 v0, v0, v4, vcc
	global_load_dwordx2 v[4:5], v[0:1], off
	v_and_b32_e32 v0, 31, v2
	v_mov_b32_e32 v1, 0
	s_load_dwordx2 s[4:5], s[2:3], 0x50
	s_movk_i32 s6, 0x48
	v_mov_b64_e32 v[2:3], s[10:11]
	s_cmp_eq_u32 s0, 1
	s_waitcnt vmcnt(1)
	v_subrev_co_u32_e32 v6, vcc, s16, v6
	s_nop 1
	v_subb_co_u32_e32 v7, vcc, v7, v8, vcc
	v_lshl_add_u64 v[10:11], v[6:7], 0, v[0:1]
	v_mad_u64_u32 v[24:25], s[0:1], v10, s6, v[2:3]
	s_waitcnt vmcnt(0)
	v_subrev_co_u32_e32 v22, vcc, s16, v4
	v_mov_b32_e32 v2, v25
	s_nop 0
	v_subb_co_u32_e32 v23, vcc, v5, v8, vcc
	v_mad_u64_u32 v[2:3], s[0:1], v11, s6, v[2:3]
	v_mov_b32_e32 v25, v2
	v_cmp_lt_i64_e64 s[0:1], v[10:11], v[22:23]
	s_cbranch_scc1 .LBB178_23
; %bb.18:
	v_mov_b64_e32 v[6:7], 0
	s_mov_b64 s[6:7], 0
	v_mov_b64_e32 v[28:29], v[6:7]
	v_mov_b64_e32 v[4:5], v[6:7]
	;; [unrolled: 1-line block ×5, first 2 shown]
	s_and_saveexec_b64 s[10:11], s[0:1]
	s_cbranch_execz .LBB178_22
; %bb.19:
	v_mov_b64_e32 v[6:7], 0
	v_lshl_add_u64 v[30:31], v[10:11], 3, s[8:9]
	s_mov_b64 s[14:15], 0
	v_mov_b32_e32 v1, s13
	s_mov_b64 s[18:19], 0x900
	s_mov_b64 s[20:21], 0x100
	v_mov_b64_e32 v[32:33], v[10:11]
	v_mov_b64_e32 v[34:35], v[24:25]
	;; [unrolled: 1-line block ×7, first 2 shown]
.LBB178_20:                             ; =>This Inner Loop Header: Depth=1
	global_load_dwordx2 v[52:53], v[30:31], off
	global_load_dwordx4 v[36:39], v[34:35], off
	global_load_dwordx4 v[40:43], v[34:35], off offset:16
	global_load_dwordx4 v[44:47], v[34:35], off offset:32
	;; [unrolled: 1-line block ×3, first 2 shown]
	global_load_dwordx2 v[64:65], v[34:35], off offset:64
	v_lshl_add_u64 v[32:33], v[32:33], 0, 32
	v_lshl_add_u64 v[34:35], v[34:35], 0, s[18:19]
	;; [unrolled: 1-line block ×3, first 2 shown]
	s_waitcnt vmcnt(5)
	v_subrev_co_u32_e32 v52, vcc, s16, v52
	s_waitcnt lgkmcnt(0)
	v_mad_u64_u32 v[66:67], s[22:23], v52, 48, s[4:5]
	v_subb_co_u32_e32 v53, vcc, v53, v1, vcc
	v_mov_b32_e32 v52, v67
	v_mad_u64_u32 v[52:53], s[22:23], v53, 48, v[52:53]
	v_mov_b32_e32 v67, v52
	global_load_dwordx4 v[52:55], v[66:67], off
	global_load_dwordx4 v[56:59], v[66:67], off offset:16
	global_load_dwordx4 v[60:63], v[66:67], off offset:32
	s_waitcnt vmcnt(7)
	v_cvt_f64_f32_e32 v[66:67], v36
	v_cvt_f64_f32_e32 v[36:37], v37
	s_waitcnt vmcnt(6)
	v_cvt_f64_f32_e32 v[72:73], v42
	v_cvt_f64_f32_e32 v[42:43], v43
	;; [unrolled: 3-line block ×3, first 2 shown]
	v_cvt_f64_f32_e32 v[68:69], v38
	v_cvt_f64_f32_e32 v[38:39], v39
	;; [unrolled: 1-line block ×10, first 2 shown]
	s_waitcnt vmcnt(3)
	v_cvt_f64_f32_e32 v[82:83], v64
	v_cvt_f64_f32_e32 v[64:65], v65
	v_cmp_ge_i64_e32 vcc, v[32:33], v[22:23]
	s_or_b64 s[14:15], vcc, s[14:15]
	s_waitcnt vmcnt(2)
	v_fmac_f64_e32 v[28:29], v[66:67], v[52:53]
	v_fmac_f64_e32 v[6:7], v[36:37], v[52:53]
	v_fmac_f64_e32 v[26:27], v[72:73], v[52:53]
	v_fmac_f64_e32 v[4:5], v[42:43], v[52:53]
	v_fmac_f64_e32 v[8:9], v[78:79], v[52:53]
	v_fmac_f64_e32 v[2:3], v[48:49], v[52:53]
	v_fma_f64 v[28:29], -v[36:37], v[54:55], v[28:29]
	v_fmac_f64_e32 v[6:7], v[66:67], v[54:55]
	v_fma_f64 v[26:27], -v[42:43], v[54:55], v[26:27]
	v_fmac_f64_e32 v[4:5], v[72:73], v[54:55]
	v_fma_f64 v[8:9], -v[48:49], v[54:55], v[8:9]
	v_fmac_f64_e32 v[2:3], v[78:79], v[54:55]
	s_waitcnt vmcnt(1)
	v_fmac_f64_e32 v[28:29], v[68:69], v[56:57]
	v_fmac_f64_e32 v[6:7], v[38:39], v[56:57]
	v_fmac_f64_e32 v[26:27], v[74:75], v[56:57]
	v_fmac_f64_e32 v[4:5], v[44:45], v[56:57]
	v_fmac_f64_e32 v[8:9], v[80:81], v[56:57]
	v_fmac_f64_e32 v[2:3], v[50:51], v[56:57]
	v_fma_f64 v[28:29], -v[38:39], v[58:59], v[28:29]
	v_fmac_f64_e32 v[6:7], v[68:69], v[58:59]
	v_fma_f64 v[26:27], -v[44:45], v[58:59], v[26:27]
	v_fmac_f64_e32 v[4:5], v[74:75], v[58:59]
	v_fma_f64 v[8:9], -v[50:51], v[58:59], v[8:9]
	v_fmac_f64_e32 v[2:3], v[80:81], v[58:59]
	s_waitcnt vmcnt(0)
	v_fmac_f64_e32 v[28:29], v[70:71], v[60:61]
	v_fmac_f64_e32 v[6:7], v[40:41], v[60:61]
	v_fmac_f64_e32 v[26:27], v[76:77], v[60:61]
	v_fmac_f64_e32 v[4:5], v[46:47], v[60:61]
	v_fmac_f64_e32 v[8:9], v[82:83], v[60:61]
	v_fmac_f64_e32 v[2:3], v[64:65], v[60:61]
	v_fma_f64 v[28:29], -v[40:41], v[62:63], v[28:29]
	v_fmac_f64_e32 v[6:7], v[70:71], v[62:63]
	v_fma_f64 v[26:27], -v[46:47], v[62:63], v[26:27]
	v_fmac_f64_e32 v[4:5], v[76:77], v[62:63]
	v_fma_f64 v[8:9], -v[64:65], v[62:63], v[8:9]
	v_fmac_f64_e32 v[2:3], v[82:83], v[62:63]
	s_andn2_b64 exec, exec, s[14:15]
	s_cbranch_execnz .LBB178_20
; %bb.21:
	s_or_b64 exec, exec, s[14:15]
.LBB178_22:
	s_or_b64 exec, exec, s[10:11]
	s_andn2_b64 vcc, exec, s[6:7]
	s_cbranch_vccz .LBB178_24
	s_branch .LBB178_29
.LBB178_23:
                                        ; implicit-def: $vgpr6_vgpr7
                                        ; implicit-def: $vgpr28_vgpr29
                                        ; implicit-def: $vgpr4_vgpr5
                                        ; implicit-def: $vgpr26_vgpr27
                                        ; implicit-def: $vgpr2_vgpr3
                                        ; implicit-def: $vgpr8_vgpr9
.LBB178_24:
	v_mov_b64_e32 v[6:7], 0
	v_mov_b64_e32 v[28:29], v[6:7]
	;; [unrolled: 1-line block ×6, first 2 shown]
	s_and_saveexec_b64 s[6:7], s[0:1]
	s_cbranch_execz .LBB178_28
; %bb.25:
	v_mov_b64_e32 v[6:7], 0
	v_lshl_add_u64 v[30:31], v[10:11], 3, s[8:9]
	s_mov_b64 s[0:1], 0
	v_mov_b32_e32 v1, s13
	s_mov_b64 s[8:9], 0x900
	s_mov_b64 s[10:11], 0x100
	v_mov_b64_e32 v[28:29], v[6:7]
	v_mov_b64_e32 v[4:5], v[6:7]
	;; [unrolled: 1-line block ×5, first 2 shown]
.LBB178_26:                             ; =>This Inner Loop Header: Depth=1
	global_load_dwordx2 v[48:49], v[30:31], off
	global_load_dwordx4 v[32:35], v[24:25], off
	global_load_dwordx4 v[36:39], v[24:25], off offset:16
	global_load_dwordx4 v[40:43], v[24:25], off offset:32
	;; [unrolled: 1-line block ×3, first 2 shown]
	global_load_dwordx2 v[60:61], v[24:25], off offset:64
	v_lshl_add_u64 v[10:11], v[10:11], 0, 32
	v_lshl_add_u64 v[24:25], v[24:25], 0, s[8:9]
	;; [unrolled: 1-line block ×3, first 2 shown]
	s_waitcnt vmcnt(5)
	v_subrev_co_u32_e32 v48, vcc, s16, v48
	s_waitcnt lgkmcnt(0)
	v_mad_u64_u32 v[62:63], s[12:13], v48, 48, s[4:5]
	v_subb_co_u32_e32 v49, vcc, v49, v1, vcc
	v_mov_b32_e32 v48, v63
	v_mad_u64_u32 v[48:49], s[12:13], v49, 48, v[48:49]
	v_mov_b32_e32 v63, v48
	global_load_dwordx4 v[48:51], v[62:63], off
	global_load_dwordx4 v[52:55], v[62:63], off offset:16
	global_load_dwordx4 v[56:59], v[62:63], off offset:32
	s_waitcnt vmcnt(7)
	v_cvt_f64_f32_e32 v[62:63], v32
	v_cvt_f64_f32_e32 v[32:33], v33
	v_cvt_f64_f32_e32 v[64:65], v34
	v_cvt_f64_f32_e32 v[34:35], v35
	s_waitcnt vmcnt(6)
	v_cvt_f64_f32_e32 v[66:67], v36
	v_cvt_f64_f32_e32 v[36:37], v37
	v_cvt_f64_f32_e32 v[68:69], v38
	v_cvt_f64_f32_e32 v[38:39], v39
	;; [unrolled: 5-line block ×4, first 2 shown]
	s_waitcnt vmcnt(3)
	v_cvt_f64_f32_e32 v[78:79], v60
	v_cvt_f64_f32_e32 v[60:61], v61
	v_cmp_ge_i64_e32 vcc, v[10:11], v[22:23]
	s_or_b64 s[0:1], vcc, s[0:1]
	s_waitcnt vmcnt(2)
	v_fmac_f64_e32 v[28:29], v[62:63], v[48:49]
	v_fmac_f64_e32 v[6:7], v[32:33], v[48:49]
	v_fmac_f64_e32 v[26:27], v[64:65], v[48:49]
	v_fmac_f64_e32 v[4:5], v[34:35], v[48:49]
	v_fmac_f64_e32 v[8:9], v[66:67], v[48:49]
	v_fmac_f64_e32 v[2:3], v[36:37], v[48:49]
	v_fma_f64 v[28:29], -v[32:33], v[50:51], v[28:29]
	v_fmac_f64_e32 v[6:7], v[62:63], v[50:51]
	v_fma_f64 v[26:27], -v[34:35], v[50:51], v[26:27]
	v_fmac_f64_e32 v[4:5], v[64:65], v[50:51]
	v_fma_f64 v[8:9], -v[36:37], v[50:51], v[8:9]
	v_fmac_f64_e32 v[2:3], v[66:67], v[50:51]
	s_waitcnt vmcnt(1)
	v_fmac_f64_e32 v[28:29], v[68:69], v[52:53]
	v_fmac_f64_e32 v[6:7], v[38:39], v[52:53]
	v_fmac_f64_e32 v[26:27], v[70:71], v[52:53]
	v_fmac_f64_e32 v[4:5], v[40:41], v[52:53]
	v_fmac_f64_e32 v[8:9], v[72:73], v[52:53]
	v_fmac_f64_e32 v[2:3], v[42:43], v[52:53]
	v_fma_f64 v[28:29], -v[38:39], v[54:55], v[28:29]
	v_fmac_f64_e32 v[6:7], v[68:69], v[54:55]
	v_fma_f64 v[26:27], -v[40:41], v[54:55], v[26:27]
	v_fmac_f64_e32 v[4:5], v[70:71], v[54:55]
	v_fma_f64 v[8:9], -v[42:43], v[54:55], v[8:9]
	v_fmac_f64_e32 v[2:3], v[72:73], v[54:55]
	;; [unrolled: 13-line block ×3, first 2 shown]
	s_andn2_b64 exec, exec, s[0:1]
	s_cbranch_execnz .LBB178_26
; %bb.27:
	s_or_b64 exec, exec, s[0:1]
.LBB178_28:
	s_or_b64 exec, exec, s[6:7]
.LBB178_29:
	v_mov_b32_dpp v10, v28 row_shr:1 row_mask:0xf bank_mask:0xf
	v_mov_b32_dpp v11, v29 row_shr:1 row_mask:0xf bank_mask:0xf
	v_add_f64 v[10:11], v[28:29], v[10:11]
	v_mov_b32_dpp v24, v6 row_shr:1 row_mask:0xf bank_mask:0xf
	v_mov_b32_dpp v25, v7 row_shr:1 row_mask:0xf bank_mask:0xf
	v_mov_b32_dpp v28, v26 row_shr:1 row_mask:0xf bank_mask:0xf
	v_mov_b32_dpp v29, v27 row_shr:1 row_mask:0xf bank_mask:0xf
	v_mov_b32_dpp v30, v4 row_shr:1 row_mask:0xf bank_mask:0xf
	v_mov_b32_dpp v31, v5 row_shr:1 row_mask:0xf bank_mask:0xf
	v_mov_b32_dpp v32, v8 row_shr:1 row_mask:0xf bank_mask:0xf
	v_mov_b32_dpp v33, v9 row_shr:1 row_mask:0xf bank_mask:0xf
	v_mov_b32_dpp v34, v2 row_shr:1 row_mask:0xf bank_mask:0xf
	v_mov_b32_dpp v35, v3 row_shr:1 row_mask:0xf bank_mask:0xf
	v_add_f64 v[6:7], v[6:7], v[24:25]
	v_add_f64 v[26:27], v[26:27], v[28:29]
	v_add_f64 v[4:5], v[4:5], v[30:31]
	v_add_f64 v[8:9], v[8:9], v[32:33]
	v_add_f64 v[2:3], v[2:3], v[34:35]
	v_mov_b32_dpp v22, v10 row_shr:2 row_mask:0xf bank_mask:0xf
	v_mov_b32_dpp v23, v11 row_shr:2 row_mask:0xf bank_mask:0xf
	v_mov_b32_dpp v24, v6 row_shr:2 row_mask:0xf bank_mask:0xf
	v_mov_b32_dpp v25, v7 row_shr:2 row_mask:0xf bank_mask:0xf
	v_mov_b32_dpp v28, v26 row_shr:2 row_mask:0xf bank_mask:0xf
	v_mov_b32_dpp v29, v27 row_shr:2 row_mask:0xf bank_mask:0xf
	v_mov_b32_dpp v30, v4 row_shr:2 row_mask:0xf bank_mask:0xf
	v_mov_b32_dpp v31, v5 row_shr:2 row_mask:0xf bank_mask:0xf
	v_mov_b32_dpp v32, v8 row_shr:2 row_mask:0xf bank_mask:0xf
	v_mov_b32_dpp v33, v9 row_shr:2 row_mask:0xf bank_mask:0xf
	v_mov_b32_dpp v34, v2 row_shr:2 row_mask:0xf bank_mask:0xf
	v_mov_b32_dpp v35, v3 row_shr:2 row_mask:0xf bank_mask:0xf
	v_add_f64 v[10:11], v[10:11], v[22:23]
	v_add_f64 v[6:7], v[6:7], v[24:25]
	v_add_f64 v[26:27], v[26:27], v[28:29]
	v_add_f64 v[4:5], v[4:5], v[30:31]
	v_add_f64 v[8:9], v[8:9], v[32:33]
	v_add_f64 v[2:3], v[2:3], v[34:35]
	v_mov_b32_dpp v22, v10 row_shr:4 row_mask:0xf bank_mask:0xe
	v_mov_b32_dpp v23, v11 row_shr:4 row_mask:0xf bank_mask:0xe
	v_mov_b32_dpp v24, v6 row_shr:4 row_mask:0xf bank_mask:0xe
	v_mov_b32_dpp v25, v7 row_shr:4 row_mask:0xf bank_mask:0xe
	v_mov_b32_dpp v28, v26 row_shr:4 row_mask:0xf bank_mask:0xe
	v_mov_b32_dpp v29, v27 row_shr:4 row_mask:0xf bank_mask:0xe
	v_mov_b32_dpp v30, v4 row_shr:4 row_mask:0xf bank_mask:0xe
	v_mov_b32_dpp v31, v5 row_shr:4 row_mask:0xf bank_mask:0xe
	v_mov_b32_dpp v32, v8 row_shr:4 row_mask:0xf bank_mask:0xe
	v_mov_b32_dpp v33, v9 row_shr:4 row_mask:0xf bank_mask:0xe
	v_mov_b32_dpp v34, v2 row_shr:4 row_mask:0xf bank_mask:0xe
	v_mov_b32_dpp v35, v3 row_shr:4 row_mask:0xf bank_mask:0xe
	v_add_f64 v[10:11], v[10:11], v[22:23]
	;; [unrolled: 18-line block ×3, first 2 shown]
	v_add_f64 v[6:7], v[6:7], v[24:25]
	v_add_f64 v[26:27], v[26:27], v[28:29]
	;; [unrolled: 1-line block ×5, first 2 shown]
	v_mov_b32_dpp v22, v10 row_bcast:15 row_mask:0xa bank_mask:0xf
	v_mov_b32_dpp v23, v11 row_bcast:15 row_mask:0xa bank_mask:0xf
	;; [unrolled: 1-line block ×12, first 2 shown]
	v_cmp_eq_u32_e32 vcc, 31, v0
	s_and_b64 exec, exec, vcc
	s_cbranch_execz .LBB178_12
; %bb.30:
	s_load_dwordx2 s[2:3], s[2:3], 0x68
	v_add_f64 v[0:1], v[6:7], v[24:25]
	v_add_f64 v[6:7], v[4:5], v[30:31]
	;; [unrolled: 1-line block ×6, first 2 shown]
	v_cmp_eq_f64_e32 vcc, 0, v[12:13]
	v_cmp_eq_f64_e64 s[0:1], 0, v[14:15]
	v_mul_f64 v[8:9], v[0:1], -v[18:19]
	v_mul_f64 v[10:11], v[16:17], v[0:1]
	v_mul_f64 v[4:5], v[6:7], -v[18:19]
	v_mul_f64 v[6:7], v[16:17], v[6:7]
	;; [unrolled: 2-line block ×3, first 2 shown]
	s_and_b64 s[0:1], vcc, s[0:1]
	v_fmac_f64_e32 v[8:9], v[16:17], v[22:23]
	v_fmac_f64_e32 v[10:11], v[18:19], v[22:23]
	;; [unrolled: 1-line block ×6, first 2 shown]
	s_waitcnt lgkmcnt(0)
	s_and_saveexec_b64 s[4:5], s[0:1]
	s_xor_b64 s[0:1], exec, s[4:5]
	s_cbranch_execz .LBB178_32
; %bb.31:
	v_mad_u64_u32 v[12:13], s[4:5], v20, 48, s[2:3]
	v_mov_b32_e32 v14, v13
	v_mad_u64_u32 v[14:15], s[4:5], v21, 48, v[14:15]
	v_mov_b32_e32 v13, v14
	global_store_dwordx4 v[12:13], v[8:11], off
	global_store_dwordx4 v[12:13], v[4:7], off offset:16
	global_store_dwordx4 v[12:13], v[0:3], off offset:32
                                        ; implicit-def: $vgpr12_vgpr13
                                        ; implicit-def: $vgpr14_vgpr15
                                        ; implicit-def: $vgpr20_vgpr21
                                        ; implicit-def: $vgpr8_vgpr9
                                        ; implicit-def: $vgpr4_vgpr5
                                        ; implicit-def: $vgpr0_vgpr1
.LBB178_32:
	s_andn2_saveexec_b64 s[0:1], s[0:1]
	s_cbranch_execz .LBB178_12
; %bb.33:
	v_mad_u64_u32 v[28:29], s[0:1], v20, 48, s[2:3]
	v_mov_b32_e32 v16, v29
	v_mad_u64_u32 v[16:17], s[0:1], v21, 48, v[16:17]
	v_mov_b32_e32 v29, v16
	global_load_dwordx4 v[16:19], v[28:29], off
	global_load_dwordx4 v[20:23], v[28:29], off offset:16
	global_load_dwordx4 v[24:27], v[28:29], off offset:32
	s_waitcnt vmcnt(2)
	v_fmac_f64_e32 v[8:9], v[12:13], v[16:17]
	v_fmac_f64_e32 v[10:11], v[14:15], v[16:17]
	s_waitcnt vmcnt(1)
	v_fmac_f64_e32 v[4:5], v[12:13], v[20:21]
	v_fmac_f64_e32 v[6:7], v[14:15], v[20:21]
	;; [unrolled: 3-line block ×3, first 2 shown]
	v_fma_f64 v[8:9], -v[14:15], v[18:19], v[8:9]
	v_fmac_f64_e32 v[10:11], v[12:13], v[18:19]
	v_fma_f64 v[4:5], -v[14:15], v[22:23], v[4:5]
	v_fmac_f64_e32 v[6:7], v[12:13], v[22:23]
	;; [unrolled: 2-line block ×3, first 2 shown]
	global_store_dwordx4 v[28:29], v[8:11], off
	global_store_dwordx4 v[28:29], v[4:7], off offset:16
	global_store_dwordx4 v[28:29], v[0:3], off offset:32
	s_endpgm
	.section	.rodata,"a",@progbits
	.p2align	6, 0x0
	.amdhsa_kernel _ZN9rocsparseL18bsrxmvn_3x3_kernelILj256ELj32E21rocsparse_complex_numIdEllS1_IfES2_S2_EEvT3_20rocsparse_direction_NS_24const_host_device_scalarIT1_EES4_PKS4_PKT2_SD_SA_PKT4_PKT5_S8_PT6_21rocsparse_index_base_b
		.amdhsa_group_segment_fixed_size 4096
		.amdhsa_private_segment_fixed_size 0
		.amdhsa_kernarg_size 120
		.amdhsa_user_sgpr_count 4
		.amdhsa_user_sgpr_dispatch_ptr 1
		.amdhsa_user_sgpr_queue_ptr 0
		.amdhsa_user_sgpr_kernarg_segment_ptr 1
		.amdhsa_user_sgpr_dispatch_id 0
		.amdhsa_user_sgpr_kernarg_preload_length 0
		.amdhsa_user_sgpr_kernarg_preload_offset 0
		.amdhsa_user_sgpr_private_segment_size 0
		.amdhsa_uses_dynamic_stack 0
		.amdhsa_enable_private_segment 0
		.amdhsa_system_sgpr_workgroup_id_x 1
		.amdhsa_system_sgpr_workgroup_id_y 0
		.amdhsa_system_sgpr_workgroup_id_z 0
		.amdhsa_system_sgpr_workgroup_info 0
		.amdhsa_system_vgpr_workitem_id 2
		.amdhsa_next_free_vgpr 84
		.amdhsa_next_free_sgpr 24
		.amdhsa_accum_offset 84
		.amdhsa_reserve_vcc 1
		.amdhsa_float_round_mode_32 0
		.amdhsa_float_round_mode_16_64 0
		.amdhsa_float_denorm_mode_32 3
		.amdhsa_float_denorm_mode_16_64 3
		.amdhsa_dx10_clamp 1
		.amdhsa_ieee_mode 1
		.amdhsa_fp16_overflow 0
		.amdhsa_tg_split 0
		.amdhsa_exception_fp_ieee_invalid_op 0
		.amdhsa_exception_fp_denorm_src 0
		.amdhsa_exception_fp_ieee_div_zero 0
		.amdhsa_exception_fp_ieee_overflow 0
		.amdhsa_exception_fp_ieee_underflow 0
		.amdhsa_exception_fp_ieee_inexact 0
		.amdhsa_exception_int_div_zero 0
	.end_amdhsa_kernel
	.section	.text._ZN9rocsparseL18bsrxmvn_3x3_kernelILj256ELj32E21rocsparse_complex_numIdEllS1_IfES2_S2_EEvT3_20rocsparse_direction_NS_24const_host_device_scalarIT1_EES4_PKS4_PKT2_SD_SA_PKT4_PKT5_S8_PT6_21rocsparse_index_base_b,"axG",@progbits,_ZN9rocsparseL18bsrxmvn_3x3_kernelILj256ELj32E21rocsparse_complex_numIdEllS1_IfES2_S2_EEvT3_20rocsparse_direction_NS_24const_host_device_scalarIT1_EES4_PKS4_PKT2_SD_SA_PKT4_PKT5_S8_PT6_21rocsparse_index_base_b,comdat
.Lfunc_end178:
	.size	_ZN9rocsparseL18bsrxmvn_3x3_kernelILj256ELj32E21rocsparse_complex_numIdEllS1_IfES2_S2_EEvT3_20rocsparse_direction_NS_24const_host_device_scalarIT1_EES4_PKS4_PKT2_SD_SA_PKT4_PKT5_S8_PT6_21rocsparse_index_base_b, .Lfunc_end178-_ZN9rocsparseL18bsrxmvn_3x3_kernelILj256ELj32E21rocsparse_complex_numIdEllS1_IfES2_S2_EEvT3_20rocsparse_direction_NS_24const_host_device_scalarIT1_EES4_PKS4_PKT2_SD_SA_PKT4_PKT5_S8_PT6_21rocsparse_index_base_b
                                        ; -- End function
	.section	.AMDGPU.csdata,"",@progbits
; Kernel info:
; codeLenInByte = 2796
; NumSgprs: 30
; NumVgprs: 84
; NumAgprs: 0
; TotalNumVgprs: 84
; ScratchSize: 0
; MemoryBound: 0
; FloatMode: 240
; IeeeMode: 1
; LDSByteSize: 4096 bytes/workgroup (compile time only)
; SGPRBlocks: 3
; VGPRBlocks: 10
; NumSGPRsForWavesPerEU: 30
; NumVGPRsForWavesPerEU: 84
; AccumOffset: 84
; Occupancy: 5
; WaveLimiterHint : 1
; COMPUTE_PGM_RSRC2:SCRATCH_EN: 0
; COMPUTE_PGM_RSRC2:USER_SGPR: 4
; COMPUTE_PGM_RSRC2:TRAP_HANDLER: 0
; COMPUTE_PGM_RSRC2:TGID_X_EN: 1
; COMPUTE_PGM_RSRC2:TGID_Y_EN: 0
; COMPUTE_PGM_RSRC2:TGID_Z_EN: 0
; COMPUTE_PGM_RSRC2:TIDIG_COMP_CNT: 2
; COMPUTE_PGM_RSRC3_GFX90A:ACCUM_OFFSET: 20
; COMPUTE_PGM_RSRC3_GFX90A:TG_SPLIT: 0
	.section	.text._ZN9rocsparseL18bsrxmvn_3x3_kernelILj256ELj64E21rocsparse_complex_numIdEllS1_IfES2_S2_EEvT3_20rocsparse_direction_NS_24const_host_device_scalarIT1_EES4_PKS4_PKT2_SD_SA_PKT4_PKT5_S8_PT6_21rocsparse_index_base_b,"axG",@progbits,_ZN9rocsparseL18bsrxmvn_3x3_kernelILj256ELj64E21rocsparse_complex_numIdEllS1_IfES2_S2_EEvT3_20rocsparse_direction_NS_24const_host_device_scalarIT1_EES4_PKS4_PKT2_SD_SA_PKT4_PKT5_S8_PT6_21rocsparse_index_base_b,comdat
	.globl	_ZN9rocsparseL18bsrxmvn_3x3_kernelILj256ELj64E21rocsparse_complex_numIdEllS1_IfES2_S2_EEvT3_20rocsparse_direction_NS_24const_host_device_scalarIT1_EES4_PKS4_PKT2_SD_SA_PKT4_PKT5_S8_PT6_21rocsparse_index_base_b ; -- Begin function _ZN9rocsparseL18bsrxmvn_3x3_kernelILj256ELj64E21rocsparse_complex_numIdEllS1_IfES2_S2_EEvT3_20rocsparse_direction_NS_24const_host_device_scalarIT1_EES4_PKS4_PKT2_SD_SA_PKT4_PKT5_S8_PT6_21rocsparse_index_base_b
	.p2align	8
	.type	_ZN9rocsparseL18bsrxmvn_3x3_kernelILj256ELj64E21rocsparse_complex_numIdEllS1_IfES2_S2_EEvT3_20rocsparse_direction_NS_24const_host_device_scalarIT1_EES4_PKS4_PKT2_SD_SA_PKT4_PKT5_S8_PT6_21rocsparse_index_base_b,@function
_ZN9rocsparseL18bsrxmvn_3x3_kernelILj256ELj64E21rocsparse_complex_numIdEllS1_IfES2_S2_EEvT3_20rocsparse_direction_NS_24const_host_device_scalarIT1_EES4_PKS4_PKT2_SD_SA_PKT4_PKT5_S8_PT6_21rocsparse_index_base_b: ; @_ZN9rocsparseL18bsrxmvn_3x3_kernelILj256ELj64E21rocsparse_complex_numIdEllS1_IfES2_S2_EEvT3_20rocsparse_direction_NS_24const_host_device_scalarIT1_EES4_PKS4_PKT2_SD_SA_PKT4_PKT5_S8_PT6_21rocsparse_index_base_b
; %bb.0:
	s_load_dwordx2 s[16:17], s[2:3], 0x70
	s_load_dwordx4 s[12:15], s[2:3], 0x10
	s_load_dwordx2 s[18:19], s[0:1], 0x4
	s_load_dwordx4 s[8:11], s[2:3], 0x58
	s_mov_b64 s[6:7], src_shared_base
	v_and_b32_e32 v2, 0x3ff, v0
	s_waitcnt lgkmcnt(0)
	s_bitcmp1_b32 s17, 0
	s_cselect_b64 s[0:1], -1, 0
	s_and_b64 vcc, s[0:1], exec
	s_cselect_b32 s5, s7, s13
	s_lshr_b32 s6, s18, 16
	s_mul_i32 s6, s6, s19
	v_mul_lo_u32 v3, s6, v2
	v_bfe_u32 v4, v0, 10, 10
	v_mad_u32_u24 v3, v4, s19, v3
	v_bfe_u32 v0, v0, 20, 10
	v_add_lshl_u32 v0, v3, v0, 3
	v_mov_b32_e32 v1, s12
	v_add_u32_e32 v3, 0x800, v0
	v_mov_b64_e32 v[4:5], s[12:13]
	v_mov_b64_e32 v[6:7], s[8:9]
	ds_write2st64_b64 v0, v[6:7], v[4:5] offset1:4
	v_cndmask_b32_e64 v4, v1, v3, s[0:1]
	v_mov_b32_e32 v5, s5
	flat_load_dwordx2 v[16:17], v[4:5]
	s_xor_b64 s[18:19], s[0:1], -1
	v_mov_b64_e32 v[18:19], s[14:15]
	s_cbranch_vccnz .LBB179_2
; %bb.1:
	v_mov_b64_e32 v[4:5], s[12:13]
	flat_load_dwordx2 v[18:19], v[4:5] offset:8
.LBB179_2:
	s_and_b64 s[12:13], s[0:1], exec
	s_cselect_b32 s5, s7, s9
	v_mov_b32_e32 v1, s8
	v_cndmask_b32_e64 v0, v1, v0, s[0:1]
	v_mov_b32_e32 v1, s5
	flat_load_dwordx2 v[12:13], v[0:1]
	s_andn2_b64 vcc, exec, s[18:19]
	v_mov_b64_e32 v[14:15], s[10:11]
	s_cbranch_vccnz .LBB179_4
; %bb.3:
	v_mov_b64_e32 v[0:1], s[8:9]
	flat_load_dwordx2 v[14:15], v[0:1] offset:8
.LBB179_4:
	s_waitcnt vmcnt(0) lgkmcnt(0)
	v_cmp_eq_f64_e32 vcc, 0, v[16:17]
	v_cmp_eq_f64_e64 s[0:1], 0, v[18:19]
	s_and_b64 s[8:9], vcc, s[0:1]
	s_mov_b64 s[0:1], -1
	s_and_saveexec_b64 s[6:7], s[8:9]
; %bb.5:
	v_cmp_neq_f64_e32 vcc, 1.0, v[12:13]
	v_cmp_neq_f64_e64 s[0:1], 0, v[14:15]
	s_or_b64 s[0:1], vcc, s[0:1]
	s_orn2_b64 s[0:1], s[0:1], exec
; %bb.6:
	s_or_b64 exec, exec, s[6:7]
	s_and_saveexec_b64 s[6:7], s[0:1]
	s_cbranch_execz .LBB179_12
; %bb.7:
	s_load_dwordx2 s[6:7], s[2:3], 0x28
	v_lshrrev_b32_e32 v0, 6, v2
	v_lshl_or_b32 v0, s4, 2, v0
	v_mov_b32_e32 v1, 0
	s_mov_b64 s[0:1], 0
	s_waitcnt lgkmcnt(0)
	s_cmp_lg_u64 s[6:7], 0
	s_cbranch_scc0 .LBB179_13
; %bb.8:
	s_load_dwordx2 s[4:5], s[2:3], 0x20
                                        ; implicit-def: $vgpr20_vgpr21
	s_waitcnt lgkmcnt(0)
	v_cmp_gt_i64_e32 vcc, s[4:5], v[0:1]
	s_and_saveexec_b64 s[4:5], vcc
	s_xor_b64 s[4:5], exec, s[4:5]
                                        ; implicit-def: $sgpr12_sgpr13
	s_cbranch_execz .LBB179_10
; %bb.9:
	v_lshl_add_u64 v[4:5], v[0:1], 3, s[6:7]
	global_load_dwordx2 v[4:5], v[4:5], off
	s_mov_b64 s[0:1], exec
	s_mov_b32 s13, 0
	s_waitcnt vmcnt(0)
	v_subrev_co_u32_e32 v20, vcc, s16, v4
	s_nop 1
	v_subbrev_co_u32_e32 v21, vcc, 0, v5, vcc
.LBB179_10:
	s_or_b64 exec, exec, s[4:5]
.LBB179_11:
	s_and_b64 exec, exec, s[0:1]
	s_cbranch_execnz .LBB179_17
.LBB179_12:
	s_endpgm
.LBB179_13:
                                        ; implicit-def: $vgpr20_vgpr21
                                        ; implicit-def: $sgpr12_sgpr13
	s_cbranch_execz .LBB179_11
; %bb.14:
	s_load_dwordx2 s[4:5], s[2:3], 0x0
                                        ; implicit-def: $vgpr20_vgpr21
	s_waitcnt lgkmcnt(0)
	v_cmp_gt_i64_e32 vcc, s[4:5], v[0:1]
	s_and_saveexec_b64 s[4:5], vcc
                                        ; implicit-def: $sgpr12_sgpr13
; %bb.15:
	s_mov_b32 s13, 0
	s_or_b64 s[0:1], s[0:1], exec
	v_mov_b64_e32 v[20:21], v[0:1]
; %bb.16:
	s_or_b64 exec, exec, s[4:5]
	s_and_b64 exec, exec, s[0:1]
	s_cbranch_execz .LBB179_12
.LBB179_17:
	s_load_dwordx8 s[4:11], s[2:3], 0x30
	v_lshlrev_b64 v[0:1], 3, v[20:21]
	s_load_dword s0, s[2:3], 0x8
	v_mov_b32_e32 v8, s13
	s_waitcnt lgkmcnt(0)
	v_lshl_add_u64 v[4:5], s[4:5], 0, v[0:1]
	global_load_dwordx2 v[6:7], v[4:5], off
	s_cmp_eq_u64 s[6:7], 0
	v_lshl_add_u64 v[0:1], s[6:7], 0, v[0:1]
	v_lshl_add_u64 v[4:5], v[4:5], 0, 8
	s_cselect_b64 vcc, -1, 0
	v_cndmask_b32_e32 v1, v1, v5, vcc
	v_cndmask_b32_e32 v0, v0, v4, vcc
	global_load_dwordx2 v[4:5], v[0:1], off
	v_and_b32_e32 v0, 63, v2
	v_mov_b32_e32 v1, 0
	s_load_dwordx2 s[4:5], s[2:3], 0x50
	s_movk_i32 s6, 0x48
	v_mov_b64_e32 v[2:3], s[10:11]
	s_cmp_eq_u32 s0, 1
	s_waitcnt vmcnt(1)
	v_subrev_co_u32_e32 v6, vcc, s16, v6
	s_nop 1
	v_subb_co_u32_e32 v7, vcc, v7, v8, vcc
	v_lshl_add_u64 v[10:11], v[6:7], 0, v[0:1]
	v_mad_u64_u32 v[24:25], s[0:1], v10, s6, v[2:3]
	s_waitcnt vmcnt(0)
	v_subrev_co_u32_e32 v22, vcc, s16, v4
	v_mov_b32_e32 v2, v25
	s_nop 0
	v_subb_co_u32_e32 v23, vcc, v5, v8, vcc
	v_mad_u64_u32 v[2:3], s[0:1], v11, s6, v[2:3]
	v_mov_b32_e32 v25, v2
	v_cmp_lt_i64_e64 s[0:1], v[10:11], v[22:23]
	s_cbranch_scc1 .LBB179_23
; %bb.18:
	v_mov_b64_e32 v[6:7], 0
	s_mov_b64 s[6:7], 0
	v_mov_b64_e32 v[28:29], v[6:7]
	v_mov_b64_e32 v[4:5], v[6:7]
	;; [unrolled: 1-line block ×5, first 2 shown]
	s_and_saveexec_b64 s[10:11], s[0:1]
	s_cbranch_execz .LBB179_22
; %bb.19:
	v_mov_b64_e32 v[6:7], 0
	v_lshl_add_u64 v[30:31], v[10:11], 3, s[8:9]
	s_mov_b64 s[14:15], 0
	v_mov_b32_e32 v1, s13
	s_mov_b64 s[18:19], 0x1200
	s_mov_b64 s[20:21], 0x200
	v_mov_b64_e32 v[32:33], v[10:11]
	v_mov_b64_e32 v[34:35], v[24:25]
	;; [unrolled: 1-line block ×7, first 2 shown]
.LBB179_20:                             ; =>This Inner Loop Header: Depth=1
	global_load_dwordx2 v[52:53], v[30:31], off
	global_load_dwordx4 v[36:39], v[34:35], off
	global_load_dwordx4 v[40:43], v[34:35], off offset:16
	global_load_dwordx4 v[44:47], v[34:35], off offset:32
	;; [unrolled: 1-line block ×3, first 2 shown]
	global_load_dwordx2 v[64:65], v[34:35], off offset:64
	v_lshl_add_u64 v[32:33], v[32:33], 0, 64
	v_lshl_add_u64 v[34:35], v[34:35], 0, s[18:19]
	;; [unrolled: 1-line block ×3, first 2 shown]
	s_waitcnt vmcnt(5)
	v_subrev_co_u32_e32 v52, vcc, s16, v52
	s_waitcnt lgkmcnt(0)
	v_mad_u64_u32 v[66:67], s[22:23], v52, 48, s[4:5]
	v_subb_co_u32_e32 v53, vcc, v53, v1, vcc
	v_mov_b32_e32 v52, v67
	v_mad_u64_u32 v[52:53], s[22:23], v53, 48, v[52:53]
	v_mov_b32_e32 v67, v52
	global_load_dwordx4 v[52:55], v[66:67], off
	global_load_dwordx4 v[56:59], v[66:67], off offset:16
	global_load_dwordx4 v[60:63], v[66:67], off offset:32
	s_waitcnt vmcnt(7)
	v_cvt_f64_f32_e32 v[66:67], v36
	v_cvt_f64_f32_e32 v[36:37], v37
	s_waitcnt vmcnt(6)
	v_cvt_f64_f32_e32 v[72:73], v42
	v_cvt_f64_f32_e32 v[42:43], v43
	;; [unrolled: 3-line block ×3, first 2 shown]
	v_cvt_f64_f32_e32 v[68:69], v38
	v_cvt_f64_f32_e32 v[38:39], v39
	;; [unrolled: 1-line block ×10, first 2 shown]
	s_waitcnt vmcnt(3)
	v_cvt_f64_f32_e32 v[82:83], v64
	v_cvt_f64_f32_e32 v[64:65], v65
	v_cmp_ge_i64_e32 vcc, v[32:33], v[22:23]
	s_or_b64 s[14:15], vcc, s[14:15]
	s_waitcnt vmcnt(2)
	v_fmac_f64_e32 v[28:29], v[66:67], v[52:53]
	v_fmac_f64_e32 v[6:7], v[36:37], v[52:53]
	v_fmac_f64_e32 v[26:27], v[72:73], v[52:53]
	v_fmac_f64_e32 v[4:5], v[42:43], v[52:53]
	v_fmac_f64_e32 v[8:9], v[78:79], v[52:53]
	v_fmac_f64_e32 v[2:3], v[48:49], v[52:53]
	v_fma_f64 v[28:29], -v[36:37], v[54:55], v[28:29]
	v_fmac_f64_e32 v[6:7], v[66:67], v[54:55]
	v_fma_f64 v[26:27], -v[42:43], v[54:55], v[26:27]
	v_fmac_f64_e32 v[4:5], v[72:73], v[54:55]
	v_fma_f64 v[8:9], -v[48:49], v[54:55], v[8:9]
	v_fmac_f64_e32 v[2:3], v[78:79], v[54:55]
	s_waitcnt vmcnt(1)
	v_fmac_f64_e32 v[28:29], v[68:69], v[56:57]
	v_fmac_f64_e32 v[6:7], v[38:39], v[56:57]
	v_fmac_f64_e32 v[26:27], v[74:75], v[56:57]
	v_fmac_f64_e32 v[4:5], v[44:45], v[56:57]
	v_fmac_f64_e32 v[8:9], v[80:81], v[56:57]
	v_fmac_f64_e32 v[2:3], v[50:51], v[56:57]
	v_fma_f64 v[28:29], -v[38:39], v[58:59], v[28:29]
	v_fmac_f64_e32 v[6:7], v[68:69], v[58:59]
	v_fma_f64 v[26:27], -v[44:45], v[58:59], v[26:27]
	v_fmac_f64_e32 v[4:5], v[74:75], v[58:59]
	v_fma_f64 v[8:9], -v[50:51], v[58:59], v[8:9]
	v_fmac_f64_e32 v[2:3], v[80:81], v[58:59]
	;; [unrolled: 13-line block ×3, first 2 shown]
	s_andn2_b64 exec, exec, s[14:15]
	s_cbranch_execnz .LBB179_20
; %bb.21:
	s_or_b64 exec, exec, s[14:15]
.LBB179_22:
	s_or_b64 exec, exec, s[10:11]
	s_andn2_b64 vcc, exec, s[6:7]
	s_cbranch_vccz .LBB179_24
	s_branch .LBB179_29
.LBB179_23:
                                        ; implicit-def: $vgpr6_vgpr7
                                        ; implicit-def: $vgpr28_vgpr29
                                        ; implicit-def: $vgpr4_vgpr5
                                        ; implicit-def: $vgpr26_vgpr27
                                        ; implicit-def: $vgpr2_vgpr3
                                        ; implicit-def: $vgpr8_vgpr9
.LBB179_24:
	v_mov_b64_e32 v[6:7], 0
	v_mov_b64_e32 v[28:29], v[6:7]
	;; [unrolled: 1-line block ×6, first 2 shown]
	s_and_saveexec_b64 s[6:7], s[0:1]
	s_cbranch_execz .LBB179_28
; %bb.25:
	v_mov_b64_e32 v[6:7], 0
	v_lshl_add_u64 v[30:31], v[10:11], 3, s[8:9]
	s_mov_b64 s[0:1], 0
	v_mov_b32_e32 v1, s13
	s_mov_b64 s[8:9], 0x1200
	s_mov_b64 s[10:11], 0x200
	v_mov_b64_e32 v[28:29], v[6:7]
	v_mov_b64_e32 v[4:5], v[6:7]
	;; [unrolled: 1-line block ×5, first 2 shown]
.LBB179_26:                             ; =>This Inner Loop Header: Depth=1
	global_load_dwordx2 v[48:49], v[30:31], off
	global_load_dwordx4 v[32:35], v[24:25], off
	global_load_dwordx4 v[36:39], v[24:25], off offset:16
	global_load_dwordx4 v[40:43], v[24:25], off offset:32
	global_load_dwordx4 v[44:47], v[24:25], off offset:48
	global_load_dwordx2 v[60:61], v[24:25], off offset:64
	v_lshl_add_u64 v[10:11], v[10:11], 0, 64
	v_lshl_add_u64 v[24:25], v[24:25], 0, s[8:9]
	;; [unrolled: 1-line block ×3, first 2 shown]
	s_waitcnt vmcnt(5)
	v_subrev_co_u32_e32 v48, vcc, s16, v48
	s_waitcnt lgkmcnt(0)
	v_mad_u64_u32 v[62:63], s[12:13], v48, 48, s[4:5]
	v_subb_co_u32_e32 v49, vcc, v49, v1, vcc
	v_mov_b32_e32 v48, v63
	v_mad_u64_u32 v[48:49], s[12:13], v49, 48, v[48:49]
	v_mov_b32_e32 v63, v48
	global_load_dwordx4 v[48:51], v[62:63], off
	global_load_dwordx4 v[52:55], v[62:63], off offset:16
	global_load_dwordx4 v[56:59], v[62:63], off offset:32
	s_waitcnt vmcnt(7)
	v_cvt_f64_f32_e32 v[62:63], v32
	v_cvt_f64_f32_e32 v[32:33], v33
	v_cvt_f64_f32_e32 v[64:65], v34
	v_cvt_f64_f32_e32 v[34:35], v35
	s_waitcnt vmcnt(6)
	v_cvt_f64_f32_e32 v[66:67], v36
	v_cvt_f64_f32_e32 v[36:37], v37
	v_cvt_f64_f32_e32 v[68:69], v38
	v_cvt_f64_f32_e32 v[38:39], v39
	;; [unrolled: 5-line block ×4, first 2 shown]
	s_waitcnt vmcnt(3)
	v_cvt_f64_f32_e32 v[78:79], v60
	v_cvt_f64_f32_e32 v[60:61], v61
	v_cmp_ge_i64_e32 vcc, v[10:11], v[22:23]
	s_or_b64 s[0:1], vcc, s[0:1]
	s_waitcnt vmcnt(2)
	v_fmac_f64_e32 v[28:29], v[62:63], v[48:49]
	v_fmac_f64_e32 v[6:7], v[32:33], v[48:49]
	v_fmac_f64_e32 v[26:27], v[64:65], v[48:49]
	v_fmac_f64_e32 v[4:5], v[34:35], v[48:49]
	v_fmac_f64_e32 v[8:9], v[66:67], v[48:49]
	v_fmac_f64_e32 v[2:3], v[36:37], v[48:49]
	v_fma_f64 v[28:29], -v[32:33], v[50:51], v[28:29]
	v_fmac_f64_e32 v[6:7], v[62:63], v[50:51]
	v_fma_f64 v[26:27], -v[34:35], v[50:51], v[26:27]
	v_fmac_f64_e32 v[4:5], v[64:65], v[50:51]
	v_fma_f64 v[8:9], -v[36:37], v[50:51], v[8:9]
	v_fmac_f64_e32 v[2:3], v[66:67], v[50:51]
	s_waitcnt vmcnt(1)
	v_fmac_f64_e32 v[28:29], v[68:69], v[52:53]
	v_fmac_f64_e32 v[6:7], v[38:39], v[52:53]
	v_fmac_f64_e32 v[26:27], v[70:71], v[52:53]
	v_fmac_f64_e32 v[4:5], v[40:41], v[52:53]
	v_fmac_f64_e32 v[8:9], v[72:73], v[52:53]
	v_fmac_f64_e32 v[2:3], v[42:43], v[52:53]
	v_fma_f64 v[28:29], -v[38:39], v[54:55], v[28:29]
	v_fmac_f64_e32 v[6:7], v[68:69], v[54:55]
	v_fma_f64 v[26:27], -v[40:41], v[54:55], v[26:27]
	v_fmac_f64_e32 v[4:5], v[70:71], v[54:55]
	v_fma_f64 v[8:9], -v[42:43], v[54:55], v[8:9]
	v_fmac_f64_e32 v[2:3], v[72:73], v[54:55]
	;; [unrolled: 13-line block ×3, first 2 shown]
	s_andn2_b64 exec, exec, s[0:1]
	s_cbranch_execnz .LBB179_26
; %bb.27:
	s_or_b64 exec, exec, s[0:1]
.LBB179_28:
	s_or_b64 exec, exec, s[6:7]
.LBB179_29:
	v_mov_b32_dpp v10, v28 row_shr:1 row_mask:0xf bank_mask:0xf
	v_mov_b32_dpp v11, v29 row_shr:1 row_mask:0xf bank_mask:0xf
	v_add_f64 v[10:11], v[28:29], v[10:11]
	v_mov_b32_dpp v24, v6 row_shr:1 row_mask:0xf bank_mask:0xf
	v_mov_b32_dpp v25, v7 row_shr:1 row_mask:0xf bank_mask:0xf
	;; [unrolled: 1-line block ×10, first 2 shown]
	v_add_f64 v[6:7], v[6:7], v[24:25]
	v_add_f64 v[26:27], v[26:27], v[28:29]
	v_add_f64 v[4:5], v[4:5], v[30:31]
	v_add_f64 v[8:9], v[8:9], v[32:33]
	v_add_f64 v[2:3], v[2:3], v[34:35]
	v_mov_b32_dpp v22, v10 row_shr:2 row_mask:0xf bank_mask:0xf
	v_mov_b32_dpp v23, v11 row_shr:2 row_mask:0xf bank_mask:0xf
	v_mov_b32_dpp v24, v6 row_shr:2 row_mask:0xf bank_mask:0xf
	v_mov_b32_dpp v25, v7 row_shr:2 row_mask:0xf bank_mask:0xf
	v_mov_b32_dpp v28, v26 row_shr:2 row_mask:0xf bank_mask:0xf
	v_mov_b32_dpp v29, v27 row_shr:2 row_mask:0xf bank_mask:0xf
	v_mov_b32_dpp v30, v4 row_shr:2 row_mask:0xf bank_mask:0xf
	v_mov_b32_dpp v31, v5 row_shr:2 row_mask:0xf bank_mask:0xf
	v_mov_b32_dpp v32, v8 row_shr:2 row_mask:0xf bank_mask:0xf
	v_mov_b32_dpp v33, v9 row_shr:2 row_mask:0xf bank_mask:0xf
	v_mov_b32_dpp v34, v2 row_shr:2 row_mask:0xf bank_mask:0xf
	v_mov_b32_dpp v35, v3 row_shr:2 row_mask:0xf bank_mask:0xf
	v_add_f64 v[10:11], v[10:11], v[22:23]
	v_add_f64 v[6:7], v[6:7], v[24:25]
	v_add_f64 v[26:27], v[26:27], v[28:29]
	v_add_f64 v[4:5], v[4:5], v[30:31]
	v_add_f64 v[8:9], v[8:9], v[32:33]
	v_add_f64 v[2:3], v[2:3], v[34:35]
	v_mov_b32_dpp v22, v10 row_shr:4 row_mask:0xf bank_mask:0xe
	v_mov_b32_dpp v23, v11 row_shr:4 row_mask:0xf bank_mask:0xe
	v_mov_b32_dpp v24, v6 row_shr:4 row_mask:0xf bank_mask:0xe
	v_mov_b32_dpp v25, v7 row_shr:4 row_mask:0xf bank_mask:0xe
	v_mov_b32_dpp v28, v26 row_shr:4 row_mask:0xf bank_mask:0xe
	v_mov_b32_dpp v29, v27 row_shr:4 row_mask:0xf bank_mask:0xe
	v_mov_b32_dpp v30, v4 row_shr:4 row_mask:0xf bank_mask:0xe
	v_mov_b32_dpp v31, v5 row_shr:4 row_mask:0xf bank_mask:0xe
	v_mov_b32_dpp v32, v8 row_shr:4 row_mask:0xf bank_mask:0xe
	v_mov_b32_dpp v33, v9 row_shr:4 row_mask:0xf bank_mask:0xe
	v_mov_b32_dpp v34, v2 row_shr:4 row_mask:0xf bank_mask:0xe
	v_mov_b32_dpp v35, v3 row_shr:4 row_mask:0xf bank_mask:0xe
	v_add_f64 v[10:11], v[10:11], v[22:23]
	;; [unrolled: 18-line block ×3, first 2 shown]
	v_add_f64 v[6:7], v[6:7], v[24:25]
	v_add_f64 v[26:27], v[26:27], v[28:29]
	;; [unrolled: 1-line block ×5, first 2 shown]
	v_mov_b32_dpp v22, v10 row_bcast:15 row_mask:0xa bank_mask:0xf
	v_mov_b32_dpp v23, v11 row_bcast:15 row_mask:0xa bank_mask:0xf
	;; [unrolled: 1-line block ×12, first 2 shown]
	v_add_f64 v[10:11], v[10:11], v[22:23]
	v_add_f64 v[6:7], v[6:7], v[24:25]
	;; [unrolled: 1-line block ×6, first 2 shown]
	v_mov_b32_dpp v22, v10 row_bcast:31 row_mask:0xc bank_mask:0xf
	v_mov_b32_dpp v23, v11 row_bcast:31 row_mask:0xc bank_mask:0xf
	;; [unrolled: 1-line block ×12, first 2 shown]
	v_cmp_eq_u32_e32 vcc, 63, v0
	s_and_b64 exec, exec, vcc
	s_cbranch_execz .LBB179_12
; %bb.30:
	s_load_dwordx2 s[2:3], s[2:3], 0x68
	v_add_f64 v[0:1], v[6:7], v[24:25]
	v_add_f64 v[6:7], v[4:5], v[30:31]
	;; [unrolled: 1-line block ×6, first 2 shown]
	v_cmp_eq_f64_e32 vcc, 0, v[12:13]
	v_cmp_eq_f64_e64 s[0:1], 0, v[14:15]
	v_mul_f64 v[8:9], v[0:1], -v[18:19]
	v_mul_f64 v[10:11], v[16:17], v[0:1]
	v_mul_f64 v[4:5], v[6:7], -v[18:19]
	v_mul_f64 v[6:7], v[16:17], v[6:7]
	;; [unrolled: 2-line block ×3, first 2 shown]
	s_and_b64 s[0:1], vcc, s[0:1]
	v_fmac_f64_e32 v[8:9], v[16:17], v[22:23]
	v_fmac_f64_e32 v[10:11], v[18:19], v[22:23]
	;; [unrolled: 1-line block ×6, first 2 shown]
	s_waitcnt lgkmcnt(0)
	s_and_saveexec_b64 s[4:5], s[0:1]
	s_xor_b64 s[0:1], exec, s[4:5]
	s_cbranch_execz .LBB179_32
; %bb.31:
	v_mad_u64_u32 v[12:13], s[4:5], v20, 48, s[2:3]
	v_mov_b32_e32 v14, v13
	v_mad_u64_u32 v[14:15], s[4:5], v21, 48, v[14:15]
	v_mov_b32_e32 v13, v14
	global_store_dwordx4 v[12:13], v[8:11], off
	global_store_dwordx4 v[12:13], v[4:7], off offset:16
	global_store_dwordx4 v[12:13], v[0:3], off offset:32
                                        ; implicit-def: $vgpr12_vgpr13
                                        ; implicit-def: $vgpr14_vgpr15
                                        ; implicit-def: $vgpr20_vgpr21
                                        ; implicit-def: $vgpr8_vgpr9
                                        ; implicit-def: $vgpr4_vgpr5
                                        ; implicit-def: $vgpr0_vgpr1
.LBB179_32:
	s_andn2_saveexec_b64 s[0:1], s[0:1]
	s_cbranch_execz .LBB179_12
; %bb.33:
	v_mad_u64_u32 v[28:29], s[0:1], v20, 48, s[2:3]
	v_mov_b32_e32 v16, v29
	v_mad_u64_u32 v[16:17], s[0:1], v21, 48, v[16:17]
	v_mov_b32_e32 v29, v16
	global_load_dwordx4 v[16:19], v[28:29], off
	global_load_dwordx4 v[20:23], v[28:29], off offset:16
	global_load_dwordx4 v[24:27], v[28:29], off offset:32
	s_waitcnt vmcnt(2)
	v_fmac_f64_e32 v[8:9], v[12:13], v[16:17]
	v_fmac_f64_e32 v[10:11], v[14:15], v[16:17]
	s_waitcnt vmcnt(1)
	v_fmac_f64_e32 v[4:5], v[12:13], v[20:21]
	v_fmac_f64_e32 v[6:7], v[14:15], v[20:21]
	s_waitcnt vmcnt(0)
	v_fmac_f64_e32 v[0:1], v[12:13], v[24:25]
	v_fmac_f64_e32 v[2:3], v[14:15], v[24:25]
	v_fma_f64 v[8:9], -v[14:15], v[18:19], v[8:9]
	v_fmac_f64_e32 v[10:11], v[12:13], v[18:19]
	v_fma_f64 v[4:5], -v[14:15], v[22:23], v[4:5]
	v_fmac_f64_e32 v[6:7], v[12:13], v[22:23]
	;; [unrolled: 2-line block ×3, first 2 shown]
	global_store_dwordx4 v[28:29], v[8:11], off
	global_store_dwordx4 v[28:29], v[4:7], off offset:16
	global_store_dwordx4 v[28:29], v[0:3], off offset:32
	s_endpgm
	.section	.rodata,"a",@progbits
	.p2align	6, 0x0
	.amdhsa_kernel _ZN9rocsparseL18bsrxmvn_3x3_kernelILj256ELj64E21rocsparse_complex_numIdEllS1_IfES2_S2_EEvT3_20rocsparse_direction_NS_24const_host_device_scalarIT1_EES4_PKS4_PKT2_SD_SA_PKT4_PKT5_S8_PT6_21rocsparse_index_base_b
		.amdhsa_group_segment_fixed_size 4096
		.amdhsa_private_segment_fixed_size 0
		.amdhsa_kernarg_size 120
		.amdhsa_user_sgpr_count 4
		.amdhsa_user_sgpr_dispatch_ptr 1
		.amdhsa_user_sgpr_queue_ptr 0
		.amdhsa_user_sgpr_kernarg_segment_ptr 1
		.amdhsa_user_sgpr_dispatch_id 0
		.amdhsa_user_sgpr_kernarg_preload_length 0
		.amdhsa_user_sgpr_kernarg_preload_offset 0
		.amdhsa_user_sgpr_private_segment_size 0
		.amdhsa_uses_dynamic_stack 0
		.amdhsa_enable_private_segment 0
		.amdhsa_system_sgpr_workgroup_id_x 1
		.amdhsa_system_sgpr_workgroup_id_y 0
		.amdhsa_system_sgpr_workgroup_id_z 0
		.amdhsa_system_sgpr_workgroup_info 0
		.amdhsa_system_vgpr_workitem_id 2
		.amdhsa_next_free_vgpr 84
		.amdhsa_next_free_sgpr 24
		.amdhsa_accum_offset 84
		.amdhsa_reserve_vcc 1
		.amdhsa_float_round_mode_32 0
		.amdhsa_float_round_mode_16_64 0
		.amdhsa_float_denorm_mode_32 3
		.amdhsa_float_denorm_mode_16_64 3
		.amdhsa_dx10_clamp 1
		.amdhsa_ieee_mode 1
		.amdhsa_fp16_overflow 0
		.amdhsa_tg_split 0
		.amdhsa_exception_fp_ieee_invalid_op 0
		.amdhsa_exception_fp_denorm_src 0
		.amdhsa_exception_fp_ieee_div_zero 0
		.amdhsa_exception_fp_ieee_overflow 0
		.amdhsa_exception_fp_ieee_underflow 0
		.amdhsa_exception_fp_ieee_inexact 0
		.amdhsa_exception_int_div_zero 0
	.end_amdhsa_kernel
	.section	.text._ZN9rocsparseL18bsrxmvn_3x3_kernelILj256ELj64E21rocsparse_complex_numIdEllS1_IfES2_S2_EEvT3_20rocsparse_direction_NS_24const_host_device_scalarIT1_EES4_PKS4_PKT2_SD_SA_PKT4_PKT5_S8_PT6_21rocsparse_index_base_b,"axG",@progbits,_ZN9rocsparseL18bsrxmvn_3x3_kernelILj256ELj64E21rocsparse_complex_numIdEllS1_IfES2_S2_EEvT3_20rocsparse_direction_NS_24const_host_device_scalarIT1_EES4_PKS4_PKT2_SD_SA_PKT4_PKT5_S8_PT6_21rocsparse_index_base_b,comdat
.Lfunc_end179:
	.size	_ZN9rocsparseL18bsrxmvn_3x3_kernelILj256ELj64E21rocsparse_complex_numIdEllS1_IfES2_S2_EEvT3_20rocsparse_direction_NS_24const_host_device_scalarIT1_EES4_PKS4_PKT2_SD_SA_PKT4_PKT5_S8_PT6_21rocsparse_index_base_b, .Lfunc_end179-_ZN9rocsparseL18bsrxmvn_3x3_kernelILj256ELj64E21rocsparse_complex_numIdEllS1_IfES2_S2_EEvT3_20rocsparse_direction_NS_24const_host_device_scalarIT1_EES4_PKS4_PKT2_SD_SA_PKT4_PKT5_S8_PT6_21rocsparse_index_base_b
                                        ; -- End function
	.section	.AMDGPU.csdata,"",@progbits
; Kernel info:
; codeLenInByte = 2940
; NumSgprs: 30
; NumVgprs: 84
; NumAgprs: 0
; TotalNumVgprs: 84
; ScratchSize: 0
; MemoryBound: 0
; FloatMode: 240
; IeeeMode: 1
; LDSByteSize: 4096 bytes/workgroup (compile time only)
; SGPRBlocks: 3
; VGPRBlocks: 10
; NumSGPRsForWavesPerEU: 30
; NumVGPRsForWavesPerEU: 84
; AccumOffset: 84
; Occupancy: 5
; WaveLimiterHint : 1
; COMPUTE_PGM_RSRC2:SCRATCH_EN: 0
; COMPUTE_PGM_RSRC2:USER_SGPR: 4
; COMPUTE_PGM_RSRC2:TRAP_HANDLER: 0
; COMPUTE_PGM_RSRC2:TGID_X_EN: 1
; COMPUTE_PGM_RSRC2:TGID_Y_EN: 0
; COMPUTE_PGM_RSRC2:TGID_Z_EN: 0
; COMPUTE_PGM_RSRC2:TIDIG_COMP_CNT: 2
; COMPUTE_PGM_RSRC3_GFX90A:ACCUM_OFFSET: 20
; COMPUTE_PGM_RSRC3_GFX90A:TG_SPLIT: 0
	.text
	.p2alignl 6, 3212836864
	.fill 256, 4, 3212836864
	.type	__hip_cuid_aa6bd850cb1439e4,@object ; @__hip_cuid_aa6bd850cb1439e4
	.section	.bss,"aw",@nobits
	.globl	__hip_cuid_aa6bd850cb1439e4
__hip_cuid_aa6bd850cb1439e4:
	.byte	0                               ; 0x0
	.size	__hip_cuid_aa6bd850cb1439e4, 1

	.ident	"AMD clang version 19.0.0git (https://github.com/RadeonOpenCompute/llvm-project roc-6.4.0 25133 c7fe45cf4b819c5991fe208aaa96edf142730f1d)"
	.section	".note.GNU-stack","",@progbits
	.addrsig
	.addrsig_sym __hip_cuid_aa6bd850cb1439e4
	.amdgpu_metadata
---
amdhsa.kernels:
  - .agpr_count:     0
    .args:
      - .offset:         0
        .size:           4
        .value_kind:     by_value
      - .offset:         4
        .size:           4
        .value_kind:     by_value
      - .offset:         8
        .size:           8
        .value_kind:     by_value
      - .offset:         16
        .size:           4
        .value_kind:     by_value
      - .actual_access:  read_only
        .address_space:  global
        .offset:         24
        .size:           8
        .value_kind:     global_buffer
      - .actual_access:  read_only
        .address_space:  global
        .offset:         32
        .size:           8
        .value_kind:     global_buffer
      - .actual_access:  read_only
        .address_space:  global
        .offset:         40
        .size:           8
        .value_kind:     global_buffer
      - .actual_access:  read_only
        .address_space:  global
        .offset:         48
        .size:           8
        .value_kind:     global_buffer
      - .actual_access:  read_only
        .address_space:  global
        .offset:         56
        .size:           8
        .value_kind:     global_buffer
      - .actual_access:  read_only
        .address_space:  global
        .offset:         64
        .size:           8
        .value_kind:     global_buffer
      - .offset:         72
        .size:           8
        .value_kind:     by_value
      - .address_space:  global
        .offset:         80
        .size:           8
        .value_kind:     global_buffer
      - .offset:         88
        .size:           4
        .value_kind:     by_value
      - .offset:         92
        .size:           1
        .value_kind:     by_value
    .group_segment_fixed_size: 0
    .kernarg_segment_align: 8
    .kernarg_segment_size: 96
    .language:       OpenCL C
    .language_version:
      - 2
      - 0
    .max_flat_workgroup_size: 256
    .name:           _ZN9rocsparseL18bsrxmvn_3x3_kernelILj256ELj4EfiifffEEvT3_20rocsparse_direction_NS_24const_host_device_scalarIT1_EES1_PKS1_PKT2_SA_S7_PKT4_PKT5_S5_PT6_21rocsparse_index_base_b
    .private_segment_fixed_size: 0
    .sgpr_count:     26
    .sgpr_spill_count: 0
    .symbol:         _ZN9rocsparseL18bsrxmvn_3x3_kernelILj256ELj4EfiifffEEvT3_20rocsparse_direction_NS_24const_host_device_scalarIT1_EES1_PKS1_PKT2_SA_S7_PKT4_PKT5_S5_PT6_21rocsparse_index_base_b.kd
    .uniform_work_group_size: 1
    .uses_dynamic_stack: false
    .vgpr_count:     28
    .vgpr_spill_count: 0
    .wavefront_size: 64
  - .agpr_count:     0
    .args:
      - .offset:         0
        .size:           4
        .value_kind:     by_value
      - .offset:         4
        .size:           4
        .value_kind:     by_value
      - .offset:         8
        .size:           8
        .value_kind:     by_value
      - .offset:         16
        .size:           4
        .value_kind:     by_value
      - .actual_access:  read_only
        .address_space:  global
        .offset:         24
        .size:           8
        .value_kind:     global_buffer
      - .actual_access:  read_only
        .address_space:  global
        .offset:         32
        .size:           8
        .value_kind:     global_buffer
      - .actual_access:  read_only
        .address_space:  global
        .offset:         40
        .size:           8
        .value_kind:     global_buffer
      - .actual_access:  read_only
        .address_space:  global
        .offset:         48
        .size:           8
        .value_kind:     global_buffer
      - .actual_access:  read_only
        .address_space:  global
        .offset:         56
        .size:           8
        .value_kind:     global_buffer
      - .actual_access:  read_only
        .address_space:  global
        .offset:         64
        .size:           8
        .value_kind:     global_buffer
      - .offset:         72
        .size:           8
        .value_kind:     by_value
      - .address_space:  global
        .offset:         80
        .size:           8
        .value_kind:     global_buffer
      - .offset:         88
        .size:           4
        .value_kind:     by_value
      - .offset:         92
        .size:           1
        .value_kind:     by_value
    .group_segment_fixed_size: 0
    .kernarg_segment_align: 8
    .kernarg_segment_size: 96
    .language:       OpenCL C
    .language_version:
      - 2
      - 0
    .max_flat_workgroup_size: 256
    .name:           _ZN9rocsparseL18bsrxmvn_3x3_kernelILj256ELj8EfiifffEEvT3_20rocsparse_direction_NS_24const_host_device_scalarIT1_EES1_PKS1_PKT2_SA_S7_PKT4_PKT5_S5_PT6_21rocsparse_index_base_b
    .private_segment_fixed_size: 0
    .sgpr_count:     26
    .sgpr_spill_count: 0
    .symbol:         _ZN9rocsparseL18bsrxmvn_3x3_kernelILj256ELj8EfiifffEEvT3_20rocsparse_direction_NS_24const_host_device_scalarIT1_EES1_PKS1_PKT2_SA_S7_PKT4_PKT5_S5_PT6_21rocsparse_index_base_b.kd
    .uniform_work_group_size: 1
    .uses_dynamic_stack: false
    .vgpr_count:     28
    .vgpr_spill_count: 0
    .wavefront_size: 64
  - .agpr_count:     0
    .args:
      - .offset:         0
        .size:           4
        .value_kind:     by_value
      - .offset:         4
        .size:           4
        .value_kind:     by_value
      - .offset:         8
        .size:           8
        .value_kind:     by_value
      - .offset:         16
        .size:           4
        .value_kind:     by_value
      - .actual_access:  read_only
        .address_space:  global
        .offset:         24
        .size:           8
        .value_kind:     global_buffer
      - .actual_access:  read_only
        .address_space:  global
        .offset:         32
        .size:           8
        .value_kind:     global_buffer
      - .actual_access:  read_only
        .address_space:  global
        .offset:         40
        .size:           8
        .value_kind:     global_buffer
      - .actual_access:  read_only
        .address_space:  global
        .offset:         48
        .size:           8
        .value_kind:     global_buffer
      - .actual_access:  read_only
        .address_space:  global
        .offset:         56
        .size:           8
        .value_kind:     global_buffer
      - .actual_access:  read_only
        .address_space:  global
        .offset:         64
        .size:           8
        .value_kind:     global_buffer
      - .offset:         72
        .size:           8
        .value_kind:     by_value
      - .address_space:  global
        .offset:         80
        .size:           8
        .value_kind:     global_buffer
      - .offset:         88
        .size:           4
        .value_kind:     by_value
      - .offset:         92
        .size:           1
        .value_kind:     by_value
    .group_segment_fixed_size: 0
    .kernarg_segment_align: 8
    .kernarg_segment_size: 96
    .language:       OpenCL C
    .language_version:
      - 2
      - 0
    .max_flat_workgroup_size: 256
    .name:           _ZN9rocsparseL18bsrxmvn_3x3_kernelILj256ELj16EfiifffEEvT3_20rocsparse_direction_NS_24const_host_device_scalarIT1_EES1_PKS1_PKT2_SA_S7_PKT4_PKT5_S5_PT6_21rocsparse_index_base_b
    .private_segment_fixed_size: 0
    .sgpr_count:     26
    .sgpr_spill_count: 0
    .symbol:         _ZN9rocsparseL18bsrxmvn_3x3_kernelILj256ELj16EfiifffEEvT3_20rocsparse_direction_NS_24const_host_device_scalarIT1_EES1_PKS1_PKT2_SA_S7_PKT4_PKT5_S5_PT6_21rocsparse_index_base_b.kd
    .uniform_work_group_size: 1
    .uses_dynamic_stack: false
    .vgpr_count:     28
    .vgpr_spill_count: 0
    .wavefront_size: 64
  - .agpr_count:     0
    .args:
      - .offset:         0
        .size:           4
        .value_kind:     by_value
      - .offset:         4
        .size:           4
        .value_kind:     by_value
      - .offset:         8
        .size:           8
        .value_kind:     by_value
      - .offset:         16
        .size:           4
        .value_kind:     by_value
      - .actual_access:  read_only
        .address_space:  global
        .offset:         24
        .size:           8
        .value_kind:     global_buffer
      - .actual_access:  read_only
        .address_space:  global
        .offset:         32
        .size:           8
        .value_kind:     global_buffer
      - .actual_access:  read_only
        .address_space:  global
        .offset:         40
        .size:           8
        .value_kind:     global_buffer
      - .actual_access:  read_only
        .address_space:  global
        .offset:         48
        .size:           8
        .value_kind:     global_buffer
      - .actual_access:  read_only
        .address_space:  global
        .offset:         56
        .size:           8
        .value_kind:     global_buffer
      - .actual_access:  read_only
        .address_space:  global
        .offset:         64
        .size:           8
        .value_kind:     global_buffer
      - .offset:         72
        .size:           8
        .value_kind:     by_value
      - .address_space:  global
        .offset:         80
        .size:           8
        .value_kind:     global_buffer
      - .offset:         88
        .size:           4
        .value_kind:     by_value
      - .offset:         92
        .size:           1
        .value_kind:     by_value
    .group_segment_fixed_size: 0
    .kernarg_segment_align: 8
    .kernarg_segment_size: 96
    .language:       OpenCL C
    .language_version:
      - 2
      - 0
    .max_flat_workgroup_size: 256
    .name:           _ZN9rocsparseL18bsrxmvn_3x3_kernelILj256ELj32EfiifffEEvT3_20rocsparse_direction_NS_24const_host_device_scalarIT1_EES1_PKS1_PKT2_SA_S7_PKT4_PKT5_S5_PT6_21rocsparse_index_base_b
    .private_segment_fixed_size: 0
    .sgpr_count:     26
    .sgpr_spill_count: 0
    .symbol:         _ZN9rocsparseL18bsrxmvn_3x3_kernelILj256ELj32EfiifffEEvT3_20rocsparse_direction_NS_24const_host_device_scalarIT1_EES1_PKS1_PKT2_SA_S7_PKT4_PKT5_S5_PT6_21rocsparse_index_base_b.kd
    .uniform_work_group_size: 1
    .uses_dynamic_stack: false
    .vgpr_count:     28
    .vgpr_spill_count: 0
    .wavefront_size: 64
  - .agpr_count:     0
    .args:
      - .offset:         0
        .size:           4
        .value_kind:     by_value
      - .offset:         4
        .size:           4
        .value_kind:     by_value
      - .offset:         8
        .size:           8
        .value_kind:     by_value
      - .offset:         16
        .size:           4
        .value_kind:     by_value
      - .actual_access:  read_only
        .address_space:  global
        .offset:         24
        .size:           8
        .value_kind:     global_buffer
      - .actual_access:  read_only
        .address_space:  global
        .offset:         32
        .size:           8
        .value_kind:     global_buffer
      - .actual_access:  read_only
        .address_space:  global
        .offset:         40
        .size:           8
        .value_kind:     global_buffer
      - .actual_access:  read_only
        .address_space:  global
        .offset:         48
        .size:           8
        .value_kind:     global_buffer
      - .actual_access:  read_only
        .address_space:  global
        .offset:         56
        .size:           8
        .value_kind:     global_buffer
      - .actual_access:  read_only
        .address_space:  global
        .offset:         64
        .size:           8
        .value_kind:     global_buffer
      - .offset:         72
        .size:           8
        .value_kind:     by_value
      - .address_space:  global
        .offset:         80
        .size:           8
        .value_kind:     global_buffer
      - .offset:         88
        .size:           4
        .value_kind:     by_value
      - .offset:         92
        .size:           1
        .value_kind:     by_value
    .group_segment_fixed_size: 0
    .kernarg_segment_align: 8
    .kernarg_segment_size: 96
    .language:       OpenCL C
    .language_version:
      - 2
      - 0
    .max_flat_workgroup_size: 256
    .name:           _ZN9rocsparseL18bsrxmvn_3x3_kernelILj256ELj64EfiifffEEvT3_20rocsparse_direction_NS_24const_host_device_scalarIT1_EES1_PKS1_PKT2_SA_S7_PKT4_PKT5_S5_PT6_21rocsparse_index_base_b
    .private_segment_fixed_size: 0
    .sgpr_count:     26
    .sgpr_spill_count: 0
    .symbol:         _ZN9rocsparseL18bsrxmvn_3x3_kernelILj256ELj64EfiifffEEvT3_20rocsparse_direction_NS_24const_host_device_scalarIT1_EES1_PKS1_PKT2_SA_S7_PKT4_PKT5_S5_PT6_21rocsparse_index_base_b.kd
    .uniform_work_group_size: 1
    .uses_dynamic_stack: false
    .vgpr_count:     28
    .vgpr_spill_count: 0
    .wavefront_size: 64
  - .agpr_count:     0
    .args:
      - .offset:         0
        .size:           4
        .value_kind:     by_value
      - .offset:         4
        .size:           4
        .value_kind:     by_value
      - .offset:         8
        .size:           8
        .value_kind:     by_value
      - .offset:         16
        .size:           4
        .value_kind:     by_value
      - .actual_access:  read_only
        .address_space:  global
        .offset:         24
        .size:           8
        .value_kind:     global_buffer
      - .actual_access:  read_only
        .address_space:  global
        .offset:         32
        .size:           8
        .value_kind:     global_buffer
      - .actual_access:  read_only
        .address_space:  global
        .offset:         40
        .size:           8
        .value_kind:     global_buffer
      - .actual_access:  read_only
        .address_space:  global
        .offset:         48
        .size:           8
        .value_kind:     global_buffer
      - .actual_access:  read_only
        .address_space:  global
        .offset:         56
        .size:           8
        .value_kind:     global_buffer
      - .actual_access:  read_only
        .address_space:  global
        .offset:         64
        .size:           8
        .value_kind:     global_buffer
      - .offset:         72
        .size:           8
        .value_kind:     by_value
      - .address_space:  global
        .offset:         80
        .size:           8
        .value_kind:     global_buffer
      - .offset:         88
        .size:           4
        .value_kind:     by_value
      - .offset:         92
        .size:           1
        .value_kind:     by_value
    .group_segment_fixed_size: 0
    .kernarg_segment_align: 8
    .kernarg_segment_size: 96
    .language:       OpenCL C
    .language_version:
      - 2
      - 0
    .max_flat_workgroup_size: 256
    .name:           _ZN9rocsparseL18bsrxmvn_3x3_kernelILj256ELj4EdiidddEEvT3_20rocsparse_direction_NS_24const_host_device_scalarIT1_EES1_PKS1_PKT2_SA_S7_PKT4_PKT5_S5_PT6_21rocsparse_index_base_b
    .private_segment_fixed_size: 0
    .sgpr_count:     24
    .sgpr_spill_count: 0
    .symbol:         _ZN9rocsparseL18bsrxmvn_3x3_kernelILj256ELj4EdiidddEEvT3_20rocsparse_direction_NS_24const_host_device_scalarIT1_EES1_PKS1_PKT2_SA_S7_PKT4_PKT5_S5_PT6_21rocsparse_index_base_b.kd
    .uniform_work_group_size: 1
    .uses_dynamic_stack: false
    .vgpr_count:     48
    .vgpr_spill_count: 0
    .wavefront_size: 64
  - .agpr_count:     0
    .args:
      - .offset:         0
        .size:           4
        .value_kind:     by_value
      - .offset:         4
        .size:           4
        .value_kind:     by_value
      - .offset:         8
        .size:           8
        .value_kind:     by_value
      - .offset:         16
        .size:           4
        .value_kind:     by_value
      - .actual_access:  read_only
        .address_space:  global
        .offset:         24
        .size:           8
        .value_kind:     global_buffer
      - .actual_access:  read_only
        .address_space:  global
        .offset:         32
        .size:           8
        .value_kind:     global_buffer
      - .actual_access:  read_only
        .address_space:  global
        .offset:         40
        .size:           8
        .value_kind:     global_buffer
      - .actual_access:  read_only
        .address_space:  global
        .offset:         48
        .size:           8
        .value_kind:     global_buffer
      - .actual_access:  read_only
        .address_space:  global
        .offset:         56
        .size:           8
        .value_kind:     global_buffer
      - .actual_access:  read_only
        .address_space:  global
        .offset:         64
        .size:           8
        .value_kind:     global_buffer
      - .offset:         72
        .size:           8
        .value_kind:     by_value
      - .address_space:  global
        .offset:         80
        .size:           8
        .value_kind:     global_buffer
      - .offset:         88
        .size:           4
        .value_kind:     by_value
      - .offset:         92
        .size:           1
        .value_kind:     by_value
    .group_segment_fixed_size: 0
    .kernarg_segment_align: 8
    .kernarg_segment_size: 96
    .language:       OpenCL C
    .language_version:
      - 2
      - 0
    .max_flat_workgroup_size: 256
    .name:           _ZN9rocsparseL18bsrxmvn_3x3_kernelILj256ELj8EdiidddEEvT3_20rocsparse_direction_NS_24const_host_device_scalarIT1_EES1_PKS1_PKT2_SA_S7_PKT4_PKT5_S5_PT6_21rocsparse_index_base_b
    .private_segment_fixed_size: 0
    .sgpr_count:     24
    .sgpr_spill_count: 0
    .symbol:         _ZN9rocsparseL18bsrxmvn_3x3_kernelILj256ELj8EdiidddEEvT3_20rocsparse_direction_NS_24const_host_device_scalarIT1_EES1_PKS1_PKT2_SA_S7_PKT4_PKT5_S5_PT6_21rocsparse_index_base_b.kd
    .uniform_work_group_size: 1
    .uses_dynamic_stack: false
    .vgpr_count:     48
    .vgpr_spill_count: 0
    .wavefront_size: 64
  - .agpr_count:     0
    .args:
      - .offset:         0
        .size:           4
        .value_kind:     by_value
      - .offset:         4
        .size:           4
        .value_kind:     by_value
      - .offset:         8
        .size:           8
        .value_kind:     by_value
      - .offset:         16
        .size:           4
        .value_kind:     by_value
      - .actual_access:  read_only
        .address_space:  global
        .offset:         24
        .size:           8
        .value_kind:     global_buffer
      - .actual_access:  read_only
        .address_space:  global
        .offset:         32
        .size:           8
        .value_kind:     global_buffer
      - .actual_access:  read_only
        .address_space:  global
        .offset:         40
        .size:           8
        .value_kind:     global_buffer
      - .actual_access:  read_only
        .address_space:  global
        .offset:         48
        .size:           8
        .value_kind:     global_buffer
      - .actual_access:  read_only
        .address_space:  global
        .offset:         56
        .size:           8
        .value_kind:     global_buffer
      - .actual_access:  read_only
        .address_space:  global
        .offset:         64
        .size:           8
        .value_kind:     global_buffer
      - .offset:         72
        .size:           8
        .value_kind:     by_value
      - .address_space:  global
        .offset:         80
        .size:           8
        .value_kind:     global_buffer
      - .offset:         88
        .size:           4
        .value_kind:     by_value
      - .offset:         92
        .size:           1
        .value_kind:     by_value
    .group_segment_fixed_size: 0
    .kernarg_segment_align: 8
    .kernarg_segment_size: 96
    .language:       OpenCL C
    .language_version:
      - 2
      - 0
    .max_flat_workgroup_size: 256
    .name:           _ZN9rocsparseL18bsrxmvn_3x3_kernelILj256ELj16EdiidddEEvT3_20rocsparse_direction_NS_24const_host_device_scalarIT1_EES1_PKS1_PKT2_SA_S7_PKT4_PKT5_S5_PT6_21rocsparse_index_base_b
    .private_segment_fixed_size: 0
    .sgpr_count:     24
    .sgpr_spill_count: 0
    .symbol:         _ZN9rocsparseL18bsrxmvn_3x3_kernelILj256ELj16EdiidddEEvT3_20rocsparse_direction_NS_24const_host_device_scalarIT1_EES1_PKS1_PKT2_SA_S7_PKT4_PKT5_S5_PT6_21rocsparse_index_base_b.kd
    .uniform_work_group_size: 1
    .uses_dynamic_stack: false
    .vgpr_count:     48
    .vgpr_spill_count: 0
    .wavefront_size: 64
  - .agpr_count:     0
    .args:
      - .offset:         0
        .size:           4
        .value_kind:     by_value
      - .offset:         4
        .size:           4
        .value_kind:     by_value
      - .offset:         8
        .size:           8
        .value_kind:     by_value
      - .offset:         16
        .size:           4
        .value_kind:     by_value
      - .actual_access:  read_only
        .address_space:  global
        .offset:         24
        .size:           8
        .value_kind:     global_buffer
      - .actual_access:  read_only
        .address_space:  global
        .offset:         32
        .size:           8
        .value_kind:     global_buffer
      - .actual_access:  read_only
        .address_space:  global
        .offset:         40
        .size:           8
        .value_kind:     global_buffer
      - .actual_access:  read_only
        .address_space:  global
        .offset:         48
        .size:           8
        .value_kind:     global_buffer
      - .actual_access:  read_only
        .address_space:  global
        .offset:         56
        .size:           8
        .value_kind:     global_buffer
      - .actual_access:  read_only
        .address_space:  global
        .offset:         64
        .size:           8
        .value_kind:     global_buffer
      - .offset:         72
        .size:           8
        .value_kind:     by_value
      - .address_space:  global
        .offset:         80
        .size:           8
        .value_kind:     global_buffer
      - .offset:         88
        .size:           4
        .value_kind:     by_value
      - .offset:         92
        .size:           1
        .value_kind:     by_value
    .group_segment_fixed_size: 0
    .kernarg_segment_align: 8
    .kernarg_segment_size: 96
    .language:       OpenCL C
    .language_version:
      - 2
      - 0
    .max_flat_workgroup_size: 256
    .name:           _ZN9rocsparseL18bsrxmvn_3x3_kernelILj256ELj32EdiidddEEvT3_20rocsparse_direction_NS_24const_host_device_scalarIT1_EES1_PKS1_PKT2_SA_S7_PKT4_PKT5_S5_PT6_21rocsparse_index_base_b
    .private_segment_fixed_size: 0
    .sgpr_count:     24
    .sgpr_spill_count: 0
    .symbol:         _ZN9rocsparseL18bsrxmvn_3x3_kernelILj256ELj32EdiidddEEvT3_20rocsparse_direction_NS_24const_host_device_scalarIT1_EES1_PKS1_PKT2_SA_S7_PKT4_PKT5_S5_PT6_21rocsparse_index_base_b.kd
    .uniform_work_group_size: 1
    .uses_dynamic_stack: false
    .vgpr_count:     48
    .vgpr_spill_count: 0
    .wavefront_size: 64
  - .agpr_count:     0
    .args:
      - .offset:         0
        .size:           4
        .value_kind:     by_value
      - .offset:         4
        .size:           4
        .value_kind:     by_value
      - .offset:         8
        .size:           8
        .value_kind:     by_value
      - .offset:         16
        .size:           4
        .value_kind:     by_value
      - .actual_access:  read_only
        .address_space:  global
        .offset:         24
        .size:           8
        .value_kind:     global_buffer
      - .actual_access:  read_only
        .address_space:  global
        .offset:         32
        .size:           8
        .value_kind:     global_buffer
      - .actual_access:  read_only
        .address_space:  global
        .offset:         40
        .size:           8
        .value_kind:     global_buffer
      - .actual_access:  read_only
        .address_space:  global
        .offset:         48
        .size:           8
        .value_kind:     global_buffer
      - .actual_access:  read_only
        .address_space:  global
        .offset:         56
        .size:           8
        .value_kind:     global_buffer
      - .actual_access:  read_only
        .address_space:  global
        .offset:         64
        .size:           8
        .value_kind:     global_buffer
      - .offset:         72
        .size:           8
        .value_kind:     by_value
      - .address_space:  global
        .offset:         80
        .size:           8
        .value_kind:     global_buffer
      - .offset:         88
        .size:           4
        .value_kind:     by_value
      - .offset:         92
        .size:           1
        .value_kind:     by_value
    .group_segment_fixed_size: 0
    .kernarg_segment_align: 8
    .kernarg_segment_size: 96
    .language:       OpenCL C
    .language_version:
      - 2
      - 0
    .max_flat_workgroup_size: 256
    .name:           _ZN9rocsparseL18bsrxmvn_3x3_kernelILj256ELj64EdiidddEEvT3_20rocsparse_direction_NS_24const_host_device_scalarIT1_EES1_PKS1_PKT2_SA_S7_PKT4_PKT5_S5_PT6_21rocsparse_index_base_b
    .private_segment_fixed_size: 0
    .sgpr_count:     24
    .sgpr_spill_count: 0
    .symbol:         _ZN9rocsparseL18bsrxmvn_3x3_kernelILj256ELj64EdiidddEEvT3_20rocsparse_direction_NS_24const_host_device_scalarIT1_EES1_PKS1_PKT2_SA_S7_PKT4_PKT5_S5_PT6_21rocsparse_index_base_b.kd
    .uniform_work_group_size: 1
    .uses_dynamic_stack: false
    .vgpr_count:     48
    .vgpr_spill_count: 0
    .wavefront_size: 64
  - .agpr_count:     0
    .args:
      - .offset:         0
        .size:           4
        .value_kind:     by_value
      - .offset:         4
        .size:           4
        .value_kind:     by_value
      - .offset:         8
        .size:           8
        .value_kind:     by_value
      - .offset:         16
        .size:           4
        .value_kind:     by_value
      - .actual_access:  read_only
        .address_space:  global
        .offset:         24
        .size:           8
        .value_kind:     global_buffer
      - .actual_access:  read_only
        .address_space:  global
        .offset:         32
        .size:           8
        .value_kind:     global_buffer
      - .actual_access:  read_only
        .address_space:  global
        .offset:         40
        .size:           8
        .value_kind:     global_buffer
      - .actual_access:  read_only
        .address_space:  global
        .offset:         48
        .size:           8
        .value_kind:     global_buffer
      - .actual_access:  read_only
        .address_space:  global
        .offset:         56
        .size:           8
        .value_kind:     global_buffer
      - .actual_access:  read_only
        .address_space:  global
        .offset:         64
        .size:           8
        .value_kind:     global_buffer
      - .offset:         72
        .size:           8
        .value_kind:     by_value
      - .address_space:  global
        .offset:         80
        .size:           8
        .value_kind:     global_buffer
      - .offset:         88
        .size:           4
        .value_kind:     by_value
      - .offset:         92
        .size:           1
        .value_kind:     by_value
    .group_segment_fixed_size: 0
    .kernarg_segment_align: 8
    .kernarg_segment_size: 96
    .language:       OpenCL C
    .language_version:
      - 2
      - 0
    .max_flat_workgroup_size: 256
    .name:           _ZN9rocsparseL18bsrxmvn_3x3_kernelILj256ELj4E21rocsparse_complex_numIfEiiS2_S2_S2_EEvT3_20rocsparse_direction_NS_24const_host_device_scalarIT1_EES3_PKS3_PKT2_SC_S9_PKT4_PKT5_S7_PT6_21rocsparse_index_base_b
    .private_segment_fixed_size: 0
    .sgpr_count:     22
    .sgpr_spill_count: 0
    .symbol:         _ZN9rocsparseL18bsrxmvn_3x3_kernelILj256ELj4E21rocsparse_complex_numIfEiiS2_S2_S2_EEvT3_20rocsparse_direction_NS_24const_host_device_scalarIT1_EES3_PKS3_PKT2_SC_S9_PKT4_PKT5_S7_PT6_21rocsparse_index_base_b.kd
    .uniform_work_group_size: 1
    .uses_dynamic_stack: false
    .vgpr_count:     56
    .vgpr_spill_count: 0
    .wavefront_size: 64
  - .agpr_count:     0
    .args:
      - .offset:         0
        .size:           4
        .value_kind:     by_value
      - .offset:         4
        .size:           4
        .value_kind:     by_value
      - .offset:         8
        .size:           8
        .value_kind:     by_value
      - .offset:         16
        .size:           4
        .value_kind:     by_value
      - .actual_access:  read_only
        .address_space:  global
        .offset:         24
        .size:           8
        .value_kind:     global_buffer
      - .actual_access:  read_only
        .address_space:  global
        .offset:         32
        .size:           8
        .value_kind:     global_buffer
      - .actual_access:  read_only
        .address_space:  global
        .offset:         40
        .size:           8
        .value_kind:     global_buffer
      - .actual_access:  read_only
        .address_space:  global
        .offset:         48
        .size:           8
        .value_kind:     global_buffer
      - .actual_access:  read_only
        .address_space:  global
        .offset:         56
        .size:           8
        .value_kind:     global_buffer
      - .actual_access:  read_only
        .address_space:  global
        .offset:         64
        .size:           8
        .value_kind:     global_buffer
      - .offset:         72
        .size:           8
        .value_kind:     by_value
      - .address_space:  global
        .offset:         80
        .size:           8
        .value_kind:     global_buffer
      - .offset:         88
        .size:           4
        .value_kind:     by_value
      - .offset:         92
        .size:           1
        .value_kind:     by_value
    .group_segment_fixed_size: 0
    .kernarg_segment_align: 8
    .kernarg_segment_size: 96
    .language:       OpenCL C
    .language_version:
      - 2
      - 0
    .max_flat_workgroup_size: 256
    .name:           _ZN9rocsparseL18bsrxmvn_3x3_kernelILj256ELj8E21rocsparse_complex_numIfEiiS2_S2_S2_EEvT3_20rocsparse_direction_NS_24const_host_device_scalarIT1_EES3_PKS3_PKT2_SC_S9_PKT4_PKT5_S7_PT6_21rocsparse_index_base_b
    .private_segment_fixed_size: 0
    .sgpr_count:     22
    .sgpr_spill_count: 0
    .symbol:         _ZN9rocsparseL18bsrxmvn_3x3_kernelILj256ELj8E21rocsparse_complex_numIfEiiS2_S2_S2_EEvT3_20rocsparse_direction_NS_24const_host_device_scalarIT1_EES3_PKS3_PKT2_SC_S9_PKT4_PKT5_S7_PT6_21rocsparse_index_base_b.kd
    .uniform_work_group_size: 1
    .uses_dynamic_stack: false
    .vgpr_count:     56
    .vgpr_spill_count: 0
    .wavefront_size: 64
  - .agpr_count:     0
    .args:
      - .offset:         0
        .size:           4
        .value_kind:     by_value
      - .offset:         4
        .size:           4
        .value_kind:     by_value
      - .offset:         8
        .size:           8
        .value_kind:     by_value
      - .offset:         16
        .size:           4
        .value_kind:     by_value
      - .actual_access:  read_only
        .address_space:  global
        .offset:         24
        .size:           8
        .value_kind:     global_buffer
      - .actual_access:  read_only
        .address_space:  global
        .offset:         32
        .size:           8
        .value_kind:     global_buffer
      - .actual_access:  read_only
        .address_space:  global
        .offset:         40
        .size:           8
        .value_kind:     global_buffer
      - .actual_access:  read_only
        .address_space:  global
        .offset:         48
        .size:           8
        .value_kind:     global_buffer
      - .actual_access:  read_only
        .address_space:  global
        .offset:         56
        .size:           8
        .value_kind:     global_buffer
      - .actual_access:  read_only
        .address_space:  global
        .offset:         64
        .size:           8
        .value_kind:     global_buffer
      - .offset:         72
        .size:           8
        .value_kind:     by_value
      - .address_space:  global
        .offset:         80
        .size:           8
        .value_kind:     global_buffer
      - .offset:         88
        .size:           4
        .value_kind:     by_value
      - .offset:         92
        .size:           1
        .value_kind:     by_value
    .group_segment_fixed_size: 0
    .kernarg_segment_align: 8
    .kernarg_segment_size: 96
    .language:       OpenCL C
    .language_version:
      - 2
      - 0
    .max_flat_workgroup_size: 256
    .name:           _ZN9rocsparseL18bsrxmvn_3x3_kernelILj256ELj16E21rocsparse_complex_numIfEiiS2_S2_S2_EEvT3_20rocsparse_direction_NS_24const_host_device_scalarIT1_EES3_PKS3_PKT2_SC_S9_PKT4_PKT5_S7_PT6_21rocsparse_index_base_b
    .private_segment_fixed_size: 0
    .sgpr_count:     22
    .sgpr_spill_count: 0
    .symbol:         _ZN9rocsparseL18bsrxmvn_3x3_kernelILj256ELj16E21rocsparse_complex_numIfEiiS2_S2_S2_EEvT3_20rocsparse_direction_NS_24const_host_device_scalarIT1_EES3_PKS3_PKT2_SC_S9_PKT4_PKT5_S7_PT6_21rocsparse_index_base_b.kd
    .uniform_work_group_size: 1
    .uses_dynamic_stack: false
    .vgpr_count:     56
    .vgpr_spill_count: 0
    .wavefront_size: 64
  - .agpr_count:     0
    .args:
      - .offset:         0
        .size:           4
        .value_kind:     by_value
      - .offset:         4
        .size:           4
        .value_kind:     by_value
      - .offset:         8
        .size:           8
        .value_kind:     by_value
      - .offset:         16
        .size:           4
        .value_kind:     by_value
      - .actual_access:  read_only
        .address_space:  global
        .offset:         24
        .size:           8
        .value_kind:     global_buffer
      - .actual_access:  read_only
        .address_space:  global
        .offset:         32
        .size:           8
        .value_kind:     global_buffer
      - .actual_access:  read_only
        .address_space:  global
        .offset:         40
        .size:           8
        .value_kind:     global_buffer
      - .actual_access:  read_only
        .address_space:  global
        .offset:         48
        .size:           8
        .value_kind:     global_buffer
      - .actual_access:  read_only
        .address_space:  global
        .offset:         56
        .size:           8
        .value_kind:     global_buffer
      - .actual_access:  read_only
        .address_space:  global
        .offset:         64
        .size:           8
        .value_kind:     global_buffer
      - .offset:         72
        .size:           8
        .value_kind:     by_value
      - .address_space:  global
        .offset:         80
        .size:           8
        .value_kind:     global_buffer
      - .offset:         88
        .size:           4
        .value_kind:     by_value
      - .offset:         92
        .size:           1
        .value_kind:     by_value
    .group_segment_fixed_size: 0
    .kernarg_segment_align: 8
    .kernarg_segment_size: 96
    .language:       OpenCL C
    .language_version:
      - 2
      - 0
    .max_flat_workgroup_size: 256
    .name:           _ZN9rocsparseL18bsrxmvn_3x3_kernelILj256ELj32E21rocsparse_complex_numIfEiiS2_S2_S2_EEvT3_20rocsparse_direction_NS_24const_host_device_scalarIT1_EES3_PKS3_PKT2_SC_S9_PKT4_PKT5_S7_PT6_21rocsparse_index_base_b
    .private_segment_fixed_size: 0
    .sgpr_count:     22
    .sgpr_spill_count: 0
    .symbol:         _ZN9rocsparseL18bsrxmvn_3x3_kernelILj256ELj32E21rocsparse_complex_numIfEiiS2_S2_S2_EEvT3_20rocsparse_direction_NS_24const_host_device_scalarIT1_EES3_PKS3_PKT2_SC_S9_PKT4_PKT5_S7_PT6_21rocsparse_index_base_b.kd
    .uniform_work_group_size: 1
    .uses_dynamic_stack: false
    .vgpr_count:     56
    .vgpr_spill_count: 0
    .wavefront_size: 64
  - .agpr_count:     0
    .args:
      - .offset:         0
        .size:           4
        .value_kind:     by_value
      - .offset:         4
        .size:           4
        .value_kind:     by_value
      - .offset:         8
        .size:           8
        .value_kind:     by_value
      - .offset:         16
        .size:           4
        .value_kind:     by_value
      - .actual_access:  read_only
        .address_space:  global
        .offset:         24
        .size:           8
        .value_kind:     global_buffer
      - .actual_access:  read_only
        .address_space:  global
        .offset:         32
        .size:           8
        .value_kind:     global_buffer
      - .actual_access:  read_only
        .address_space:  global
        .offset:         40
        .size:           8
        .value_kind:     global_buffer
      - .actual_access:  read_only
        .address_space:  global
        .offset:         48
        .size:           8
        .value_kind:     global_buffer
      - .actual_access:  read_only
        .address_space:  global
        .offset:         56
        .size:           8
        .value_kind:     global_buffer
      - .actual_access:  read_only
        .address_space:  global
        .offset:         64
        .size:           8
        .value_kind:     global_buffer
      - .offset:         72
        .size:           8
        .value_kind:     by_value
      - .address_space:  global
        .offset:         80
        .size:           8
        .value_kind:     global_buffer
      - .offset:         88
        .size:           4
        .value_kind:     by_value
      - .offset:         92
        .size:           1
        .value_kind:     by_value
    .group_segment_fixed_size: 0
    .kernarg_segment_align: 8
    .kernarg_segment_size: 96
    .language:       OpenCL C
    .language_version:
      - 2
      - 0
    .max_flat_workgroup_size: 256
    .name:           _ZN9rocsparseL18bsrxmvn_3x3_kernelILj256ELj64E21rocsparse_complex_numIfEiiS2_S2_S2_EEvT3_20rocsparse_direction_NS_24const_host_device_scalarIT1_EES3_PKS3_PKT2_SC_S9_PKT4_PKT5_S7_PT6_21rocsparse_index_base_b
    .private_segment_fixed_size: 0
    .sgpr_count:     22
    .sgpr_spill_count: 0
    .symbol:         _ZN9rocsparseL18bsrxmvn_3x3_kernelILj256ELj64E21rocsparse_complex_numIfEiiS2_S2_S2_EEvT3_20rocsparse_direction_NS_24const_host_device_scalarIT1_EES3_PKS3_PKT2_SC_S9_PKT4_PKT5_S7_PT6_21rocsparse_index_base_b.kd
    .uniform_work_group_size: 1
    .uses_dynamic_stack: false
    .vgpr_count:     56
    .vgpr_spill_count: 0
    .wavefront_size: 64
  - .agpr_count:     0
    .args:
      - .offset:         0
        .size:           4
        .value_kind:     by_value
      - .offset:         4
        .size:           4
        .value_kind:     by_value
      - .offset:         8
        .size:           16
        .value_kind:     by_value
      - .offset:         24
        .size:           4
        .value_kind:     by_value
      - .actual_access:  read_only
        .address_space:  global
        .offset:         32
        .size:           8
        .value_kind:     global_buffer
      - .actual_access:  read_only
        .address_space:  global
        .offset:         40
        .size:           8
        .value_kind:     global_buffer
      - .actual_access:  read_only
        .address_space:  global
        .offset:         48
        .size:           8
        .value_kind:     global_buffer
      - .actual_access:  read_only
        .address_space:  global
        .offset:         56
        .size:           8
        .value_kind:     global_buffer
      - .actual_access:  read_only
        .address_space:  global
        .offset:         64
        .size:           8
        .value_kind:     global_buffer
      - .actual_access:  read_only
        .address_space:  global
        .offset:         72
        .size:           8
        .value_kind:     global_buffer
      - .offset:         80
        .size:           16
        .value_kind:     by_value
      - .address_space:  global
        .offset:         96
        .size:           8
        .value_kind:     global_buffer
      - .offset:         104
        .size:           4
        .value_kind:     by_value
      - .offset:         108
        .size:           1
        .value_kind:     by_value
    .group_segment_fixed_size: 4096
    .kernarg_segment_align: 8
    .kernarg_segment_size: 112
    .language:       OpenCL C
    .language_version:
      - 2
      - 0
    .max_flat_workgroup_size: 256
    .name:           _ZN9rocsparseL18bsrxmvn_3x3_kernelILj256ELj4E21rocsparse_complex_numIdEiiS2_S2_S2_EEvT3_20rocsparse_direction_NS_24const_host_device_scalarIT1_EES3_PKS3_PKT2_SC_S9_PKT4_PKT5_S7_PT6_21rocsparse_index_base_b
    .private_segment_fixed_size: 0
    .sgpr_count:     26
    .sgpr_spill_count: 0
    .symbol:         _ZN9rocsparseL18bsrxmvn_3x3_kernelILj256ELj4E21rocsparse_complex_numIdEiiS2_S2_S2_EEvT3_20rocsparse_direction_NS_24const_host_device_scalarIT1_EES3_PKS3_PKT2_SC_S9_PKT4_PKT5_S7_PT6_21rocsparse_index_base_b.kd
    .uniform_work_group_size: 1
    .uses_dynamic_stack: false
    .vgpr_count:     82
    .vgpr_spill_count: 0
    .wavefront_size: 64
  - .agpr_count:     0
    .args:
      - .offset:         0
        .size:           4
        .value_kind:     by_value
      - .offset:         4
        .size:           4
        .value_kind:     by_value
      - .offset:         8
        .size:           16
        .value_kind:     by_value
      - .offset:         24
        .size:           4
        .value_kind:     by_value
      - .actual_access:  read_only
        .address_space:  global
        .offset:         32
        .size:           8
        .value_kind:     global_buffer
      - .actual_access:  read_only
        .address_space:  global
        .offset:         40
        .size:           8
        .value_kind:     global_buffer
      - .actual_access:  read_only
        .address_space:  global
        .offset:         48
        .size:           8
        .value_kind:     global_buffer
      - .actual_access:  read_only
        .address_space:  global
        .offset:         56
        .size:           8
        .value_kind:     global_buffer
      - .actual_access:  read_only
        .address_space:  global
        .offset:         64
        .size:           8
        .value_kind:     global_buffer
      - .actual_access:  read_only
        .address_space:  global
        .offset:         72
        .size:           8
        .value_kind:     global_buffer
      - .offset:         80
        .size:           16
        .value_kind:     by_value
      - .address_space:  global
        .offset:         96
        .size:           8
        .value_kind:     global_buffer
      - .offset:         104
        .size:           4
        .value_kind:     by_value
      - .offset:         108
        .size:           1
        .value_kind:     by_value
    .group_segment_fixed_size: 4096
    .kernarg_segment_align: 8
    .kernarg_segment_size: 112
    .language:       OpenCL C
    .language_version:
      - 2
      - 0
    .max_flat_workgroup_size: 256
    .name:           _ZN9rocsparseL18bsrxmvn_3x3_kernelILj256ELj8E21rocsparse_complex_numIdEiiS2_S2_S2_EEvT3_20rocsparse_direction_NS_24const_host_device_scalarIT1_EES3_PKS3_PKT2_SC_S9_PKT4_PKT5_S7_PT6_21rocsparse_index_base_b
    .private_segment_fixed_size: 0
    .sgpr_count:     26
    .sgpr_spill_count: 0
    .symbol:         _ZN9rocsparseL18bsrxmvn_3x3_kernelILj256ELj8E21rocsparse_complex_numIdEiiS2_S2_S2_EEvT3_20rocsparse_direction_NS_24const_host_device_scalarIT1_EES3_PKS3_PKT2_SC_S9_PKT4_PKT5_S7_PT6_21rocsparse_index_base_b.kd
    .uniform_work_group_size: 1
    .uses_dynamic_stack: false
    .vgpr_count:     82
    .vgpr_spill_count: 0
    .wavefront_size: 64
  - .agpr_count:     0
    .args:
      - .offset:         0
        .size:           4
        .value_kind:     by_value
      - .offset:         4
        .size:           4
        .value_kind:     by_value
      - .offset:         8
        .size:           16
        .value_kind:     by_value
      - .offset:         24
        .size:           4
        .value_kind:     by_value
      - .actual_access:  read_only
        .address_space:  global
        .offset:         32
        .size:           8
        .value_kind:     global_buffer
      - .actual_access:  read_only
        .address_space:  global
        .offset:         40
        .size:           8
        .value_kind:     global_buffer
      - .actual_access:  read_only
        .address_space:  global
        .offset:         48
        .size:           8
        .value_kind:     global_buffer
      - .actual_access:  read_only
        .address_space:  global
        .offset:         56
        .size:           8
        .value_kind:     global_buffer
      - .actual_access:  read_only
        .address_space:  global
        .offset:         64
        .size:           8
        .value_kind:     global_buffer
      - .actual_access:  read_only
        .address_space:  global
        .offset:         72
        .size:           8
        .value_kind:     global_buffer
      - .offset:         80
        .size:           16
        .value_kind:     by_value
      - .address_space:  global
        .offset:         96
        .size:           8
        .value_kind:     global_buffer
      - .offset:         104
        .size:           4
        .value_kind:     by_value
      - .offset:         108
        .size:           1
        .value_kind:     by_value
    .group_segment_fixed_size: 4096
    .kernarg_segment_align: 8
    .kernarg_segment_size: 112
    .language:       OpenCL C
    .language_version:
      - 2
      - 0
    .max_flat_workgroup_size: 256
    .name:           _ZN9rocsparseL18bsrxmvn_3x3_kernelILj256ELj16E21rocsparse_complex_numIdEiiS2_S2_S2_EEvT3_20rocsparse_direction_NS_24const_host_device_scalarIT1_EES3_PKS3_PKT2_SC_S9_PKT4_PKT5_S7_PT6_21rocsparse_index_base_b
    .private_segment_fixed_size: 0
    .sgpr_count:     26
    .sgpr_spill_count: 0
    .symbol:         _ZN9rocsparseL18bsrxmvn_3x3_kernelILj256ELj16E21rocsparse_complex_numIdEiiS2_S2_S2_EEvT3_20rocsparse_direction_NS_24const_host_device_scalarIT1_EES3_PKS3_PKT2_SC_S9_PKT4_PKT5_S7_PT6_21rocsparse_index_base_b.kd
    .uniform_work_group_size: 1
    .uses_dynamic_stack: false
    .vgpr_count:     82
    .vgpr_spill_count: 0
    .wavefront_size: 64
  - .agpr_count:     0
    .args:
      - .offset:         0
        .size:           4
        .value_kind:     by_value
      - .offset:         4
        .size:           4
        .value_kind:     by_value
      - .offset:         8
        .size:           16
        .value_kind:     by_value
      - .offset:         24
        .size:           4
        .value_kind:     by_value
      - .actual_access:  read_only
        .address_space:  global
        .offset:         32
        .size:           8
        .value_kind:     global_buffer
      - .actual_access:  read_only
        .address_space:  global
        .offset:         40
        .size:           8
        .value_kind:     global_buffer
      - .actual_access:  read_only
        .address_space:  global
        .offset:         48
        .size:           8
        .value_kind:     global_buffer
      - .actual_access:  read_only
        .address_space:  global
        .offset:         56
        .size:           8
        .value_kind:     global_buffer
      - .actual_access:  read_only
        .address_space:  global
        .offset:         64
        .size:           8
        .value_kind:     global_buffer
      - .actual_access:  read_only
        .address_space:  global
        .offset:         72
        .size:           8
        .value_kind:     global_buffer
      - .offset:         80
        .size:           16
        .value_kind:     by_value
      - .address_space:  global
        .offset:         96
        .size:           8
        .value_kind:     global_buffer
      - .offset:         104
        .size:           4
        .value_kind:     by_value
      - .offset:         108
        .size:           1
        .value_kind:     by_value
    .group_segment_fixed_size: 4096
    .kernarg_segment_align: 8
    .kernarg_segment_size: 112
    .language:       OpenCL C
    .language_version:
      - 2
      - 0
    .max_flat_workgroup_size: 256
    .name:           _ZN9rocsparseL18bsrxmvn_3x3_kernelILj256ELj32E21rocsparse_complex_numIdEiiS2_S2_S2_EEvT3_20rocsparse_direction_NS_24const_host_device_scalarIT1_EES3_PKS3_PKT2_SC_S9_PKT4_PKT5_S7_PT6_21rocsparse_index_base_b
    .private_segment_fixed_size: 0
    .sgpr_count:     26
    .sgpr_spill_count: 0
    .symbol:         _ZN9rocsparseL18bsrxmvn_3x3_kernelILj256ELj32E21rocsparse_complex_numIdEiiS2_S2_S2_EEvT3_20rocsparse_direction_NS_24const_host_device_scalarIT1_EES3_PKS3_PKT2_SC_S9_PKT4_PKT5_S7_PT6_21rocsparse_index_base_b.kd
    .uniform_work_group_size: 1
    .uses_dynamic_stack: false
    .vgpr_count:     82
    .vgpr_spill_count: 0
    .wavefront_size: 64
  - .agpr_count:     0
    .args:
      - .offset:         0
        .size:           4
        .value_kind:     by_value
      - .offset:         4
        .size:           4
        .value_kind:     by_value
      - .offset:         8
        .size:           16
        .value_kind:     by_value
      - .offset:         24
        .size:           4
        .value_kind:     by_value
      - .actual_access:  read_only
        .address_space:  global
        .offset:         32
        .size:           8
        .value_kind:     global_buffer
      - .actual_access:  read_only
        .address_space:  global
        .offset:         40
        .size:           8
        .value_kind:     global_buffer
      - .actual_access:  read_only
        .address_space:  global
        .offset:         48
        .size:           8
        .value_kind:     global_buffer
      - .actual_access:  read_only
        .address_space:  global
        .offset:         56
        .size:           8
        .value_kind:     global_buffer
      - .actual_access:  read_only
        .address_space:  global
        .offset:         64
        .size:           8
        .value_kind:     global_buffer
      - .actual_access:  read_only
        .address_space:  global
        .offset:         72
        .size:           8
        .value_kind:     global_buffer
      - .offset:         80
        .size:           16
        .value_kind:     by_value
      - .address_space:  global
        .offset:         96
        .size:           8
        .value_kind:     global_buffer
      - .offset:         104
        .size:           4
        .value_kind:     by_value
      - .offset:         108
        .size:           1
        .value_kind:     by_value
    .group_segment_fixed_size: 4096
    .kernarg_segment_align: 8
    .kernarg_segment_size: 112
    .language:       OpenCL C
    .language_version:
      - 2
      - 0
    .max_flat_workgroup_size: 256
    .name:           _ZN9rocsparseL18bsrxmvn_3x3_kernelILj256ELj64E21rocsparse_complex_numIdEiiS2_S2_S2_EEvT3_20rocsparse_direction_NS_24const_host_device_scalarIT1_EES3_PKS3_PKT2_SC_S9_PKT4_PKT5_S7_PT6_21rocsparse_index_base_b
    .private_segment_fixed_size: 0
    .sgpr_count:     26
    .sgpr_spill_count: 0
    .symbol:         _ZN9rocsparseL18bsrxmvn_3x3_kernelILj256ELj64E21rocsparse_complex_numIdEiiS2_S2_S2_EEvT3_20rocsparse_direction_NS_24const_host_device_scalarIT1_EES3_PKS3_PKT2_SC_S9_PKT4_PKT5_S7_PT6_21rocsparse_index_base_b.kd
    .uniform_work_group_size: 1
    .uses_dynamic_stack: false
    .vgpr_count:     82
    .vgpr_spill_count: 0
    .wavefront_size: 64
  - .agpr_count:     0
    .args:
      - .offset:         0
        .size:           4
        .value_kind:     by_value
      - .offset:         4
        .size:           4
        .value_kind:     by_value
      - .offset:         8
        .size:           8
        .value_kind:     by_value
      - .offset:         16
        .size:           4
        .value_kind:     by_value
      - .actual_access:  read_only
        .address_space:  global
        .offset:         24
        .size:           8
        .value_kind:     global_buffer
      - .actual_access:  read_only
        .address_space:  global
        .offset:         32
        .size:           8
        .value_kind:     global_buffer
      - .actual_access:  read_only
        .address_space:  global
        .offset:         40
        .size:           8
        .value_kind:     global_buffer
      - .actual_access:  read_only
        .address_space:  global
        .offset:         48
        .size:           8
        .value_kind:     global_buffer
      - .actual_access:  read_only
        .address_space:  global
        .offset:         56
        .size:           8
        .value_kind:     global_buffer
      - .actual_access:  read_only
        .address_space:  global
        .offset:         64
        .size:           8
        .value_kind:     global_buffer
      - .offset:         72
        .size:           8
        .value_kind:     by_value
      - .address_space:  global
        .offset:         80
        .size:           8
        .value_kind:     global_buffer
      - .offset:         88
        .size:           4
        .value_kind:     by_value
      - .offset:         92
        .size:           1
        .value_kind:     by_value
    .group_segment_fixed_size: 0
    .kernarg_segment_align: 8
    .kernarg_segment_size: 96
    .language:       OpenCL C
    .language_version:
      - 2
      - 0
    .max_flat_workgroup_size: 256
    .name:           _ZN9rocsparseL18bsrxmvn_3x3_kernelILj256ELj4EflifffEEvT3_20rocsparse_direction_NS_24const_host_device_scalarIT1_EES1_PKS1_PKT2_SA_S7_PKT4_PKT5_S5_PT6_21rocsparse_index_base_b
    .private_segment_fixed_size: 0
    .sgpr_count:     28
    .sgpr_spill_count: 0
    .symbol:         _ZN9rocsparseL18bsrxmvn_3x3_kernelILj256ELj4EflifffEEvT3_20rocsparse_direction_NS_24const_host_device_scalarIT1_EES1_PKS1_PKT2_SA_S7_PKT4_PKT5_S5_PT6_21rocsparse_index_base_b.kd
    .uniform_work_group_size: 1
    .uses_dynamic_stack: false
    .vgpr_count:     32
    .vgpr_spill_count: 0
    .wavefront_size: 64
  - .agpr_count:     0
    .args:
      - .offset:         0
        .size:           4
        .value_kind:     by_value
      - .offset:         4
        .size:           4
        .value_kind:     by_value
      - .offset:         8
        .size:           8
        .value_kind:     by_value
      - .offset:         16
        .size:           4
        .value_kind:     by_value
      - .actual_access:  read_only
        .address_space:  global
        .offset:         24
        .size:           8
        .value_kind:     global_buffer
      - .actual_access:  read_only
        .address_space:  global
        .offset:         32
        .size:           8
        .value_kind:     global_buffer
      - .actual_access:  read_only
        .address_space:  global
        .offset:         40
        .size:           8
        .value_kind:     global_buffer
      - .actual_access:  read_only
        .address_space:  global
        .offset:         48
        .size:           8
        .value_kind:     global_buffer
      - .actual_access:  read_only
        .address_space:  global
        .offset:         56
        .size:           8
        .value_kind:     global_buffer
      - .actual_access:  read_only
        .address_space:  global
        .offset:         64
        .size:           8
        .value_kind:     global_buffer
      - .offset:         72
        .size:           8
        .value_kind:     by_value
      - .address_space:  global
        .offset:         80
        .size:           8
        .value_kind:     global_buffer
      - .offset:         88
        .size:           4
        .value_kind:     by_value
      - .offset:         92
        .size:           1
        .value_kind:     by_value
    .group_segment_fixed_size: 0
    .kernarg_segment_align: 8
    .kernarg_segment_size: 96
    .language:       OpenCL C
    .language_version:
      - 2
      - 0
    .max_flat_workgroup_size: 256
    .name:           _ZN9rocsparseL18bsrxmvn_3x3_kernelILj256ELj8EflifffEEvT3_20rocsparse_direction_NS_24const_host_device_scalarIT1_EES1_PKS1_PKT2_SA_S7_PKT4_PKT5_S5_PT6_21rocsparse_index_base_b
    .private_segment_fixed_size: 0
    .sgpr_count:     28
    .sgpr_spill_count: 0
    .symbol:         _ZN9rocsparseL18bsrxmvn_3x3_kernelILj256ELj8EflifffEEvT3_20rocsparse_direction_NS_24const_host_device_scalarIT1_EES1_PKS1_PKT2_SA_S7_PKT4_PKT5_S5_PT6_21rocsparse_index_base_b.kd
    .uniform_work_group_size: 1
    .uses_dynamic_stack: false
    .vgpr_count:     32
    .vgpr_spill_count: 0
    .wavefront_size: 64
  - .agpr_count:     0
    .args:
      - .offset:         0
        .size:           4
        .value_kind:     by_value
      - .offset:         4
        .size:           4
        .value_kind:     by_value
      - .offset:         8
        .size:           8
        .value_kind:     by_value
      - .offset:         16
        .size:           4
        .value_kind:     by_value
      - .actual_access:  read_only
        .address_space:  global
        .offset:         24
        .size:           8
        .value_kind:     global_buffer
      - .actual_access:  read_only
        .address_space:  global
        .offset:         32
        .size:           8
        .value_kind:     global_buffer
      - .actual_access:  read_only
        .address_space:  global
        .offset:         40
        .size:           8
        .value_kind:     global_buffer
      - .actual_access:  read_only
        .address_space:  global
        .offset:         48
        .size:           8
        .value_kind:     global_buffer
      - .actual_access:  read_only
        .address_space:  global
        .offset:         56
        .size:           8
        .value_kind:     global_buffer
      - .actual_access:  read_only
        .address_space:  global
        .offset:         64
        .size:           8
        .value_kind:     global_buffer
      - .offset:         72
        .size:           8
        .value_kind:     by_value
      - .address_space:  global
        .offset:         80
        .size:           8
        .value_kind:     global_buffer
      - .offset:         88
        .size:           4
        .value_kind:     by_value
      - .offset:         92
        .size:           1
        .value_kind:     by_value
    .group_segment_fixed_size: 0
    .kernarg_segment_align: 8
    .kernarg_segment_size: 96
    .language:       OpenCL C
    .language_version:
      - 2
      - 0
    .max_flat_workgroup_size: 256
    .name:           _ZN9rocsparseL18bsrxmvn_3x3_kernelILj256ELj16EflifffEEvT3_20rocsparse_direction_NS_24const_host_device_scalarIT1_EES1_PKS1_PKT2_SA_S7_PKT4_PKT5_S5_PT6_21rocsparse_index_base_b
    .private_segment_fixed_size: 0
    .sgpr_count:     28
    .sgpr_spill_count: 0
    .symbol:         _ZN9rocsparseL18bsrxmvn_3x3_kernelILj256ELj16EflifffEEvT3_20rocsparse_direction_NS_24const_host_device_scalarIT1_EES1_PKS1_PKT2_SA_S7_PKT4_PKT5_S5_PT6_21rocsparse_index_base_b.kd
    .uniform_work_group_size: 1
    .uses_dynamic_stack: false
    .vgpr_count:     32
    .vgpr_spill_count: 0
    .wavefront_size: 64
  - .agpr_count:     0
    .args:
      - .offset:         0
        .size:           4
        .value_kind:     by_value
      - .offset:         4
        .size:           4
        .value_kind:     by_value
      - .offset:         8
        .size:           8
        .value_kind:     by_value
      - .offset:         16
        .size:           4
        .value_kind:     by_value
      - .actual_access:  read_only
        .address_space:  global
        .offset:         24
        .size:           8
        .value_kind:     global_buffer
      - .actual_access:  read_only
        .address_space:  global
        .offset:         32
        .size:           8
        .value_kind:     global_buffer
      - .actual_access:  read_only
        .address_space:  global
        .offset:         40
        .size:           8
        .value_kind:     global_buffer
      - .actual_access:  read_only
        .address_space:  global
        .offset:         48
        .size:           8
        .value_kind:     global_buffer
      - .actual_access:  read_only
        .address_space:  global
        .offset:         56
        .size:           8
        .value_kind:     global_buffer
      - .actual_access:  read_only
        .address_space:  global
        .offset:         64
        .size:           8
        .value_kind:     global_buffer
      - .offset:         72
        .size:           8
        .value_kind:     by_value
      - .address_space:  global
        .offset:         80
        .size:           8
        .value_kind:     global_buffer
      - .offset:         88
        .size:           4
        .value_kind:     by_value
      - .offset:         92
        .size:           1
        .value_kind:     by_value
    .group_segment_fixed_size: 0
    .kernarg_segment_align: 8
    .kernarg_segment_size: 96
    .language:       OpenCL C
    .language_version:
      - 2
      - 0
    .max_flat_workgroup_size: 256
    .name:           _ZN9rocsparseL18bsrxmvn_3x3_kernelILj256ELj32EflifffEEvT3_20rocsparse_direction_NS_24const_host_device_scalarIT1_EES1_PKS1_PKT2_SA_S7_PKT4_PKT5_S5_PT6_21rocsparse_index_base_b
    .private_segment_fixed_size: 0
    .sgpr_count:     28
    .sgpr_spill_count: 0
    .symbol:         _ZN9rocsparseL18bsrxmvn_3x3_kernelILj256ELj32EflifffEEvT3_20rocsparse_direction_NS_24const_host_device_scalarIT1_EES1_PKS1_PKT2_SA_S7_PKT4_PKT5_S5_PT6_21rocsparse_index_base_b.kd
    .uniform_work_group_size: 1
    .uses_dynamic_stack: false
    .vgpr_count:     32
    .vgpr_spill_count: 0
    .wavefront_size: 64
  - .agpr_count:     0
    .args:
      - .offset:         0
        .size:           4
        .value_kind:     by_value
      - .offset:         4
        .size:           4
        .value_kind:     by_value
      - .offset:         8
        .size:           8
        .value_kind:     by_value
      - .offset:         16
        .size:           4
        .value_kind:     by_value
      - .actual_access:  read_only
        .address_space:  global
        .offset:         24
        .size:           8
        .value_kind:     global_buffer
      - .actual_access:  read_only
        .address_space:  global
        .offset:         32
        .size:           8
        .value_kind:     global_buffer
      - .actual_access:  read_only
        .address_space:  global
        .offset:         40
        .size:           8
        .value_kind:     global_buffer
      - .actual_access:  read_only
        .address_space:  global
        .offset:         48
        .size:           8
        .value_kind:     global_buffer
      - .actual_access:  read_only
        .address_space:  global
        .offset:         56
        .size:           8
        .value_kind:     global_buffer
      - .actual_access:  read_only
        .address_space:  global
        .offset:         64
        .size:           8
        .value_kind:     global_buffer
      - .offset:         72
        .size:           8
        .value_kind:     by_value
      - .address_space:  global
        .offset:         80
        .size:           8
        .value_kind:     global_buffer
      - .offset:         88
        .size:           4
        .value_kind:     by_value
      - .offset:         92
        .size:           1
        .value_kind:     by_value
    .group_segment_fixed_size: 0
    .kernarg_segment_align: 8
    .kernarg_segment_size: 96
    .language:       OpenCL C
    .language_version:
      - 2
      - 0
    .max_flat_workgroup_size: 256
    .name:           _ZN9rocsparseL18bsrxmvn_3x3_kernelILj256ELj64EflifffEEvT3_20rocsparse_direction_NS_24const_host_device_scalarIT1_EES1_PKS1_PKT2_SA_S7_PKT4_PKT5_S5_PT6_21rocsparse_index_base_b
    .private_segment_fixed_size: 0
    .sgpr_count:     28
    .sgpr_spill_count: 0
    .symbol:         _ZN9rocsparseL18bsrxmvn_3x3_kernelILj256ELj64EflifffEEvT3_20rocsparse_direction_NS_24const_host_device_scalarIT1_EES1_PKS1_PKT2_SA_S7_PKT4_PKT5_S5_PT6_21rocsparse_index_base_b.kd
    .uniform_work_group_size: 1
    .uses_dynamic_stack: false
    .vgpr_count:     32
    .vgpr_spill_count: 0
    .wavefront_size: 64
  - .agpr_count:     0
    .args:
      - .offset:         0
        .size:           4
        .value_kind:     by_value
      - .offset:         4
        .size:           4
        .value_kind:     by_value
      - .offset:         8
        .size:           8
        .value_kind:     by_value
      - .offset:         16
        .size:           4
        .value_kind:     by_value
      - .actual_access:  read_only
        .address_space:  global
        .offset:         24
        .size:           8
        .value_kind:     global_buffer
      - .actual_access:  read_only
        .address_space:  global
        .offset:         32
        .size:           8
        .value_kind:     global_buffer
      - .actual_access:  read_only
        .address_space:  global
        .offset:         40
        .size:           8
        .value_kind:     global_buffer
      - .actual_access:  read_only
        .address_space:  global
        .offset:         48
        .size:           8
        .value_kind:     global_buffer
      - .actual_access:  read_only
        .address_space:  global
        .offset:         56
        .size:           8
        .value_kind:     global_buffer
      - .actual_access:  read_only
        .address_space:  global
        .offset:         64
        .size:           8
        .value_kind:     global_buffer
      - .offset:         72
        .size:           8
        .value_kind:     by_value
      - .address_space:  global
        .offset:         80
        .size:           8
        .value_kind:     global_buffer
      - .offset:         88
        .size:           4
        .value_kind:     by_value
      - .offset:         92
        .size:           1
        .value_kind:     by_value
    .group_segment_fixed_size: 0
    .kernarg_segment_align: 8
    .kernarg_segment_size: 96
    .language:       OpenCL C
    .language_version:
      - 2
      - 0
    .max_flat_workgroup_size: 256
    .name:           _ZN9rocsparseL18bsrxmvn_3x3_kernelILj256ELj4EdlidddEEvT3_20rocsparse_direction_NS_24const_host_device_scalarIT1_EES1_PKS1_PKT2_SA_S7_PKT4_PKT5_S5_PT6_21rocsparse_index_base_b
    .private_segment_fixed_size: 0
    .sgpr_count:     24
    .sgpr_spill_count: 0
    .symbol:         _ZN9rocsparseL18bsrxmvn_3x3_kernelILj256ELj4EdlidddEEvT3_20rocsparse_direction_NS_24const_host_device_scalarIT1_EES1_PKS1_PKT2_SA_S7_PKT4_PKT5_S5_PT6_21rocsparse_index_base_b.kd
    .uniform_work_group_size: 1
    .uses_dynamic_stack: false
    .vgpr_count:     52
    .vgpr_spill_count: 0
    .wavefront_size: 64
  - .agpr_count:     0
    .args:
      - .offset:         0
        .size:           4
        .value_kind:     by_value
      - .offset:         4
        .size:           4
        .value_kind:     by_value
      - .offset:         8
        .size:           8
        .value_kind:     by_value
      - .offset:         16
        .size:           4
        .value_kind:     by_value
      - .actual_access:  read_only
        .address_space:  global
        .offset:         24
        .size:           8
        .value_kind:     global_buffer
      - .actual_access:  read_only
        .address_space:  global
        .offset:         32
        .size:           8
        .value_kind:     global_buffer
      - .actual_access:  read_only
        .address_space:  global
        .offset:         40
        .size:           8
        .value_kind:     global_buffer
      - .actual_access:  read_only
        .address_space:  global
        .offset:         48
        .size:           8
        .value_kind:     global_buffer
      - .actual_access:  read_only
        .address_space:  global
        .offset:         56
        .size:           8
        .value_kind:     global_buffer
      - .actual_access:  read_only
        .address_space:  global
        .offset:         64
        .size:           8
        .value_kind:     global_buffer
      - .offset:         72
        .size:           8
        .value_kind:     by_value
      - .address_space:  global
        .offset:         80
        .size:           8
        .value_kind:     global_buffer
      - .offset:         88
        .size:           4
        .value_kind:     by_value
      - .offset:         92
        .size:           1
        .value_kind:     by_value
    .group_segment_fixed_size: 0
    .kernarg_segment_align: 8
    .kernarg_segment_size: 96
    .language:       OpenCL C
    .language_version:
      - 2
      - 0
    .max_flat_workgroup_size: 256
    .name:           _ZN9rocsparseL18bsrxmvn_3x3_kernelILj256ELj8EdlidddEEvT3_20rocsparse_direction_NS_24const_host_device_scalarIT1_EES1_PKS1_PKT2_SA_S7_PKT4_PKT5_S5_PT6_21rocsparse_index_base_b
    .private_segment_fixed_size: 0
    .sgpr_count:     24
    .sgpr_spill_count: 0
    .symbol:         _ZN9rocsparseL18bsrxmvn_3x3_kernelILj256ELj8EdlidddEEvT3_20rocsparse_direction_NS_24const_host_device_scalarIT1_EES1_PKS1_PKT2_SA_S7_PKT4_PKT5_S5_PT6_21rocsparse_index_base_b.kd
    .uniform_work_group_size: 1
    .uses_dynamic_stack: false
    .vgpr_count:     52
    .vgpr_spill_count: 0
    .wavefront_size: 64
  - .agpr_count:     0
    .args:
      - .offset:         0
        .size:           4
        .value_kind:     by_value
      - .offset:         4
        .size:           4
        .value_kind:     by_value
      - .offset:         8
        .size:           8
        .value_kind:     by_value
      - .offset:         16
        .size:           4
        .value_kind:     by_value
      - .actual_access:  read_only
        .address_space:  global
        .offset:         24
        .size:           8
        .value_kind:     global_buffer
      - .actual_access:  read_only
        .address_space:  global
        .offset:         32
        .size:           8
        .value_kind:     global_buffer
      - .actual_access:  read_only
        .address_space:  global
        .offset:         40
        .size:           8
        .value_kind:     global_buffer
      - .actual_access:  read_only
        .address_space:  global
        .offset:         48
        .size:           8
        .value_kind:     global_buffer
      - .actual_access:  read_only
        .address_space:  global
        .offset:         56
        .size:           8
        .value_kind:     global_buffer
      - .actual_access:  read_only
        .address_space:  global
        .offset:         64
        .size:           8
        .value_kind:     global_buffer
      - .offset:         72
        .size:           8
        .value_kind:     by_value
      - .address_space:  global
        .offset:         80
        .size:           8
        .value_kind:     global_buffer
      - .offset:         88
        .size:           4
        .value_kind:     by_value
      - .offset:         92
        .size:           1
        .value_kind:     by_value
    .group_segment_fixed_size: 0
    .kernarg_segment_align: 8
    .kernarg_segment_size: 96
    .language:       OpenCL C
    .language_version:
      - 2
      - 0
    .max_flat_workgroup_size: 256
    .name:           _ZN9rocsparseL18bsrxmvn_3x3_kernelILj256ELj16EdlidddEEvT3_20rocsparse_direction_NS_24const_host_device_scalarIT1_EES1_PKS1_PKT2_SA_S7_PKT4_PKT5_S5_PT6_21rocsparse_index_base_b
    .private_segment_fixed_size: 0
    .sgpr_count:     24
    .sgpr_spill_count: 0
    .symbol:         _ZN9rocsparseL18bsrxmvn_3x3_kernelILj256ELj16EdlidddEEvT3_20rocsparse_direction_NS_24const_host_device_scalarIT1_EES1_PKS1_PKT2_SA_S7_PKT4_PKT5_S5_PT6_21rocsparse_index_base_b.kd
    .uniform_work_group_size: 1
    .uses_dynamic_stack: false
    .vgpr_count:     52
    .vgpr_spill_count: 0
    .wavefront_size: 64
  - .agpr_count:     0
    .args:
      - .offset:         0
        .size:           4
        .value_kind:     by_value
      - .offset:         4
        .size:           4
        .value_kind:     by_value
      - .offset:         8
        .size:           8
        .value_kind:     by_value
      - .offset:         16
        .size:           4
        .value_kind:     by_value
      - .actual_access:  read_only
        .address_space:  global
        .offset:         24
        .size:           8
        .value_kind:     global_buffer
      - .actual_access:  read_only
        .address_space:  global
        .offset:         32
        .size:           8
        .value_kind:     global_buffer
      - .actual_access:  read_only
        .address_space:  global
        .offset:         40
        .size:           8
        .value_kind:     global_buffer
      - .actual_access:  read_only
        .address_space:  global
        .offset:         48
        .size:           8
        .value_kind:     global_buffer
      - .actual_access:  read_only
        .address_space:  global
        .offset:         56
        .size:           8
        .value_kind:     global_buffer
      - .actual_access:  read_only
        .address_space:  global
        .offset:         64
        .size:           8
        .value_kind:     global_buffer
      - .offset:         72
        .size:           8
        .value_kind:     by_value
      - .address_space:  global
        .offset:         80
        .size:           8
        .value_kind:     global_buffer
      - .offset:         88
        .size:           4
        .value_kind:     by_value
      - .offset:         92
        .size:           1
        .value_kind:     by_value
    .group_segment_fixed_size: 0
    .kernarg_segment_align: 8
    .kernarg_segment_size: 96
    .language:       OpenCL C
    .language_version:
      - 2
      - 0
    .max_flat_workgroup_size: 256
    .name:           _ZN9rocsparseL18bsrxmvn_3x3_kernelILj256ELj32EdlidddEEvT3_20rocsparse_direction_NS_24const_host_device_scalarIT1_EES1_PKS1_PKT2_SA_S7_PKT4_PKT5_S5_PT6_21rocsparse_index_base_b
    .private_segment_fixed_size: 0
    .sgpr_count:     26
    .sgpr_spill_count: 0
    .symbol:         _ZN9rocsparseL18bsrxmvn_3x3_kernelILj256ELj32EdlidddEEvT3_20rocsparse_direction_NS_24const_host_device_scalarIT1_EES1_PKS1_PKT2_SA_S7_PKT4_PKT5_S5_PT6_21rocsparse_index_base_b.kd
    .uniform_work_group_size: 1
    .uses_dynamic_stack: false
    .vgpr_count:     52
    .vgpr_spill_count: 0
    .wavefront_size: 64
  - .agpr_count:     0
    .args:
      - .offset:         0
        .size:           4
        .value_kind:     by_value
      - .offset:         4
        .size:           4
        .value_kind:     by_value
      - .offset:         8
        .size:           8
        .value_kind:     by_value
      - .offset:         16
        .size:           4
        .value_kind:     by_value
      - .actual_access:  read_only
        .address_space:  global
        .offset:         24
        .size:           8
        .value_kind:     global_buffer
      - .actual_access:  read_only
        .address_space:  global
        .offset:         32
        .size:           8
        .value_kind:     global_buffer
      - .actual_access:  read_only
        .address_space:  global
        .offset:         40
        .size:           8
        .value_kind:     global_buffer
      - .actual_access:  read_only
        .address_space:  global
        .offset:         48
        .size:           8
        .value_kind:     global_buffer
      - .actual_access:  read_only
        .address_space:  global
        .offset:         56
        .size:           8
        .value_kind:     global_buffer
      - .actual_access:  read_only
        .address_space:  global
        .offset:         64
        .size:           8
        .value_kind:     global_buffer
      - .offset:         72
        .size:           8
        .value_kind:     by_value
      - .address_space:  global
        .offset:         80
        .size:           8
        .value_kind:     global_buffer
      - .offset:         88
        .size:           4
        .value_kind:     by_value
      - .offset:         92
        .size:           1
        .value_kind:     by_value
    .group_segment_fixed_size: 0
    .kernarg_segment_align: 8
    .kernarg_segment_size: 96
    .language:       OpenCL C
    .language_version:
      - 2
      - 0
    .max_flat_workgroup_size: 256
    .name:           _ZN9rocsparseL18bsrxmvn_3x3_kernelILj256ELj64EdlidddEEvT3_20rocsparse_direction_NS_24const_host_device_scalarIT1_EES1_PKS1_PKT2_SA_S7_PKT4_PKT5_S5_PT6_21rocsparse_index_base_b
    .private_segment_fixed_size: 0
    .sgpr_count:     26
    .sgpr_spill_count: 0
    .symbol:         _ZN9rocsparseL18bsrxmvn_3x3_kernelILj256ELj64EdlidddEEvT3_20rocsparse_direction_NS_24const_host_device_scalarIT1_EES1_PKS1_PKT2_SA_S7_PKT4_PKT5_S5_PT6_21rocsparse_index_base_b.kd
    .uniform_work_group_size: 1
    .uses_dynamic_stack: false
    .vgpr_count:     52
    .vgpr_spill_count: 0
    .wavefront_size: 64
  - .agpr_count:     0
    .args:
      - .offset:         0
        .size:           4
        .value_kind:     by_value
      - .offset:         4
        .size:           4
        .value_kind:     by_value
      - .offset:         8
        .size:           8
        .value_kind:     by_value
      - .offset:         16
        .size:           4
        .value_kind:     by_value
      - .actual_access:  read_only
        .address_space:  global
        .offset:         24
        .size:           8
        .value_kind:     global_buffer
      - .actual_access:  read_only
        .address_space:  global
        .offset:         32
        .size:           8
        .value_kind:     global_buffer
      - .actual_access:  read_only
        .address_space:  global
        .offset:         40
        .size:           8
        .value_kind:     global_buffer
      - .actual_access:  read_only
        .address_space:  global
        .offset:         48
        .size:           8
        .value_kind:     global_buffer
      - .actual_access:  read_only
        .address_space:  global
        .offset:         56
        .size:           8
        .value_kind:     global_buffer
      - .actual_access:  read_only
        .address_space:  global
        .offset:         64
        .size:           8
        .value_kind:     global_buffer
      - .offset:         72
        .size:           8
        .value_kind:     by_value
      - .address_space:  global
        .offset:         80
        .size:           8
        .value_kind:     global_buffer
      - .offset:         88
        .size:           4
        .value_kind:     by_value
      - .offset:         92
        .size:           1
        .value_kind:     by_value
    .group_segment_fixed_size: 0
    .kernarg_segment_align: 8
    .kernarg_segment_size: 96
    .language:       OpenCL C
    .language_version:
      - 2
      - 0
    .max_flat_workgroup_size: 256
    .name:           _ZN9rocsparseL18bsrxmvn_3x3_kernelILj256ELj4E21rocsparse_complex_numIfEliS2_S2_S2_EEvT3_20rocsparse_direction_NS_24const_host_device_scalarIT1_EES3_PKS3_PKT2_SC_S9_PKT4_PKT5_S7_PT6_21rocsparse_index_base_b
    .private_segment_fixed_size: 0
    .sgpr_count:     22
    .sgpr_spill_count: 0
    .symbol:         _ZN9rocsparseL18bsrxmvn_3x3_kernelILj256ELj4E21rocsparse_complex_numIfEliS2_S2_S2_EEvT3_20rocsparse_direction_NS_24const_host_device_scalarIT1_EES3_PKS3_PKT2_SC_S9_PKT4_PKT5_S7_PT6_21rocsparse_index_base_b.kd
    .uniform_work_group_size: 1
    .uses_dynamic_stack: false
    .vgpr_count:     60
    .vgpr_spill_count: 0
    .wavefront_size: 64
  - .agpr_count:     0
    .args:
      - .offset:         0
        .size:           4
        .value_kind:     by_value
      - .offset:         4
        .size:           4
        .value_kind:     by_value
      - .offset:         8
        .size:           8
        .value_kind:     by_value
      - .offset:         16
        .size:           4
        .value_kind:     by_value
      - .actual_access:  read_only
        .address_space:  global
        .offset:         24
        .size:           8
        .value_kind:     global_buffer
      - .actual_access:  read_only
        .address_space:  global
        .offset:         32
        .size:           8
        .value_kind:     global_buffer
      - .actual_access:  read_only
        .address_space:  global
        .offset:         40
        .size:           8
        .value_kind:     global_buffer
      - .actual_access:  read_only
        .address_space:  global
        .offset:         48
        .size:           8
        .value_kind:     global_buffer
      - .actual_access:  read_only
        .address_space:  global
        .offset:         56
        .size:           8
        .value_kind:     global_buffer
      - .actual_access:  read_only
        .address_space:  global
        .offset:         64
        .size:           8
        .value_kind:     global_buffer
      - .offset:         72
        .size:           8
        .value_kind:     by_value
      - .address_space:  global
        .offset:         80
        .size:           8
        .value_kind:     global_buffer
      - .offset:         88
        .size:           4
        .value_kind:     by_value
      - .offset:         92
        .size:           1
        .value_kind:     by_value
    .group_segment_fixed_size: 0
    .kernarg_segment_align: 8
    .kernarg_segment_size: 96
    .language:       OpenCL C
    .language_version:
      - 2
      - 0
    .max_flat_workgroup_size: 256
    .name:           _ZN9rocsparseL18bsrxmvn_3x3_kernelILj256ELj8E21rocsparse_complex_numIfEliS2_S2_S2_EEvT3_20rocsparse_direction_NS_24const_host_device_scalarIT1_EES3_PKS3_PKT2_SC_S9_PKT4_PKT5_S7_PT6_21rocsparse_index_base_b
    .private_segment_fixed_size: 0
    .sgpr_count:     22
    .sgpr_spill_count: 0
    .symbol:         _ZN9rocsparseL18bsrxmvn_3x3_kernelILj256ELj8E21rocsparse_complex_numIfEliS2_S2_S2_EEvT3_20rocsparse_direction_NS_24const_host_device_scalarIT1_EES3_PKS3_PKT2_SC_S9_PKT4_PKT5_S7_PT6_21rocsparse_index_base_b.kd
    .uniform_work_group_size: 1
    .uses_dynamic_stack: false
    .vgpr_count:     60
    .vgpr_spill_count: 0
    .wavefront_size: 64
  - .agpr_count:     0
    .args:
      - .offset:         0
        .size:           4
        .value_kind:     by_value
      - .offset:         4
        .size:           4
        .value_kind:     by_value
      - .offset:         8
        .size:           8
        .value_kind:     by_value
      - .offset:         16
        .size:           4
        .value_kind:     by_value
      - .actual_access:  read_only
        .address_space:  global
        .offset:         24
        .size:           8
        .value_kind:     global_buffer
      - .actual_access:  read_only
        .address_space:  global
        .offset:         32
        .size:           8
        .value_kind:     global_buffer
      - .actual_access:  read_only
        .address_space:  global
        .offset:         40
        .size:           8
        .value_kind:     global_buffer
      - .actual_access:  read_only
        .address_space:  global
        .offset:         48
        .size:           8
        .value_kind:     global_buffer
      - .actual_access:  read_only
        .address_space:  global
        .offset:         56
        .size:           8
        .value_kind:     global_buffer
      - .actual_access:  read_only
        .address_space:  global
        .offset:         64
        .size:           8
        .value_kind:     global_buffer
      - .offset:         72
        .size:           8
        .value_kind:     by_value
      - .address_space:  global
        .offset:         80
        .size:           8
        .value_kind:     global_buffer
      - .offset:         88
        .size:           4
        .value_kind:     by_value
      - .offset:         92
        .size:           1
        .value_kind:     by_value
    .group_segment_fixed_size: 0
    .kernarg_segment_align: 8
    .kernarg_segment_size: 96
    .language:       OpenCL C
    .language_version:
      - 2
      - 0
    .max_flat_workgroup_size: 256
    .name:           _ZN9rocsparseL18bsrxmvn_3x3_kernelILj256ELj16E21rocsparse_complex_numIfEliS2_S2_S2_EEvT3_20rocsparse_direction_NS_24const_host_device_scalarIT1_EES3_PKS3_PKT2_SC_S9_PKT4_PKT5_S7_PT6_21rocsparse_index_base_b
    .private_segment_fixed_size: 0
    .sgpr_count:     22
    .sgpr_spill_count: 0
    .symbol:         _ZN9rocsparseL18bsrxmvn_3x3_kernelILj256ELj16E21rocsparse_complex_numIfEliS2_S2_S2_EEvT3_20rocsparse_direction_NS_24const_host_device_scalarIT1_EES3_PKS3_PKT2_SC_S9_PKT4_PKT5_S7_PT6_21rocsparse_index_base_b.kd
    .uniform_work_group_size: 1
    .uses_dynamic_stack: false
    .vgpr_count:     60
    .vgpr_spill_count: 0
    .wavefront_size: 64
  - .agpr_count:     0
    .args:
      - .offset:         0
        .size:           4
        .value_kind:     by_value
      - .offset:         4
        .size:           4
        .value_kind:     by_value
      - .offset:         8
        .size:           8
        .value_kind:     by_value
      - .offset:         16
        .size:           4
        .value_kind:     by_value
      - .actual_access:  read_only
        .address_space:  global
        .offset:         24
        .size:           8
        .value_kind:     global_buffer
      - .actual_access:  read_only
        .address_space:  global
        .offset:         32
        .size:           8
        .value_kind:     global_buffer
      - .actual_access:  read_only
        .address_space:  global
        .offset:         40
        .size:           8
        .value_kind:     global_buffer
      - .actual_access:  read_only
        .address_space:  global
        .offset:         48
        .size:           8
        .value_kind:     global_buffer
      - .actual_access:  read_only
        .address_space:  global
        .offset:         56
        .size:           8
        .value_kind:     global_buffer
      - .actual_access:  read_only
        .address_space:  global
        .offset:         64
        .size:           8
        .value_kind:     global_buffer
      - .offset:         72
        .size:           8
        .value_kind:     by_value
      - .address_space:  global
        .offset:         80
        .size:           8
        .value_kind:     global_buffer
      - .offset:         88
        .size:           4
        .value_kind:     by_value
      - .offset:         92
        .size:           1
        .value_kind:     by_value
    .group_segment_fixed_size: 0
    .kernarg_segment_align: 8
    .kernarg_segment_size: 96
    .language:       OpenCL C
    .language_version:
      - 2
      - 0
    .max_flat_workgroup_size: 256
    .name:           _ZN9rocsparseL18bsrxmvn_3x3_kernelILj256ELj32E21rocsparse_complex_numIfEliS2_S2_S2_EEvT3_20rocsparse_direction_NS_24const_host_device_scalarIT1_EES3_PKS3_PKT2_SC_S9_PKT4_PKT5_S7_PT6_21rocsparse_index_base_b
    .private_segment_fixed_size: 0
    .sgpr_count:     24
    .sgpr_spill_count: 0
    .symbol:         _ZN9rocsparseL18bsrxmvn_3x3_kernelILj256ELj32E21rocsparse_complex_numIfEliS2_S2_S2_EEvT3_20rocsparse_direction_NS_24const_host_device_scalarIT1_EES3_PKS3_PKT2_SC_S9_PKT4_PKT5_S7_PT6_21rocsparse_index_base_b.kd
    .uniform_work_group_size: 1
    .uses_dynamic_stack: false
    .vgpr_count:     60
    .vgpr_spill_count: 0
    .wavefront_size: 64
  - .agpr_count:     0
    .args:
      - .offset:         0
        .size:           4
        .value_kind:     by_value
      - .offset:         4
        .size:           4
        .value_kind:     by_value
      - .offset:         8
        .size:           8
        .value_kind:     by_value
      - .offset:         16
        .size:           4
        .value_kind:     by_value
      - .actual_access:  read_only
        .address_space:  global
        .offset:         24
        .size:           8
        .value_kind:     global_buffer
      - .actual_access:  read_only
        .address_space:  global
        .offset:         32
        .size:           8
        .value_kind:     global_buffer
      - .actual_access:  read_only
        .address_space:  global
        .offset:         40
        .size:           8
        .value_kind:     global_buffer
      - .actual_access:  read_only
        .address_space:  global
        .offset:         48
        .size:           8
        .value_kind:     global_buffer
      - .actual_access:  read_only
        .address_space:  global
        .offset:         56
        .size:           8
        .value_kind:     global_buffer
      - .actual_access:  read_only
        .address_space:  global
        .offset:         64
        .size:           8
        .value_kind:     global_buffer
      - .offset:         72
        .size:           8
        .value_kind:     by_value
      - .address_space:  global
        .offset:         80
        .size:           8
        .value_kind:     global_buffer
      - .offset:         88
        .size:           4
        .value_kind:     by_value
      - .offset:         92
        .size:           1
        .value_kind:     by_value
    .group_segment_fixed_size: 0
    .kernarg_segment_align: 8
    .kernarg_segment_size: 96
    .language:       OpenCL C
    .language_version:
      - 2
      - 0
    .max_flat_workgroup_size: 256
    .name:           _ZN9rocsparseL18bsrxmvn_3x3_kernelILj256ELj64E21rocsparse_complex_numIfEliS2_S2_S2_EEvT3_20rocsparse_direction_NS_24const_host_device_scalarIT1_EES3_PKS3_PKT2_SC_S9_PKT4_PKT5_S7_PT6_21rocsparse_index_base_b
    .private_segment_fixed_size: 0
    .sgpr_count:     24
    .sgpr_spill_count: 0
    .symbol:         _ZN9rocsparseL18bsrxmvn_3x3_kernelILj256ELj64E21rocsparse_complex_numIfEliS2_S2_S2_EEvT3_20rocsparse_direction_NS_24const_host_device_scalarIT1_EES3_PKS3_PKT2_SC_S9_PKT4_PKT5_S7_PT6_21rocsparse_index_base_b.kd
    .uniform_work_group_size: 1
    .uses_dynamic_stack: false
    .vgpr_count:     60
    .vgpr_spill_count: 0
    .wavefront_size: 64
  - .agpr_count:     0
    .args:
      - .offset:         0
        .size:           4
        .value_kind:     by_value
      - .offset:         4
        .size:           4
        .value_kind:     by_value
      - .offset:         8
        .size:           16
        .value_kind:     by_value
      - .offset:         24
        .size:           4
        .value_kind:     by_value
      - .actual_access:  read_only
        .address_space:  global
        .offset:         32
        .size:           8
        .value_kind:     global_buffer
      - .actual_access:  read_only
        .address_space:  global
        .offset:         40
        .size:           8
        .value_kind:     global_buffer
      - .actual_access:  read_only
        .address_space:  global
        .offset:         48
        .size:           8
        .value_kind:     global_buffer
      - .actual_access:  read_only
        .address_space:  global
        .offset:         56
        .size:           8
        .value_kind:     global_buffer
      - .actual_access:  read_only
        .address_space:  global
        .offset:         64
        .size:           8
        .value_kind:     global_buffer
      - .actual_access:  read_only
        .address_space:  global
        .offset:         72
        .size:           8
        .value_kind:     global_buffer
      - .offset:         80
        .size:           16
        .value_kind:     by_value
      - .address_space:  global
        .offset:         96
        .size:           8
        .value_kind:     global_buffer
      - .offset:         104
        .size:           4
        .value_kind:     by_value
      - .offset:         108
        .size:           1
        .value_kind:     by_value
    .group_segment_fixed_size: 4096
    .kernarg_segment_align: 8
    .kernarg_segment_size: 112
    .language:       OpenCL C
    .language_version:
      - 2
      - 0
    .max_flat_workgroup_size: 256
    .name:           _ZN9rocsparseL18bsrxmvn_3x3_kernelILj256ELj4E21rocsparse_complex_numIdEliS2_S2_S2_EEvT3_20rocsparse_direction_NS_24const_host_device_scalarIT1_EES3_PKS3_PKT2_SC_S9_PKT4_PKT5_S7_PT6_21rocsparse_index_base_b
    .private_segment_fixed_size: 0
    .sgpr_count:     26
    .sgpr_spill_count: 0
    .symbol:         _ZN9rocsparseL18bsrxmvn_3x3_kernelILj256ELj4E21rocsparse_complex_numIdEliS2_S2_S2_EEvT3_20rocsparse_direction_NS_24const_host_device_scalarIT1_EES3_PKS3_PKT2_SC_S9_PKT4_PKT5_S7_PT6_21rocsparse_index_base_b.kd
    .uniform_work_group_size: 1
    .uses_dynamic_stack: false
    .vgpr_count:     86
    .vgpr_spill_count: 0
    .wavefront_size: 64
  - .agpr_count:     0
    .args:
      - .offset:         0
        .size:           4
        .value_kind:     by_value
      - .offset:         4
        .size:           4
        .value_kind:     by_value
      - .offset:         8
        .size:           16
        .value_kind:     by_value
      - .offset:         24
        .size:           4
        .value_kind:     by_value
      - .actual_access:  read_only
        .address_space:  global
        .offset:         32
        .size:           8
        .value_kind:     global_buffer
      - .actual_access:  read_only
        .address_space:  global
        .offset:         40
        .size:           8
        .value_kind:     global_buffer
      - .actual_access:  read_only
        .address_space:  global
        .offset:         48
        .size:           8
        .value_kind:     global_buffer
      - .actual_access:  read_only
        .address_space:  global
        .offset:         56
        .size:           8
        .value_kind:     global_buffer
      - .actual_access:  read_only
        .address_space:  global
        .offset:         64
        .size:           8
        .value_kind:     global_buffer
      - .actual_access:  read_only
        .address_space:  global
        .offset:         72
        .size:           8
        .value_kind:     global_buffer
      - .offset:         80
        .size:           16
        .value_kind:     by_value
      - .address_space:  global
        .offset:         96
        .size:           8
        .value_kind:     global_buffer
      - .offset:         104
        .size:           4
        .value_kind:     by_value
      - .offset:         108
        .size:           1
        .value_kind:     by_value
    .group_segment_fixed_size: 4096
    .kernarg_segment_align: 8
    .kernarg_segment_size: 112
    .language:       OpenCL C
    .language_version:
      - 2
      - 0
    .max_flat_workgroup_size: 256
    .name:           _ZN9rocsparseL18bsrxmvn_3x3_kernelILj256ELj8E21rocsparse_complex_numIdEliS2_S2_S2_EEvT3_20rocsparse_direction_NS_24const_host_device_scalarIT1_EES3_PKS3_PKT2_SC_S9_PKT4_PKT5_S7_PT6_21rocsparse_index_base_b
    .private_segment_fixed_size: 0
    .sgpr_count:     26
    .sgpr_spill_count: 0
    .symbol:         _ZN9rocsparseL18bsrxmvn_3x3_kernelILj256ELj8E21rocsparse_complex_numIdEliS2_S2_S2_EEvT3_20rocsparse_direction_NS_24const_host_device_scalarIT1_EES3_PKS3_PKT2_SC_S9_PKT4_PKT5_S7_PT6_21rocsparse_index_base_b.kd
    .uniform_work_group_size: 1
    .uses_dynamic_stack: false
    .vgpr_count:     86
    .vgpr_spill_count: 0
    .wavefront_size: 64
  - .agpr_count:     0
    .args:
      - .offset:         0
        .size:           4
        .value_kind:     by_value
      - .offset:         4
        .size:           4
        .value_kind:     by_value
      - .offset:         8
        .size:           16
        .value_kind:     by_value
      - .offset:         24
        .size:           4
        .value_kind:     by_value
      - .actual_access:  read_only
        .address_space:  global
        .offset:         32
        .size:           8
        .value_kind:     global_buffer
      - .actual_access:  read_only
        .address_space:  global
        .offset:         40
        .size:           8
        .value_kind:     global_buffer
      - .actual_access:  read_only
        .address_space:  global
        .offset:         48
        .size:           8
        .value_kind:     global_buffer
      - .actual_access:  read_only
        .address_space:  global
        .offset:         56
        .size:           8
        .value_kind:     global_buffer
      - .actual_access:  read_only
        .address_space:  global
        .offset:         64
        .size:           8
        .value_kind:     global_buffer
      - .actual_access:  read_only
        .address_space:  global
        .offset:         72
        .size:           8
        .value_kind:     global_buffer
      - .offset:         80
        .size:           16
        .value_kind:     by_value
      - .address_space:  global
        .offset:         96
        .size:           8
        .value_kind:     global_buffer
      - .offset:         104
        .size:           4
        .value_kind:     by_value
      - .offset:         108
        .size:           1
        .value_kind:     by_value
    .group_segment_fixed_size: 4096
    .kernarg_segment_align: 8
    .kernarg_segment_size: 112
    .language:       OpenCL C
    .language_version:
      - 2
      - 0
    .max_flat_workgroup_size: 256
    .name:           _ZN9rocsparseL18bsrxmvn_3x3_kernelILj256ELj16E21rocsparse_complex_numIdEliS2_S2_S2_EEvT3_20rocsparse_direction_NS_24const_host_device_scalarIT1_EES3_PKS3_PKT2_SC_S9_PKT4_PKT5_S7_PT6_21rocsparse_index_base_b
    .private_segment_fixed_size: 0
    .sgpr_count:     26
    .sgpr_spill_count: 0
    .symbol:         _ZN9rocsparseL18bsrxmvn_3x3_kernelILj256ELj16E21rocsparse_complex_numIdEliS2_S2_S2_EEvT3_20rocsparse_direction_NS_24const_host_device_scalarIT1_EES3_PKS3_PKT2_SC_S9_PKT4_PKT5_S7_PT6_21rocsparse_index_base_b.kd
    .uniform_work_group_size: 1
    .uses_dynamic_stack: false
    .vgpr_count:     86
    .vgpr_spill_count: 0
    .wavefront_size: 64
  - .agpr_count:     0
    .args:
      - .offset:         0
        .size:           4
        .value_kind:     by_value
      - .offset:         4
        .size:           4
        .value_kind:     by_value
      - .offset:         8
        .size:           16
        .value_kind:     by_value
      - .offset:         24
        .size:           4
        .value_kind:     by_value
      - .actual_access:  read_only
        .address_space:  global
        .offset:         32
        .size:           8
        .value_kind:     global_buffer
      - .actual_access:  read_only
        .address_space:  global
        .offset:         40
        .size:           8
        .value_kind:     global_buffer
      - .actual_access:  read_only
        .address_space:  global
        .offset:         48
        .size:           8
        .value_kind:     global_buffer
      - .actual_access:  read_only
        .address_space:  global
        .offset:         56
        .size:           8
        .value_kind:     global_buffer
      - .actual_access:  read_only
        .address_space:  global
        .offset:         64
        .size:           8
        .value_kind:     global_buffer
      - .actual_access:  read_only
        .address_space:  global
        .offset:         72
        .size:           8
        .value_kind:     global_buffer
      - .offset:         80
        .size:           16
        .value_kind:     by_value
      - .address_space:  global
        .offset:         96
        .size:           8
        .value_kind:     global_buffer
      - .offset:         104
        .size:           4
        .value_kind:     by_value
      - .offset:         108
        .size:           1
        .value_kind:     by_value
    .group_segment_fixed_size: 4096
    .kernarg_segment_align: 8
    .kernarg_segment_size: 112
    .language:       OpenCL C
    .language_version:
      - 2
      - 0
    .max_flat_workgroup_size: 256
    .name:           _ZN9rocsparseL18bsrxmvn_3x3_kernelILj256ELj32E21rocsparse_complex_numIdEliS2_S2_S2_EEvT3_20rocsparse_direction_NS_24const_host_device_scalarIT1_EES3_PKS3_PKT2_SC_S9_PKT4_PKT5_S7_PT6_21rocsparse_index_base_b
    .private_segment_fixed_size: 0
    .sgpr_count:     26
    .sgpr_spill_count: 0
    .symbol:         _ZN9rocsparseL18bsrxmvn_3x3_kernelILj256ELj32E21rocsparse_complex_numIdEliS2_S2_S2_EEvT3_20rocsparse_direction_NS_24const_host_device_scalarIT1_EES3_PKS3_PKT2_SC_S9_PKT4_PKT5_S7_PT6_21rocsparse_index_base_b.kd
    .uniform_work_group_size: 1
    .uses_dynamic_stack: false
    .vgpr_count:     86
    .vgpr_spill_count: 0
    .wavefront_size: 64
  - .agpr_count:     0
    .args:
      - .offset:         0
        .size:           4
        .value_kind:     by_value
      - .offset:         4
        .size:           4
        .value_kind:     by_value
      - .offset:         8
        .size:           16
        .value_kind:     by_value
      - .offset:         24
        .size:           4
        .value_kind:     by_value
      - .actual_access:  read_only
        .address_space:  global
        .offset:         32
        .size:           8
        .value_kind:     global_buffer
      - .actual_access:  read_only
        .address_space:  global
        .offset:         40
        .size:           8
        .value_kind:     global_buffer
      - .actual_access:  read_only
        .address_space:  global
        .offset:         48
        .size:           8
        .value_kind:     global_buffer
      - .actual_access:  read_only
        .address_space:  global
        .offset:         56
        .size:           8
        .value_kind:     global_buffer
      - .actual_access:  read_only
        .address_space:  global
        .offset:         64
        .size:           8
        .value_kind:     global_buffer
      - .actual_access:  read_only
        .address_space:  global
        .offset:         72
        .size:           8
        .value_kind:     global_buffer
      - .offset:         80
        .size:           16
        .value_kind:     by_value
      - .address_space:  global
        .offset:         96
        .size:           8
        .value_kind:     global_buffer
      - .offset:         104
        .size:           4
        .value_kind:     by_value
      - .offset:         108
        .size:           1
        .value_kind:     by_value
    .group_segment_fixed_size: 4096
    .kernarg_segment_align: 8
    .kernarg_segment_size: 112
    .language:       OpenCL C
    .language_version:
      - 2
      - 0
    .max_flat_workgroup_size: 256
    .name:           _ZN9rocsparseL18bsrxmvn_3x3_kernelILj256ELj64E21rocsparse_complex_numIdEliS2_S2_S2_EEvT3_20rocsparse_direction_NS_24const_host_device_scalarIT1_EES3_PKS3_PKT2_SC_S9_PKT4_PKT5_S7_PT6_21rocsparse_index_base_b
    .private_segment_fixed_size: 0
    .sgpr_count:     26
    .sgpr_spill_count: 0
    .symbol:         _ZN9rocsparseL18bsrxmvn_3x3_kernelILj256ELj64E21rocsparse_complex_numIdEliS2_S2_S2_EEvT3_20rocsparse_direction_NS_24const_host_device_scalarIT1_EES3_PKS3_PKT2_SC_S9_PKT4_PKT5_S7_PT6_21rocsparse_index_base_b.kd
    .uniform_work_group_size: 1
    .uses_dynamic_stack: false
    .vgpr_count:     86
    .vgpr_spill_count: 0
    .wavefront_size: 64
  - .agpr_count:     0
    .args:
      - .offset:         0
        .size:           8
        .value_kind:     by_value
      - .offset:         8
        .size:           4
        .value_kind:     by_value
      - .offset:         16
        .size:           8
        .value_kind:     by_value
      - .offset:         24
        .size:           8
        .value_kind:     by_value
      - .actual_access:  read_only
        .address_space:  global
        .offset:         32
        .size:           8
        .value_kind:     global_buffer
      - .actual_access:  read_only
        .address_space:  global
        .offset:         40
        .size:           8
        .value_kind:     global_buffer
      - .actual_access:  read_only
        .address_space:  global
        .offset:         48
        .size:           8
        .value_kind:     global_buffer
      - .actual_access:  read_only
        .address_space:  global
        .offset:         56
        .size:           8
        .value_kind:     global_buffer
      - .actual_access:  read_only
        .address_space:  global
        .offset:         64
        .size:           8
        .value_kind:     global_buffer
      - .actual_access:  read_only
        .address_space:  global
        .offset:         72
        .size:           8
        .value_kind:     global_buffer
      - .offset:         80
        .size:           8
        .value_kind:     by_value
      - .address_space:  global
        .offset:         88
        .size:           8
        .value_kind:     global_buffer
      - .offset:         96
        .size:           4
        .value_kind:     by_value
      - .offset:         100
        .size:           1
        .value_kind:     by_value
    .group_segment_fixed_size: 0
    .kernarg_segment_align: 8
    .kernarg_segment_size: 104
    .language:       OpenCL C
    .language_version:
      - 2
      - 0
    .max_flat_workgroup_size: 256
    .name:           _ZN9rocsparseL18bsrxmvn_3x3_kernelILj256ELj4EfllfffEEvT3_20rocsparse_direction_NS_24const_host_device_scalarIT1_EES1_PKS1_PKT2_SA_S7_PKT4_PKT5_S5_PT6_21rocsparse_index_base_b
    .private_segment_fixed_size: 0
    .sgpr_count:     32
    .sgpr_spill_count: 0
    .symbol:         _ZN9rocsparseL18bsrxmvn_3x3_kernelILj256ELj4EfllfffEEvT3_20rocsparse_direction_NS_24const_host_device_scalarIT1_EES1_PKS1_PKT2_SA_S7_PKT4_PKT5_S5_PT6_21rocsparse_index_base_b.kd
    .uniform_work_group_size: 1
    .uses_dynamic_stack: false
    .vgpr_count:     34
    .vgpr_spill_count: 0
    .wavefront_size: 64
  - .agpr_count:     0
    .args:
      - .offset:         0
        .size:           8
        .value_kind:     by_value
      - .offset:         8
        .size:           4
        .value_kind:     by_value
      - .offset:         16
        .size:           8
        .value_kind:     by_value
      - .offset:         24
        .size:           8
        .value_kind:     by_value
      - .actual_access:  read_only
        .address_space:  global
        .offset:         32
        .size:           8
        .value_kind:     global_buffer
      - .actual_access:  read_only
        .address_space:  global
        .offset:         40
        .size:           8
        .value_kind:     global_buffer
      - .actual_access:  read_only
        .address_space:  global
        .offset:         48
        .size:           8
        .value_kind:     global_buffer
      - .actual_access:  read_only
        .address_space:  global
        .offset:         56
        .size:           8
        .value_kind:     global_buffer
      - .actual_access:  read_only
        .address_space:  global
        .offset:         64
        .size:           8
        .value_kind:     global_buffer
      - .actual_access:  read_only
        .address_space:  global
        .offset:         72
        .size:           8
        .value_kind:     global_buffer
      - .offset:         80
        .size:           8
        .value_kind:     by_value
      - .address_space:  global
        .offset:         88
        .size:           8
        .value_kind:     global_buffer
      - .offset:         96
        .size:           4
        .value_kind:     by_value
      - .offset:         100
        .size:           1
        .value_kind:     by_value
    .group_segment_fixed_size: 0
    .kernarg_segment_align: 8
    .kernarg_segment_size: 104
    .language:       OpenCL C
    .language_version:
      - 2
      - 0
    .max_flat_workgroup_size: 256
    .name:           _ZN9rocsparseL18bsrxmvn_3x3_kernelILj256ELj8EfllfffEEvT3_20rocsparse_direction_NS_24const_host_device_scalarIT1_EES1_PKS1_PKT2_SA_S7_PKT4_PKT5_S5_PT6_21rocsparse_index_base_b
    .private_segment_fixed_size: 0
    .sgpr_count:     32
    .sgpr_spill_count: 0
    .symbol:         _ZN9rocsparseL18bsrxmvn_3x3_kernelILj256ELj8EfllfffEEvT3_20rocsparse_direction_NS_24const_host_device_scalarIT1_EES1_PKS1_PKT2_SA_S7_PKT4_PKT5_S5_PT6_21rocsparse_index_base_b.kd
    .uniform_work_group_size: 1
    .uses_dynamic_stack: false
    .vgpr_count:     34
    .vgpr_spill_count: 0
    .wavefront_size: 64
  - .agpr_count:     0
    .args:
      - .offset:         0
        .size:           8
        .value_kind:     by_value
      - .offset:         8
        .size:           4
        .value_kind:     by_value
      - .offset:         16
        .size:           8
        .value_kind:     by_value
      - .offset:         24
        .size:           8
        .value_kind:     by_value
      - .actual_access:  read_only
        .address_space:  global
        .offset:         32
        .size:           8
        .value_kind:     global_buffer
      - .actual_access:  read_only
        .address_space:  global
        .offset:         40
        .size:           8
        .value_kind:     global_buffer
      - .actual_access:  read_only
        .address_space:  global
        .offset:         48
        .size:           8
        .value_kind:     global_buffer
      - .actual_access:  read_only
        .address_space:  global
        .offset:         56
        .size:           8
        .value_kind:     global_buffer
      - .actual_access:  read_only
        .address_space:  global
        .offset:         64
        .size:           8
        .value_kind:     global_buffer
      - .actual_access:  read_only
        .address_space:  global
        .offset:         72
        .size:           8
        .value_kind:     global_buffer
      - .offset:         80
        .size:           8
        .value_kind:     by_value
      - .address_space:  global
        .offset:         88
        .size:           8
        .value_kind:     global_buffer
      - .offset:         96
        .size:           4
        .value_kind:     by_value
      - .offset:         100
        .size:           1
        .value_kind:     by_value
    .group_segment_fixed_size: 0
    .kernarg_segment_align: 8
    .kernarg_segment_size: 104
    .language:       OpenCL C
    .language_version:
      - 2
      - 0
    .max_flat_workgroup_size: 256
    .name:           _ZN9rocsparseL18bsrxmvn_3x3_kernelILj256ELj16EfllfffEEvT3_20rocsparse_direction_NS_24const_host_device_scalarIT1_EES1_PKS1_PKT2_SA_S7_PKT4_PKT5_S5_PT6_21rocsparse_index_base_b
    .private_segment_fixed_size: 0
    .sgpr_count:     34
    .sgpr_spill_count: 0
    .symbol:         _ZN9rocsparseL18bsrxmvn_3x3_kernelILj256ELj16EfllfffEEvT3_20rocsparse_direction_NS_24const_host_device_scalarIT1_EES1_PKS1_PKT2_SA_S7_PKT4_PKT5_S5_PT6_21rocsparse_index_base_b.kd
    .uniform_work_group_size: 1
    .uses_dynamic_stack: false
    .vgpr_count:     34
    .vgpr_spill_count: 0
    .wavefront_size: 64
  - .agpr_count:     0
    .args:
      - .offset:         0
        .size:           8
        .value_kind:     by_value
      - .offset:         8
        .size:           4
        .value_kind:     by_value
      - .offset:         16
        .size:           8
        .value_kind:     by_value
      - .offset:         24
        .size:           8
        .value_kind:     by_value
      - .actual_access:  read_only
        .address_space:  global
        .offset:         32
        .size:           8
        .value_kind:     global_buffer
      - .actual_access:  read_only
        .address_space:  global
        .offset:         40
        .size:           8
        .value_kind:     global_buffer
      - .actual_access:  read_only
        .address_space:  global
        .offset:         48
        .size:           8
        .value_kind:     global_buffer
      - .actual_access:  read_only
        .address_space:  global
        .offset:         56
        .size:           8
        .value_kind:     global_buffer
      - .actual_access:  read_only
        .address_space:  global
        .offset:         64
        .size:           8
        .value_kind:     global_buffer
      - .actual_access:  read_only
        .address_space:  global
        .offset:         72
        .size:           8
        .value_kind:     global_buffer
      - .offset:         80
        .size:           8
        .value_kind:     by_value
      - .address_space:  global
        .offset:         88
        .size:           8
        .value_kind:     global_buffer
      - .offset:         96
        .size:           4
        .value_kind:     by_value
      - .offset:         100
        .size:           1
        .value_kind:     by_value
    .group_segment_fixed_size: 0
    .kernarg_segment_align: 8
    .kernarg_segment_size: 104
    .language:       OpenCL C
    .language_version:
      - 2
      - 0
    .max_flat_workgroup_size: 256
    .name:           _ZN9rocsparseL18bsrxmvn_3x3_kernelILj256ELj32EfllfffEEvT3_20rocsparse_direction_NS_24const_host_device_scalarIT1_EES1_PKS1_PKT2_SA_S7_PKT4_PKT5_S5_PT6_21rocsparse_index_base_b
    .private_segment_fixed_size: 0
    .sgpr_count:     32
    .sgpr_spill_count: 0
    .symbol:         _ZN9rocsparseL18bsrxmvn_3x3_kernelILj256ELj32EfllfffEEvT3_20rocsparse_direction_NS_24const_host_device_scalarIT1_EES1_PKS1_PKT2_SA_S7_PKT4_PKT5_S5_PT6_21rocsparse_index_base_b.kd
    .uniform_work_group_size: 1
    .uses_dynamic_stack: false
    .vgpr_count:     34
    .vgpr_spill_count: 0
    .wavefront_size: 64
  - .agpr_count:     0
    .args:
      - .offset:         0
        .size:           8
        .value_kind:     by_value
      - .offset:         8
        .size:           4
        .value_kind:     by_value
      - .offset:         16
        .size:           8
        .value_kind:     by_value
      - .offset:         24
        .size:           8
        .value_kind:     by_value
      - .actual_access:  read_only
        .address_space:  global
        .offset:         32
        .size:           8
        .value_kind:     global_buffer
      - .actual_access:  read_only
        .address_space:  global
        .offset:         40
        .size:           8
        .value_kind:     global_buffer
      - .actual_access:  read_only
        .address_space:  global
        .offset:         48
        .size:           8
        .value_kind:     global_buffer
      - .actual_access:  read_only
        .address_space:  global
        .offset:         56
        .size:           8
        .value_kind:     global_buffer
      - .actual_access:  read_only
        .address_space:  global
        .offset:         64
        .size:           8
        .value_kind:     global_buffer
      - .actual_access:  read_only
        .address_space:  global
        .offset:         72
        .size:           8
        .value_kind:     global_buffer
      - .offset:         80
        .size:           8
        .value_kind:     by_value
      - .address_space:  global
        .offset:         88
        .size:           8
        .value_kind:     global_buffer
      - .offset:         96
        .size:           4
        .value_kind:     by_value
      - .offset:         100
        .size:           1
        .value_kind:     by_value
    .group_segment_fixed_size: 0
    .kernarg_segment_align: 8
    .kernarg_segment_size: 104
    .language:       OpenCL C
    .language_version:
      - 2
      - 0
    .max_flat_workgroup_size: 256
    .name:           _ZN9rocsparseL18bsrxmvn_3x3_kernelILj256ELj64EfllfffEEvT3_20rocsparse_direction_NS_24const_host_device_scalarIT1_EES1_PKS1_PKT2_SA_S7_PKT4_PKT5_S5_PT6_21rocsparse_index_base_b
    .private_segment_fixed_size: 0
    .sgpr_count:     32
    .sgpr_spill_count: 0
    .symbol:         _ZN9rocsparseL18bsrxmvn_3x3_kernelILj256ELj64EfllfffEEvT3_20rocsparse_direction_NS_24const_host_device_scalarIT1_EES1_PKS1_PKT2_SA_S7_PKT4_PKT5_S5_PT6_21rocsparse_index_base_b.kd
    .uniform_work_group_size: 1
    .uses_dynamic_stack: false
    .vgpr_count:     34
    .vgpr_spill_count: 0
    .wavefront_size: 64
  - .agpr_count:     0
    .args:
      - .offset:         0
        .size:           8
        .value_kind:     by_value
      - .offset:         8
        .size:           4
        .value_kind:     by_value
      - .offset:         16
        .size:           8
        .value_kind:     by_value
      - .offset:         24
        .size:           8
        .value_kind:     by_value
      - .actual_access:  read_only
        .address_space:  global
        .offset:         32
        .size:           8
        .value_kind:     global_buffer
      - .actual_access:  read_only
        .address_space:  global
        .offset:         40
        .size:           8
        .value_kind:     global_buffer
      - .actual_access:  read_only
        .address_space:  global
        .offset:         48
        .size:           8
        .value_kind:     global_buffer
      - .actual_access:  read_only
        .address_space:  global
        .offset:         56
        .size:           8
        .value_kind:     global_buffer
      - .actual_access:  read_only
        .address_space:  global
        .offset:         64
        .size:           8
        .value_kind:     global_buffer
      - .actual_access:  read_only
        .address_space:  global
        .offset:         72
        .size:           8
        .value_kind:     global_buffer
      - .offset:         80
        .size:           8
        .value_kind:     by_value
      - .address_space:  global
        .offset:         88
        .size:           8
        .value_kind:     global_buffer
      - .offset:         96
        .size:           4
        .value_kind:     by_value
      - .offset:         100
        .size:           1
        .value_kind:     by_value
    .group_segment_fixed_size: 0
    .kernarg_segment_align: 8
    .kernarg_segment_size: 104
    .language:       OpenCL C
    .language_version:
      - 2
      - 0
    .max_flat_workgroup_size: 256
    .name:           _ZN9rocsparseL18bsrxmvn_3x3_kernelILj256ELj4EdlldddEEvT3_20rocsparse_direction_NS_24const_host_device_scalarIT1_EES1_PKS1_PKT2_SA_S7_PKT4_PKT5_S5_PT6_21rocsparse_index_base_b
    .private_segment_fixed_size: 0
    .sgpr_count:     28
    .sgpr_spill_count: 0
    .symbol:         _ZN9rocsparseL18bsrxmvn_3x3_kernelILj256ELj4EdlldddEEvT3_20rocsparse_direction_NS_24const_host_device_scalarIT1_EES1_PKS1_PKT2_SA_S7_PKT4_PKT5_S5_PT6_21rocsparse_index_base_b.kd
    .uniform_work_group_size: 1
    .uses_dynamic_stack: false
    .vgpr_count:     52
    .vgpr_spill_count: 0
    .wavefront_size: 64
  - .agpr_count:     0
    .args:
      - .offset:         0
        .size:           8
        .value_kind:     by_value
      - .offset:         8
        .size:           4
        .value_kind:     by_value
      - .offset:         16
        .size:           8
        .value_kind:     by_value
      - .offset:         24
        .size:           8
        .value_kind:     by_value
      - .actual_access:  read_only
        .address_space:  global
        .offset:         32
        .size:           8
        .value_kind:     global_buffer
      - .actual_access:  read_only
        .address_space:  global
        .offset:         40
        .size:           8
        .value_kind:     global_buffer
      - .actual_access:  read_only
        .address_space:  global
        .offset:         48
        .size:           8
        .value_kind:     global_buffer
      - .actual_access:  read_only
        .address_space:  global
        .offset:         56
        .size:           8
        .value_kind:     global_buffer
      - .actual_access:  read_only
        .address_space:  global
        .offset:         64
        .size:           8
        .value_kind:     global_buffer
      - .actual_access:  read_only
        .address_space:  global
        .offset:         72
        .size:           8
        .value_kind:     global_buffer
      - .offset:         80
        .size:           8
        .value_kind:     by_value
      - .address_space:  global
        .offset:         88
        .size:           8
        .value_kind:     global_buffer
      - .offset:         96
        .size:           4
        .value_kind:     by_value
      - .offset:         100
        .size:           1
        .value_kind:     by_value
    .group_segment_fixed_size: 0
    .kernarg_segment_align: 8
    .kernarg_segment_size: 104
    .language:       OpenCL C
    .language_version:
      - 2
      - 0
    .max_flat_workgroup_size: 256
    .name:           _ZN9rocsparseL18bsrxmvn_3x3_kernelILj256ELj8EdlldddEEvT3_20rocsparse_direction_NS_24const_host_device_scalarIT1_EES1_PKS1_PKT2_SA_S7_PKT4_PKT5_S5_PT6_21rocsparse_index_base_b
    .private_segment_fixed_size: 0
    .sgpr_count:     28
    .sgpr_spill_count: 0
    .symbol:         _ZN9rocsparseL18bsrxmvn_3x3_kernelILj256ELj8EdlldddEEvT3_20rocsparse_direction_NS_24const_host_device_scalarIT1_EES1_PKS1_PKT2_SA_S7_PKT4_PKT5_S5_PT6_21rocsparse_index_base_b.kd
    .uniform_work_group_size: 1
    .uses_dynamic_stack: false
    .vgpr_count:     52
    .vgpr_spill_count: 0
    .wavefront_size: 64
  - .agpr_count:     0
    .args:
      - .offset:         0
        .size:           8
        .value_kind:     by_value
      - .offset:         8
        .size:           4
        .value_kind:     by_value
      - .offset:         16
        .size:           8
        .value_kind:     by_value
      - .offset:         24
        .size:           8
        .value_kind:     by_value
      - .actual_access:  read_only
        .address_space:  global
        .offset:         32
        .size:           8
        .value_kind:     global_buffer
      - .actual_access:  read_only
        .address_space:  global
        .offset:         40
        .size:           8
        .value_kind:     global_buffer
      - .actual_access:  read_only
        .address_space:  global
        .offset:         48
        .size:           8
        .value_kind:     global_buffer
      - .actual_access:  read_only
        .address_space:  global
        .offset:         56
        .size:           8
        .value_kind:     global_buffer
      - .actual_access:  read_only
        .address_space:  global
        .offset:         64
        .size:           8
        .value_kind:     global_buffer
      - .actual_access:  read_only
        .address_space:  global
        .offset:         72
        .size:           8
        .value_kind:     global_buffer
      - .offset:         80
        .size:           8
        .value_kind:     by_value
      - .address_space:  global
        .offset:         88
        .size:           8
        .value_kind:     global_buffer
      - .offset:         96
        .size:           4
        .value_kind:     by_value
      - .offset:         100
        .size:           1
        .value_kind:     by_value
    .group_segment_fixed_size: 0
    .kernarg_segment_align: 8
    .kernarg_segment_size: 104
    .language:       OpenCL C
    .language_version:
      - 2
      - 0
    .max_flat_workgroup_size: 256
    .name:           _ZN9rocsparseL18bsrxmvn_3x3_kernelILj256ELj16EdlldddEEvT3_20rocsparse_direction_NS_24const_host_device_scalarIT1_EES1_PKS1_PKT2_SA_S7_PKT4_PKT5_S5_PT6_21rocsparse_index_base_b
    .private_segment_fixed_size: 0
    .sgpr_count:     30
    .sgpr_spill_count: 0
    .symbol:         _ZN9rocsparseL18bsrxmvn_3x3_kernelILj256ELj16EdlldddEEvT3_20rocsparse_direction_NS_24const_host_device_scalarIT1_EES1_PKS1_PKT2_SA_S7_PKT4_PKT5_S5_PT6_21rocsparse_index_base_b.kd
    .uniform_work_group_size: 1
    .uses_dynamic_stack: false
    .vgpr_count:     52
    .vgpr_spill_count: 0
    .wavefront_size: 64
  - .agpr_count:     0
    .args:
      - .offset:         0
        .size:           8
        .value_kind:     by_value
      - .offset:         8
        .size:           4
        .value_kind:     by_value
      - .offset:         16
        .size:           8
        .value_kind:     by_value
      - .offset:         24
        .size:           8
        .value_kind:     by_value
      - .actual_access:  read_only
        .address_space:  global
        .offset:         32
        .size:           8
        .value_kind:     global_buffer
      - .actual_access:  read_only
        .address_space:  global
        .offset:         40
        .size:           8
        .value_kind:     global_buffer
      - .actual_access:  read_only
        .address_space:  global
        .offset:         48
        .size:           8
        .value_kind:     global_buffer
      - .actual_access:  read_only
        .address_space:  global
        .offset:         56
        .size:           8
        .value_kind:     global_buffer
      - .actual_access:  read_only
        .address_space:  global
        .offset:         64
        .size:           8
        .value_kind:     global_buffer
      - .actual_access:  read_only
        .address_space:  global
        .offset:         72
        .size:           8
        .value_kind:     global_buffer
      - .offset:         80
        .size:           8
        .value_kind:     by_value
      - .address_space:  global
        .offset:         88
        .size:           8
        .value_kind:     global_buffer
      - .offset:         96
        .size:           4
        .value_kind:     by_value
      - .offset:         100
        .size:           1
        .value_kind:     by_value
    .group_segment_fixed_size: 0
    .kernarg_segment_align: 8
    .kernarg_segment_size: 104
    .language:       OpenCL C
    .language_version:
      - 2
      - 0
    .max_flat_workgroup_size: 256
    .name:           _ZN9rocsparseL18bsrxmvn_3x3_kernelILj256ELj32EdlldddEEvT3_20rocsparse_direction_NS_24const_host_device_scalarIT1_EES1_PKS1_PKT2_SA_S7_PKT4_PKT5_S5_PT6_21rocsparse_index_base_b
    .private_segment_fixed_size: 0
    .sgpr_count:     30
    .sgpr_spill_count: 0
    .symbol:         _ZN9rocsparseL18bsrxmvn_3x3_kernelILj256ELj32EdlldddEEvT3_20rocsparse_direction_NS_24const_host_device_scalarIT1_EES1_PKS1_PKT2_SA_S7_PKT4_PKT5_S5_PT6_21rocsparse_index_base_b.kd
    .uniform_work_group_size: 1
    .uses_dynamic_stack: false
    .vgpr_count:     52
    .vgpr_spill_count: 0
    .wavefront_size: 64
  - .agpr_count:     0
    .args:
      - .offset:         0
        .size:           8
        .value_kind:     by_value
      - .offset:         8
        .size:           4
        .value_kind:     by_value
      - .offset:         16
        .size:           8
        .value_kind:     by_value
      - .offset:         24
        .size:           8
        .value_kind:     by_value
      - .actual_access:  read_only
        .address_space:  global
        .offset:         32
        .size:           8
        .value_kind:     global_buffer
      - .actual_access:  read_only
        .address_space:  global
        .offset:         40
        .size:           8
        .value_kind:     global_buffer
      - .actual_access:  read_only
        .address_space:  global
        .offset:         48
        .size:           8
        .value_kind:     global_buffer
      - .actual_access:  read_only
        .address_space:  global
        .offset:         56
        .size:           8
        .value_kind:     global_buffer
      - .actual_access:  read_only
        .address_space:  global
        .offset:         64
        .size:           8
        .value_kind:     global_buffer
      - .actual_access:  read_only
        .address_space:  global
        .offset:         72
        .size:           8
        .value_kind:     global_buffer
      - .offset:         80
        .size:           8
        .value_kind:     by_value
      - .address_space:  global
        .offset:         88
        .size:           8
        .value_kind:     global_buffer
      - .offset:         96
        .size:           4
        .value_kind:     by_value
      - .offset:         100
        .size:           1
        .value_kind:     by_value
    .group_segment_fixed_size: 0
    .kernarg_segment_align: 8
    .kernarg_segment_size: 104
    .language:       OpenCL C
    .language_version:
      - 2
      - 0
    .max_flat_workgroup_size: 256
    .name:           _ZN9rocsparseL18bsrxmvn_3x3_kernelILj256ELj64EdlldddEEvT3_20rocsparse_direction_NS_24const_host_device_scalarIT1_EES1_PKS1_PKT2_SA_S7_PKT4_PKT5_S5_PT6_21rocsparse_index_base_b
    .private_segment_fixed_size: 0
    .sgpr_count:     30
    .sgpr_spill_count: 0
    .symbol:         _ZN9rocsparseL18bsrxmvn_3x3_kernelILj256ELj64EdlldddEEvT3_20rocsparse_direction_NS_24const_host_device_scalarIT1_EES1_PKS1_PKT2_SA_S7_PKT4_PKT5_S5_PT6_21rocsparse_index_base_b.kd
    .uniform_work_group_size: 1
    .uses_dynamic_stack: false
    .vgpr_count:     52
    .vgpr_spill_count: 0
    .wavefront_size: 64
  - .agpr_count:     0
    .args:
      - .offset:         0
        .size:           8
        .value_kind:     by_value
      - .offset:         8
        .size:           4
        .value_kind:     by_value
      - .offset:         16
        .size:           8
        .value_kind:     by_value
      - .offset:         24
        .size:           8
        .value_kind:     by_value
      - .actual_access:  read_only
        .address_space:  global
        .offset:         32
        .size:           8
        .value_kind:     global_buffer
      - .actual_access:  read_only
        .address_space:  global
        .offset:         40
        .size:           8
        .value_kind:     global_buffer
      - .actual_access:  read_only
        .address_space:  global
        .offset:         48
        .size:           8
        .value_kind:     global_buffer
      - .actual_access:  read_only
        .address_space:  global
        .offset:         56
        .size:           8
        .value_kind:     global_buffer
      - .actual_access:  read_only
        .address_space:  global
        .offset:         64
        .size:           8
        .value_kind:     global_buffer
      - .actual_access:  read_only
        .address_space:  global
        .offset:         72
        .size:           8
        .value_kind:     global_buffer
      - .offset:         80
        .size:           8
        .value_kind:     by_value
      - .address_space:  global
        .offset:         88
        .size:           8
        .value_kind:     global_buffer
      - .offset:         96
        .size:           4
        .value_kind:     by_value
      - .offset:         100
        .size:           1
        .value_kind:     by_value
    .group_segment_fixed_size: 0
    .kernarg_segment_align: 8
    .kernarg_segment_size: 104
    .language:       OpenCL C
    .language_version:
      - 2
      - 0
    .max_flat_workgroup_size: 256
    .name:           _ZN9rocsparseL18bsrxmvn_3x3_kernelILj256ELj4E21rocsparse_complex_numIfEllS2_S2_S2_EEvT3_20rocsparse_direction_NS_24const_host_device_scalarIT1_EES3_PKS3_PKT2_SC_S9_PKT4_PKT5_S7_PT6_21rocsparse_index_base_b
    .private_segment_fixed_size: 0
    .sgpr_count:     26
    .sgpr_spill_count: 0
    .symbol:         _ZN9rocsparseL18bsrxmvn_3x3_kernelILj256ELj4E21rocsparse_complex_numIfEllS2_S2_S2_EEvT3_20rocsparse_direction_NS_24const_host_device_scalarIT1_EES3_PKS3_PKT2_SC_S9_PKT4_PKT5_S7_PT6_21rocsparse_index_base_b.kd
    .uniform_work_group_size: 1
    .uses_dynamic_stack: false
    .vgpr_count:     60
    .vgpr_spill_count: 0
    .wavefront_size: 64
  - .agpr_count:     0
    .args:
      - .offset:         0
        .size:           8
        .value_kind:     by_value
      - .offset:         8
        .size:           4
        .value_kind:     by_value
      - .offset:         16
        .size:           8
        .value_kind:     by_value
      - .offset:         24
        .size:           8
        .value_kind:     by_value
      - .actual_access:  read_only
        .address_space:  global
        .offset:         32
        .size:           8
        .value_kind:     global_buffer
      - .actual_access:  read_only
        .address_space:  global
        .offset:         40
        .size:           8
        .value_kind:     global_buffer
      - .actual_access:  read_only
        .address_space:  global
        .offset:         48
        .size:           8
        .value_kind:     global_buffer
      - .actual_access:  read_only
        .address_space:  global
        .offset:         56
        .size:           8
        .value_kind:     global_buffer
      - .actual_access:  read_only
        .address_space:  global
        .offset:         64
        .size:           8
        .value_kind:     global_buffer
      - .actual_access:  read_only
        .address_space:  global
        .offset:         72
        .size:           8
        .value_kind:     global_buffer
      - .offset:         80
        .size:           8
        .value_kind:     by_value
      - .address_space:  global
        .offset:         88
        .size:           8
        .value_kind:     global_buffer
      - .offset:         96
        .size:           4
        .value_kind:     by_value
      - .offset:         100
        .size:           1
        .value_kind:     by_value
    .group_segment_fixed_size: 0
    .kernarg_segment_align: 8
    .kernarg_segment_size: 104
    .language:       OpenCL C
    .language_version:
      - 2
      - 0
    .max_flat_workgroup_size: 256
    .name:           _ZN9rocsparseL18bsrxmvn_3x3_kernelILj256ELj8E21rocsparse_complex_numIfEllS2_S2_S2_EEvT3_20rocsparse_direction_NS_24const_host_device_scalarIT1_EES3_PKS3_PKT2_SC_S9_PKT4_PKT5_S7_PT6_21rocsparse_index_base_b
    .private_segment_fixed_size: 0
    .sgpr_count:     26
    .sgpr_spill_count: 0
    .symbol:         _ZN9rocsparseL18bsrxmvn_3x3_kernelILj256ELj8E21rocsparse_complex_numIfEllS2_S2_S2_EEvT3_20rocsparse_direction_NS_24const_host_device_scalarIT1_EES3_PKS3_PKT2_SC_S9_PKT4_PKT5_S7_PT6_21rocsparse_index_base_b.kd
    .uniform_work_group_size: 1
    .uses_dynamic_stack: false
    .vgpr_count:     60
    .vgpr_spill_count: 0
    .wavefront_size: 64
  - .agpr_count:     0
    .args:
      - .offset:         0
        .size:           8
        .value_kind:     by_value
      - .offset:         8
        .size:           4
        .value_kind:     by_value
      - .offset:         16
        .size:           8
        .value_kind:     by_value
      - .offset:         24
        .size:           8
        .value_kind:     by_value
      - .actual_access:  read_only
        .address_space:  global
        .offset:         32
        .size:           8
        .value_kind:     global_buffer
      - .actual_access:  read_only
        .address_space:  global
        .offset:         40
        .size:           8
        .value_kind:     global_buffer
      - .actual_access:  read_only
        .address_space:  global
        .offset:         48
        .size:           8
        .value_kind:     global_buffer
      - .actual_access:  read_only
        .address_space:  global
        .offset:         56
        .size:           8
        .value_kind:     global_buffer
      - .actual_access:  read_only
        .address_space:  global
        .offset:         64
        .size:           8
        .value_kind:     global_buffer
      - .actual_access:  read_only
        .address_space:  global
        .offset:         72
        .size:           8
        .value_kind:     global_buffer
      - .offset:         80
        .size:           8
        .value_kind:     by_value
      - .address_space:  global
        .offset:         88
        .size:           8
        .value_kind:     global_buffer
      - .offset:         96
        .size:           4
        .value_kind:     by_value
      - .offset:         100
        .size:           1
        .value_kind:     by_value
    .group_segment_fixed_size: 0
    .kernarg_segment_align: 8
    .kernarg_segment_size: 104
    .language:       OpenCL C
    .language_version:
      - 2
      - 0
    .max_flat_workgroup_size: 256
    .name:           _ZN9rocsparseL18bsrxmvn_3x3_kernelILj256ELj16E21rocsparse_complex_numIfEllS2_S2_S2_EEvT3_20rocsparse_direction_NS_24const_host_device_scalarIT1_EES3_PKS3_PKT2_SC_S9_PKT4_PKT5_S7_PT6_21rocsparse_index_base_b
    .private_segment_fixed_size: 0
    .sgpr_count:     28
    .sgpr_spill_count: 0
    .symbol:         _ZN9rocsparseL18bsrxmvn_3x3_kernelILj256ELj16E21rocsparse_complex_numIfEllS2_S2_S2_EEvT3_20rocsparse_direction_NS_24const_host_device_scalarIT1_EES3_PKS3_PKT2_SC_S9_PKT4_PKT5_S7_PT6_21rocsparse_index_base_b.kd
    .uniform_work_group_size: 1
    .uses_dynamic_stack: false
    .vgpr_count:     60
    .vgpr_spill_count: 0
    .wavefront_size: 64
  - .agpr_count:     0
    .args:
      - .offset:         0
        .size:           8
        .value_kind:     by_value
      - .offset:         8
        .size:           4
        .value_kind:     by_value
      - .offset:         16
        .size:           8
        .value_kind:     by_value
      - .offset:         24
        .size:           8
        .value_kind:     by_value
      - .actual_access:  read_only
        .address_space:  global
        .offset:         32
        .size:           8
        .value_kind:     global_buffer
      - .actual_access:  read_only
        .address_space:  global
        .offset:         40
        .size:           8
        .value_kind:     global_buffer
      - .actual_access:  read_only
        .address_space:  global
        .offset:         48
        .size:           8
        .value_kind:     global_buffer
      - .actual_access:  read_only
        .address_space:  global
        .offset:         56
        .size:           8
        .value_kind:     global_buffer
      - .actual_access:  read_only
        .address_space:  global
        .offset:         64
        .size:           8
        .value_kind:     global_buffer
      - .actual_access:  read_only
        .address_space:  global
        .offset:         72
        .size:           8
        .value_kind:     global_buffer
      - .offset:         80
        .size:           8
        .value_kind:     by_value
      - .address_space:  global
        .offset:         88
        .size:           8
        .value_kind:     global_buffer
      - .offset:         96
        .size:           4
        .value_kind:     by_value
      - .offset:         100
        .size:           1
        .value_kind:     by_value
    .group_segment_fixed_size: 0
    .kernarg_segment_align: 8
    .kernarg_segment_size: 104
    .language:       OpenCL C
    .language_version:
      - 2
      - 0
    .max_flat_workgroup_size: 256
    .name:           _ZN9rocsparseL18bsrxmvn_3x3_kernelILj256ELj32E21rocsparse_complex_numIfEllS2_S2_S2_EEvT3_20rocsparse_direction_NS_24const_host_device_scalarIT1_EES3_PKS3_PKT2_SC_S9_PKT4_PKT5_S7_PT6_21rocsparse_index_base_b
    .private_segment_fixed_size: 0
    .sgpr_count:     28
    .sgpr_spill_count: 0
    .symbol:         _ZN9rocsparseL18bsrxmvn_3x3_kernelILj256ELj32E21rocsparse_complex_numIfEllS2_S2_S2_EEvT3_20rocsparse_direction_NS_24const_host_device_scalarIT1_EES3_PKS3_PKT2_SC_S9_PKT4_PKT5_S7_PT6_21rocsparse_index_base_b.kd
    .uniform_work_group_size: 1
    .uses_dynamic_stack: false
    .vgpr_count:     60
    .vgpr_spill_count: 0
    .wavefront_size: 64
  - .agpr_count:     0
    .args:
      - .offset:         0
        .size:           8
        .value_kind:     by_value
      - .offset:         8
        .size:           4
        .value_kind:     by_value
      - .offset:         16
        .size:           8
        .value_kind:     by_value
      - .offset:         24
        .size:           8
        .value_kind:     by_value
      - .actual_access:  read_only
        .address_space:  global
        .offset:         32
        .size:           8
        .value_kind:     global_buffer
      - .actual_access:  read_only
        .address_space:  global
        .offset:         40
        .size:           8
        .value_kind:     global_buffer
      - .actual_access:  read_only
        .address_space:  global
        .offset:         48
        .size:           8
        .value_kind:     global_buffer
      - .actual_access:  read_only
        .address_space:  global
        .offset:         56
        .size:           8
        .value_kind:     global_buffer
      - .actual_access:  read_only
        .address_space:  global
        .offset:         64
        .size:           8
        .value_kind:     global_buffer
      - .actual_access:  read_only
        .address_space:  global
        .offset:         72
        .size:           8
        .value_kind:     global_buffer
      - .offset:         80
        .size:           8
        .value_kind:     by_value
      - .address_space:  global
        .offset:         88
        .size:           8
        .value_kind:     global_buffer
      - .offset:         96
        .size:           4
        .value_kind:     by_value
      - .offset:         100
        .size:           1
        .value_kind:     by_value
    .group_segment_fixed_size: 0
    .kernarg_segment_align: 8
    .kernarg_segment_size: 104
    .language:       OpenCL C
    .language_version:
      - 2
      - 0
    .max_flat_workgroup_size: 256
    .name:           _ZN9rocsparseL18bsrxmvn_3x3_kernelILj256ELj64E21rocsparse_complex_numIfEllS2_S2_S2_EEvT3_20rocsparse_direction_NS_24const_host_device_scalarIT1_EES3_PKS3_PKT2_SC_S9_PKT4_PKT5_S7_PT6_21rocsparse_index_base_b
    .private_segment_fixed_size: 0
    .sgpr_count:     28
    .sgpr_spill_count: 0
    .symbol:         _ZN9rocsparseL18bsrxmvn_3x3_kernelILj256ELj64E21rocsparse_complex_numIfEllS2_S2_S2_EEvT3_20rocsparse_direction_NS_24const_host_device_scalarIT1_EES3_PKS3_PKT2_SC_S9_PKT4_PKT5_S7_PT6_21rocsparse_index_base_b.kd
    .uniform_work_group_size: 1
    .uses_dynamic_stack: false
    .vgpr_count:     60
    .vgpr_spill_count: 0
    .wavefront_size: 64
  - .agpr_count:     0
    .args:
      - .offset:         0
        .size:           8
        .value_kind:     by_value
      - .offset:         8
        .size:           4
        .value_kind:     by_value
      - .offset:         16
        .size:           16
        .value_kind:     by_value
      - .offset:         32
        .size:           8
        .value_kind:     by_value
      - .actual_access:  read_only
        .address_space:  global
        .offset:         40
        .size:           8
        .value_kind:     global_buffer
      - .actual_access:  read_only
        .address_space:  global
        .offset:         48
        .size:           8
        .value_kind:     global_buffer
      - .actual_access:  read_only
        .address_space:  global
        .offset:         56
        .size:           8
        .value_kind:     global_buffer
      - .actual_access:  read_only
        .address_space:  global
        .offset:         64
        .size:           8
        .value_kind:     global_buffer
      - .actual_access:  read_only
        .address_space:  global
        .offset:         72
        .size:           8
        .value_kind:     global_buffer
      - .actual_access:  read_only
        .address_space:  global
        .offset:         80
        .size:           8
        .value_kind:     global_buffer
      - .offset:         88
        .size:           16
        .value_kind:     by_value
      - .address_space:  global
        .offset:         104
        .size:           8
        .value_kind:     global_buffer
      - .offset:         112
        .size:           4
        .value_kind:     by_value
      - .offset:         116
        .size:           1
        .value_kind:     by_value
    .group_segment_fixed_size: 4096
    .kernarg_segment_align: 8
    .kernarg_segment_size: 120
    .language:       OpenCL C
    .language_version:
      - 2
      - 0
    .max_flat_workgroup_size: 256
    .name:           _ZN9rocsparseL18bsrxmvn_3x3_kernelILj256ELj4E21rocsparse_complex_numIdEllS2_S2_S2_EEvT3_20rocsparse_direction_NS_24const_host_device_scalarIT1_EES3_PKS3_PKT2_SC_S9_PKT4_PKT5_S7_PT6_21rocsparse_index_base_b
    .private_segment_fixed_size: 0
    .sgpr_count:     28
    .sgpr_spill_count: 0
    .symbol:         _ZN9rocsparseL18bsrxmvn_3x3_kernelILj256ELj4E21rocsparse_complex_numIdEllS2_S2_S2_EEvT3_20rocsparse_direction_NS_24const_host_device_scalarIT1_EES3_PKS3_PKT2_SC_S9_PKT4_PKT5_S7_PT6_21rocsparse_index_base_b.kd
    .uniform_work_group_size: 1
    .uses_dynamic_stack: false
    .vgpr_count:     86
    .vgpr_spill_count: 0
    .wavefront_size: 64
  - .agpr_count:     0
    .args:
      - .offset:         0
        .size:           8
        .value_kind:     by_value
      - .offset:         8
        .size:           4
        .value_kind:     by_value
      - .offset:         16
        .size:           16
        .value_kind:     by_value
      - .offset:         32
        .size:           8
        .value_kind:     by_value
      - .actual_access:  read_only
        .address_space:  global
        .offset:         40
        .size:           8
        .value_kind:     global_buffer
      - .actual_access:  read_only
        .address_space:  global
        .offset:         48
        .size:           8
        .value_kind:     global_buffer
      - .actual_access:  read_only
        .address_space:  global
        .offset:         56
        .size:           8
        .value_kind:     global_buffer
      - .actual_access:  read_only
        .address_space:  global
        .offset:         64
        .size:           8
        .value_kind:     global_buffer
      - .actual_access:  read_only
        .address_space:  global
        .offset:         72
        .size:           8
        .value_kind:     global_buffer
      - .actual_access:  read_only
        .address_space:  global
        .offset:         80
        .size:           8
        .value_kind:     global_buffer
      - .offset:         88
        .size:           16
        .value_kind:     by_value
      - .address_space:  global
        .offset:         104
        .size:           8
        .value_kind:     global_buffer
      - .offset:         112
        .size:           4
        .value_kind:     by_value
      - .offset:         116
        .size:           1
        .value_kind:     by_value
    .group_segment_fixed_size: 4096
    .kernarg_segment_align: 8
    .kernarg_segment_size: 120
    .language:       OpenCL C
    .language_version:
      - 2
      - 0
    .max_flat_workgroup_size: 256
    .name:           _ZN9rocsparseL18bsrxmvn_3x3_kernelILj256ELj8E21rocsparse_complex_numIdEllS2_S2_S2_EEvT3_20rocsparse_direction_NS_24const_host_device_scalarIT1_EES3_PKS3_PKT2_SC_S9_PKT4_PKT5_S7_PT6_21rocsparse_index_base_b
    .private_segment_fixed_size: 0
    .sgpr_count:     28
    .sgpr_spill_count: 0
    .symbol:         _ZN9rocsparseL18bsrxmvn_3x3_kernelILj256ELj8E21rocsparse_complex_numIdEllS2_S2_S2_EEvT3_20rocsparse_direction_NS_24const_host_device_scalarIT1_EES3_PKS3_PKT2_SC_S9_PKT4_PKT5_S7_PT6_21rocsparse_index_base_b.kd
    .uniform_work_group_size: 1
    .uses_dynamic_stack: false
    .vgpr_count:     86
    .vgpr_spill_count: 0
    .wavefront_size: 64
  - .agpr_count:     0
    .args:
      - .offset:         0
        .size:           8
        .value_kind:     by_value
      - .offset:         8
        .size:           4
        .value_kind:     by_value
      - .offset:         16
        .size:           16
        .value_kind:     by_value
      - .offset:         32
        .size:           8
        .value_kind:     by_value
      - .actual_access:  read_only
        .address_space:  global
        .offset:         40
        .size:           8
        .value_kind:     global_buffer
      - .actual_access:  read_only
        .address_space:  global
        .offset:         48
        .size:           8
        .value_kind:     global_buffer
      - .actual_access:  read_only
        .address_space:  global
        .offset:         56
        .size:           8
        .value_kind:     global_buffer
      - .actual_access:  read_only
        .address_space:  global
        .offset:         64
        .size:           8
        .value_kind:     global_buffer
      - .actual_access:  read_only
        .address_space:  global
        .offset:         72
        .size:           8
        .value_kind:     global_buffer
      - .actual_access:  read_only
        .address_space:  global
        .offset:         80
        .size:           8
        .value_kind:     global_buffer
      - .offset:         88
        .size:           16
        .value_kind:     by_value
      - .address_space:  global
        .offset:         104
        .size:           8
        .value_kind:     global_buffer
      - .offset:         112
        .size:           4
        .value_kind:     by_value
      - .offset:         116
        .size:           1
        .value_kind:     by_value
    .group_segment_fixed_size: 4096
    .kernarg_segment_align: 8
    .kernarg_segment_size: 120
    .language:       OpenCL C
    .language_version:
      - 2
      - 0
    .max_flat_workgroup_size: 256
    .name:           _ZN9rocsparseL18bsrxmvn_3x3_kernelILj256ELj16E21rocsparse_complex_numIdEllS2_S2_S2_EEvT3_20rocsparse_direction_NS_24const_host_device_scalarIT1_EES3_PKS3_PKT2_SC_S9_PKT4_PKT5_S7_PT6_21rocsparse_index_base_b
    .private_segment_fixed_size: 0
    .sgpr_count:     30
    .sgpr_spill_count: 0
    .symbol:         _ZN9rocsparseL18bsrxmvn_3x3_kernelILj256ELj16E21rocsparse_complex_numIdEllS2_S2_S2_EEvT3_20rocsparse_direction_NS_24const_host_device_scalarIT1_EES3_PKS3_PKT2_SC_S9_PKT4_PKT5_S7_PT6_21rocsparse_index_base_b.kd
    .uniform_work_group_size: 1
    .uses_dynamic_stack: false
    .vgpr_count:     86
    .vgpr_spill_count: 0
    .wavefront_size: 64
  - .agpr_count:     0
    .args:
      - .offset:         0
        .size:           8
        .value_kind:     by_value
      - .offset:         8
        .size:           4
        .value_kind:     by_value
      - .offset:         16
        .size:           16
        .value_kind:     by_value
      - .offset:         32
        .size:           8
        .value_kind:     by_value
      - .actual_access:  read_only
        .address_space:  global
        .offset:         40
        .size:           8
        .value_kind:     global_buffer
      - .actual_access:  read_only
        .address_space:  global
        .offset:         48
        .size:           8
        .value_kind:     global_buffer
      - .actual_access:  read_only
        .address_space:  global
        .offset:         56
        .size:           8
        .value_kind:     global_buffer
      - .actual_access:  read_only
        .address_space:  global
        .offset:         64
        .size:           8
        .value_kind:     global_buffer
      - .actual_access:  read_only
        .address_space:  global
        .offset:         72
        .size:           8
        .value_kind:     global_buffer
      - .actual_access:  read_only
        .address_space:  global
        .offset:         80
        .size:           8
        .value_kind:     global_buffer
      - .offset:         88
        .size:           16
        .value_kind:     by_value
      - .address_space:  global
        .offset:         104
        .size:           8
        .value_kind:     global_buffer
      - .offset:         112
        .size:           4
        .value_kind:     by_value
      - .offset:         116
        .size:           1
        .value_kind:     by_value
    .group_segment_fixed_size: 4096
    .kernarg_segment_align: 8
    .kernarg_segment_size: 120
    .language:       OpenCL C
    .language_version:
      - 2
      - 0
    .max_flat_workgroup_size: 256
    .name:           _ZN9rocsparseL18bsrxmvn_3x3_kernelILj256ELj32E21rocsparse_complex_numIdEllS2_S2_S2_EEvT3_20rocsparse_direction_NS_24const_host_device_scalarIT1_EES3_PKS3_PKT2_SC_S9_PKT4_PKT5_S7_PT6_21rocsparse_index_base_b
    .private_segment_fixed_size: 0
    .sgpr_count:     30
    .sgpr_spill_count: 0
    .symbol:         _ZN9rocsparseL18bsrxmvn_3x3_kernelILj256ELj32E21rocsparse_complex_numIdEllS2_S2_S2_EEvT3_20rocsparse_direction_NS_24const_host_device_scalarIT1_EES3_PKS3_PKT2_SC_S9_PKT4_PKT5_S7_PT6_21rocsparse_index_base_b.kd
    .uniform_work_group_size: 1
    .uses_dynamic_stack: false
    .vgpr_count:     86
    .vgpr_spill_count: 0
    .wavefront_size: 64
  - .agpr_count:     0
    .args:
      - .offset:         0
        .size:           8
        .value_kind:     by_value
      - .offset:         8
        .size:           4
        .value_kind:     by_value
      - .offset:         16
        .size:           16
        .value_kind:     by_value
      - .offset:         32
        .size:           8
        .value_kind:     by_value
      - .actual_access:  read_only
        .address_space:  global
        .offset:         40
        .size:           8
        .value_kind:     global_buffer
      - .actual_access:  read_only
        .address_space:  global
        .offset:         48
        .size:           8
        .value_kind:     global_buffer
      - .actual_access:  read_only
        .address_space:  global
        .offset:         56
        .size:           8
        .value_kind:     global_buffer
      - .actual_access:  read_only
        .address_space:  global
        .offset:         64
        .size:           8
        .value_kind:     global_buffer
      - .actual_access:  read_only
        .address_space:  global
        .offset:         72
        .size:           8
        .value_kind:     global_buffer
      - .actual_access:  read_only
        .address_space:  global
        .offset:         80
        .size:           8
        .value_kind:     global_buffer
      - .offset:         88
        .size:           16
        .value_kind:     by_value
      - .address_space:  global
        .offset:         104
        .size:           8
        .value_kind:     global_buffer
      - .offset:         112
        .size:           4
        .value_kind:     by_value
      - .offset:         116
        .size:           1
        .value_kind:     by_value
    .group_segment_fixed_size: 4096
    .kernarg_segment_align: 8
    .kernarg_segment_size: 120
    .language:       OpenCL C
    .language_version:
      - 2
      - 0
    .max_flat_workgroup_size: 256
    .name:           _ZN9rocsparseL18bsrxmvn_3x3_kernelILj256ELj64E21rocsparse_complex_numIdEllS2_S2_S2_EEvT3_20rocsparse_direction_NS_24const_host_device_scalarIT1_EES3_PKS3_PKT2_SC_S9_PKT4_PKT5_S7_PT6_21rocsparse_index_base_b
    .private_segment_fixed_size: 0
    .sgpr_count:     30
    .sgpr_spill_count: 0
    .symbol:         _ZN9rocsparseL18bsrxmvn_3x3_kernelILj256ELj64E21rocsparse_complex_numIdEllS2_S2_S2_EEvT3_20rocsparse_direction_NS_24const_host_device_scalarIT1_EES3_PKS3_PKT2_SC_S9_PKT4_PKT5_S7_PT6_21rocsparse_index_base_b.kd
    .uniform_work_group_size: 1
    .uses_dynamic_stack: false
    .vgpr_count:     86
    .vgpr_spill_count: 0
    .wavefront_size: 64
  - .agpr_count:     0
    .args:
      - .offset:         0
        .size:           4
        .value_kind:     by_value
      - .offset:         4
        .size:           4
        .value_kind:     by_value
      - .offset:         8
        .size:           8
        .value_kind:     by_value
      - .offset:         16
        .size:           4
        .value_kind:     by_value
      - .actual_access:  read_only
        .address_space:  global
        .offset:         24
        .size:           8
        .value_kind:     global_buffer
      - .actual_access:  read_only
        .address_space:  global
        .offset:         32
        .size:           8
        .value_kind:     global_buffer
      - .actual_access:  read_only
        .address_space:  global
        .offset:         40
        .size:           8
        .value_kind:     global_buffer
      - .actual_access:  read_only
        .address_space:  global
        .offset:         48
        .size:           8
        .value_kind:     global_buffer
      - .actual_access:  read_only
        .address_space:  global
        .offset:         56
        .size:           8
        .value_kind:     global_buffer
      - .actual_access:  read_only
        .address_space:  global
        .offset:         64
        .size:           8
        .value_kind:     global_buffer
      - .offset:         72
        .size:           8
        .value_kind:     by_value
      - .address_space:  global
        .offset:         80
        .size:           8
        .value_kind:     global_buffer
      - .offset:         88
        .size:           4
        .value_kind:     by_value
      - .offset:         92
        .size:           1
        .value_kind:     by_value
    .group_segment_fixed_size: 0
    .kernarg_segment_align: 8
    .kernarg_segment_size: 96
    .language:       OpenCL C
    .language_version:
      - 2
      - 0
    .max_flat_workgroup_size: 256
    .name:           _ZN9rocsparseL18bsrxmvn_3x3_kernelILj256ELj4EiiiaaiEEvT3_20rocsparse_direction_NS_24const_host_device_scalarIT1_EES1_PKS1_PKT2_SA_S7_PKT4_PKT5_S5_PT6_21rocsparse_index_base_b
    .private_segment_fixed_size: 0
    .sgpr_count:     27
    .sgpr_spill_count: 0
    .symbol:         _ZN9rocsparseL18bsrxmvn_3x3_kernelILj256ELj4EiiiaaiEEvT3_20rocsparse_direction_NS_24const_host_device_scalarIT1_EES1_PKS1_PKT2_SA_S7_PKT4_PKT5_S5_PT6_21rocsparse_index_base_b.kd
    .uniform_work_group_size: 1
    .uses_dynamic_stack: false
    .vgpr_count:     20
    .vgpr_spill_count: 0
    .wavefront_size: 64
  - .agpr_count:     0
    .args:
      - .offset:         0
        .size:           4
        .value_kind:     by_value
      - .offset:         4
        .size:           4
        .value_kind:     by_value
      - .offset:         8
        .size:           8
        .value_kind:     by_value
      - .offset:         16
        .size:           4
        .value_kind:     by_value
      - .actual_access:  read_only
        .address_space:  global
        .offset:         24
        .size:           8
        .value_kind:     global_buffer
      - .actual_access:  read_only
        .address_space:  global
        .offset:         32
        .size:           8
        .value_kind:     global_buffer
      - .actual_access:  read_only
        .address_space:  global
        .offset:         40
        .size:           8
        .value_kind:     global_buffer
      - .actual_access:  read_only
        .address_space:  global
        .offset:         48
        .size:           8
        .value_kind:     global_buffer
      - .actual_access:  read_only
        .address_space:  global
        .offset:         56
        .size:           8
        .value_kind:     global_buffer
      - .actual_access:  read_only
        .address_space:  global
        .offset:         64
        .size:           8
        .value_kind:     global_buffer
      - .offset:         72
        .size:           8
        .value_kind:     by_value
      - .address_space:  global
        .offset:         80
        .size:           8
        .value_kind:     global_buffer
      - .offset:         88
        .size:           4
        .value_kind:     by_value
      - .offset:         92
        .size:           1
        .value_kind:     by_value
    .group_segment_fixed_size: 0
    .kernarg_segment_align: 8
    .kernarg_segment_size: 96
    .language:       OpenCL C
    .language_version:
      - 2
      - 0
    .max_flat_workgroup_size: 256
    .name:           _ZN9rocsparseL18bsrxmvn_3x3_kernelILj256ELj8EiiiaaiEEvT3_20rocsparse_direction_NS_24const_host_device_scalarIT1_EES1_PKS1_PKT2_SA_S7_PKT4_PKT5_S5_PT6_21rocsparse_index_base_b
    .private_segment_fixed_size: 0
    .sgpr_count:     29
    .sgpr_spill_count: 0
    .symbol:         _ZN9rocsparseL18bsrxmvn_3x3_kernelILj256ELj8EiiiaaiEEvT3_20rocsparse_direction_NS_24const_host_device_scalarIT1_EES1_PKS1_PKT2_SA_S7_PKT4_PKT5_S5_PT6_21rocsparse_index_base_b.kd
    .uniform_work_group_size: 1
    .uses_dynamic_stack: false
    .vgpr_count:     20
    .vgpr_spill_count: 0
    .wavefront_size: 64
  - .agpr_count:     0
    .args:
      - .offset:         0
        .size:           4
        .value_kind:     by_value
      - .offset:         4
        .size:           4
        .value_kind:     by_value
      - .offset:         8
        .size:           8
        .value_kind:     by_value
      - .offset:         16
        .size:           4
        .value_kind:     by_value
      - .actual_access:  read_only
        .address_space:  global
        .offset:         24
        .size:           8
        .value_kind:     global_buffer
      - .actual_access:  read_only
        .address_space:  global
        .offset:         32
        .size:           8
        .value_kind:     global_buffer
      - .actual_access:  read_only
        .address_space:  global
        .offset:         40
        .size:           8
        .value_kind:     global_buffer
      - .actual_access:  read_only
        .address_space:  global
        .offset:         48
        .size:           8
        .value_kind:     global_buffer
      - .actual_access:  read_only
        .address_space:  global
        .offset:         56
        .size:           8
        .value_kind:     global_buffer
      - .actual_access:  read_only
        .address_space:  global
        .offset:         64
        .size:           8
        .value_kind:     global_buffer
      - .offset:         72
        .size:           8
        .value_kind:     by_value
      - .address_space:  global
        .offset:         80
        .size:           8
        .value_kind:     global_buffer
      - .offset:         88
        .size:           4
        .value_kind:     by_value
      - .offset:         92
        .size:           1
        .value_kind:     by_value
    .group_segment_fixed_size: 0
    .kernarg_segment_align: 8
    .kernarg_segment_size: 96
    .language:       OpenCL C
    .language_version:
      - 2
      - 0
    .max_flat_workgroup_size: 256
    .name:           _ZN9rocsparseL18bsrxmvn_3x3_kernelILj256ELj16EiiiaaiEEvT3_20rocsparse_direction_NS_24const_host_device_scalarIT1_EES1_PKS1_PKT2_SA_S7_PKT4_PKT5_S5_PT6_21rocsparse_index_base_b
    .private_segment_fixed_size: 0
    .sgpr_count:     29
    .sgpr_spill_count: 0
    .symbol:         _ZN9rocsparseL18bsrxmvn_3x3_kernelILj256ELj16EiiiaaiEEvT3_20rocsparse_direction_NS_24const_host_device_scalarIT1_EES1_PKS1_PKT2_SA_S7_PKT4_PKT5_S5_PT6_21rocsparse_index_base_b.kd
    .uniform_work_group_size: 1
    .uses_dynamic_stack: false
    .vgpr_count:     20
    .vgpr_spill_count: 0
    .wavefront_size: 64
  - .agpr_count:     0
    .args:
      - .offset:         0
        .size:           4
        .value_kind:     by_value
      - .offset:         4
        .size:           4
        .value_kind:     by_value
      - .offset:         8
        .size:           8
        .value_kind:     by_value
      - .offset:         16
        .size:           4
        .value_kind:     by_value
      - .actual_access:  read_only
        .address_space:  global
        .offset:         24
        .size:           8
        .value_kind:     global_buffer
      - .actual_access:  read_only
        .address_space:  global
        .offset:         32
        .size:           8
        .value_kind:     global_buffer
      - .actual_access:  read_only
        .address_space:  global
        .offset:         40
        .size:           8
        .value_kind:     global_buffer
      - .actual_access:  read_only
        .address_space:  global
        .offset:         48
        .size:           8
        .value_kind:     global_buffer
      - .actual_access:  read_only
        .address_space:  global
        .offset:         56
        .size:           8
        .value_kind:     global_buffer
      - .actual_access:  read_only
        .address_space:  global
        .offset:         64
        .size:           8
        .value_kind:     global_buffer
      - .offset:         72
        .size:           8
        .value_kind:     by_value
      - .address_space:  global
        .offset:         80
        .size:           8
        .value_kind:     global_buffer
      - .offset:         88
        .size:           4
        .value_kind:     by_value
      - .offset:         92
        .size:           1
        .value_kind:     by_value
    .group_segment_fixed_size: 0
    .kernarg_segment_align: 8
    .kernarg_segment_size: 96
    .language:       OpenCL C
    .language_version:
      - 2
      - 0
    .max_flat_workgroup_size: 256
    .name:           _ZN9rocsparseL18bsrxmvn_3x3_kernelILj256ELj32EiiiaaiEEvT3_20rocsparse_direction_NS_24const_host_device_scalarIT1_EES1_PKS1_PKT2_SA_S7_PKT4_PKT5_S5_PT6_21rocsparse_index_base_b
    .private_segment_fixed_size: 0
    .sgpr_count:     29
    .sgpr_spill_count: 0
    .symbol:         _ZN9rocsparseL18bsrxmvn_3x3_kernelILj256ELj32EiiiaaiEEvT3_20rocsparse_direction_NS_24const_host_device_scalarIT1_EES1_PKS1_PKT2_SA_S7_PKT4_PKT5_S5_PT6_21rocsparse_index_base_b.kd
    .uniform_work_group_size: 1
    .uses_dynamic_stack: false
    .vgpr_count:     20
    .vgpr_spill_count: 0
    .wavefront_size: 64
  - .agpr_count:     0
    .args:
      - .offset:         0
        .size:           4
        .value_kind:     by_value
      - .offset:         4
        .size:           4
        .value_kind:     by_value
      - .offset:         8
        .size:           8
        .value_kind:     by_value
      - .offset:         16
        .size:           4
        .value_kind:     by_value
      - .actual_access:  read_only
        .address_space:  global
        .offset:         24
        .size:           8
        .value_kind:     global_buffer
      - .actual_access:  read_only
        .address_space:  global
        .offset:         32
        .size:           8
        .value_kind:     global_buffer
      - .actual_access:  read_only
        .address_space:  global
        .offset:         40
        .size:           8
        .value_kind:     global_buffer
      - .actual_access:  read_only
        .address_space:  global
        .offset:         48
        .size:           8
        .value_kind:     global_buffer
      - .actual_access:  read_only
        .address_space:  global
        .offset:         56
        .size:           8
        .value_kind:     global_buffer
      - .actual_access:  read_only
        .address_space:  global
        .offset:         64
        .size:           8
        .value_kind:     global_buffer
      - .offset:         72
        .size:           8
        .value_kind:     by_value
      - .address_space:  global
        .offset:         80
        .size:           8
        .value_kind:     global_buffer
      - .offset:         88
        .size:           4
        .value_kind:     by_value
      - .offset:         92
        .size:           1
        .value_kind:     by_value
    .group_segment_fixed_size: 0
    .kernarg_segment_align: 8
    .kernarg_segment_size: 96
    .language:       OpenCL C
    .language_version:
      - 2
      - 0
    .max_flat_workgroup_size: 256
    .name:           _ZN9rocsparseL18bsrxmvn_3x3_kernelILj256ELj64EiiiaaiEEvT3_20rocsparse_direction_NS_24const_host_device_scalarIT1_EES1_PKS1_PKT2_SA_S7_PKT4_PKT5_S5_PT6_21rocsparse_index_base_b
    .private_segment_fixed_size: 0
    .sgpr_count:     29
    .sgpr_spill_count: 0
    .symbol:         _ZN9rocsparseL18bsrxmvn_3x3_kernelILj256ELj64EiiiaaiEEvT3_20rocsparse_direction_NS_24const_host_device_scalarIT1_EES1_PKS1_PKT2_SA_S7_PKT4_PKT5_S5_PT6_21rocsparse_index_base_b.kd
    .uniform_work_group_size: 1
    .uses_dynamic_stack: false
    .vgpr_count:     20
    .vgpr_spill_count: 0
    .wavefront_size: 64
  - .agpr_count:     0
    .args:
      - .offset:         0
        .size:           4
        .value_kind:     by_value
      - .offset:         4
        .size:           4
        .value_kind:     by_value
      - .offset:         8
        .size:           8
        .value_kind:     by_value
      - .offset:         16
        .size:           4
        .value_kind:     by_value
      - .actual_access:  read_only
        .address_space:  global
        .offset:         24
        .size:           8
        .value_kind:     global_buffer
      - .actual_access:  read_only
        .address_space:  global
        .offset:         32
        .size:           8
        .value_kind:     global_buffer
      - .actual_access:  read_only
        .address_space:  global
        .offset:         40
        .size:           8
        .value_kind:     global_buffer
      - .actual_access:  read_only
        .address_space:  global
        .offset:         48
        .size:           8
        .value_kind:     global_buffer
      - .actual_access:  read_only
        .address_space:  global
        .offset:         56
        .size:           8
        .value_kind:     global_buffer
      - .actual_access:  read_only
        .address_space:  global
        .offset:         64
        .size:           8
        .value_kind:     global_buffer
      - .offset:         72
        .size:           8
        .value_kind:     by_value
      - .address_space:  global
        .offset:         80
        .size:           8
        .value_kind:     global_buffer
      - .offset:         88
        .size:           4
        .value_kind:     by_value
      - .offset:         92
        .size:           1
        .value_kind:     by_value
    .group_segment_fixed_size: 0
    .kernarg_segment_align: 8
    .kernarg_segment_size: 96
    .language:       OpenCL C
    .language_version:
      - 2
      - 0
    .max_flat_workgroup_size: 256
    .name:           _ZN9rocsparseL18bsrxmvn_3x3_kernelILj256ELj4EiliaaiEEvT3_20rocsparse_direction_NS_24const_host_device_scalarIT1_EES1_PKS1_PKT2_SA_S7_PKT4_PKT5_S5_PT6_21rocsparse_index_base_b
    .private_segment_fixed_size: 0
    .sgpr_count:     27
    .sgpr_spill_count: 0
    .symbol:         _ZN9rocsparseL18bsrxmvn_3x3_kernelILj256ELj4EiliaaiEEvT3_20rocsparse_direction_NS_24const_host_device_scalarIT1_EES1_PKS1_PKT2_SA_S7_PKT4_PKT5_S5_PT6_21rocsparse_index_base_b.kd
    .uniform_work_group_size: 1
    .uses_dynamic_stack: false
    .vgpr_count:     25
    .vgpr_spill_count: 0
    .wavefront_size: 64
  - .agpr_count:     0
    .args:
      - .offset:         0
        .size:           4
        .value_kind:     by_value
      - .offset:         4
        .size:           4
        .value_kind:     by_value
      - .offset:         8
        .size:           8
        .value_kind:     by_value
      - .offset:         16
        .size:           4
        .value_kind:     by_value
      - .actual_access:  read_only
        .address_space:  global
        .offset:         24
        .size:           8
        .value_kind:     global_buffer
      - .actual_access:  read_only
        .address_space:  global
        .offset:         32
        .size:           8
        .value_kind:     global_buffer
      - .actual_access:  read_only
        .address_space:  global
        .offset:         40
        .size:           8
        .value_kind:     global_buffer
      - .actual_access:  read_only
        .address_space:  global
        .offset:         48
        .size:           8
        .value_kind:     global_buffer
      - .actual_access:  read_only
        .address_space:  global
        .offset:         56
        .size:           8
        .value_kind:     global_buffer
      - .actual_access:  read_only
        .address_space:  global
        .offset:         64
        .size:           8
        .value_kind:     global_buffer
      - .offset:         72
        .size:           8
        .value_kind:     by_value
      - .address_space:  global
        .offset:         80
        .size:           8
        .value_kind:     global_buffer
      - .offset:         88
        .size:           4
        .value_kind:     by_value
      - .offset:         92
        .size:           1
        .value_kind:     by_value
    .group_segment_fixed_size: 0
    .kernarg_segment_align: 8
    .kernarg_segment_size: 96
    .language:       OpenCL C
    .language_version:
      - 2
      - 0
    .max_flat_workgroup_size: 256
    .name:           _ZN9rocsparseL18bsrxmvn_3x3_kernelILj256ELj8EiliaaiEEvT3_20rocsparse_direction_NS_24const_host_device_scalarIT1_EES1_PKS1_PKT2_SA_S7_PKT4_PKT5_S5_PT6_21rocsparse_index_base_b
    .private_segment_fixed_size: 0
    .sgpr_count:     29
    .sgpr_spill_count: 0
    .symbol:         _ZN9rocsparseL18bsrxmvn_3x3_kernelILj256ELj8EiliaaiEEvT3_20rocsparse_direction_NS_24const_host_device_scalarIT1_EES1_PKS1_PKT2_SA_S7_PKT4_PKT5_S5_PT6_21rocsparse_index_base_b.kd
    .uniform_work_group_size: 1
    .uses_dynamic_stack: false
    .vgpr_count:     25
    .vgpr_spill_count: 0
    .wavefront_size: 64
  - .agpr_count:     0
    .args:
      - .offset:         0
        .size:           4
        .value_kind:     by_value
      - .offset:         4
        .size:           4
        .value_kind:     by_value
      - .offset:         8
        .size:           8
        .value_kind:     by_value
      - .offset:         16
        .size:           4
        .value_kind:     by_value
      - .actual_access:  read_only
        .address_space:  global
        .offset:         24
        .size:           8
        .value_kind:     global_buffer
      - .actual_access:  read_only
        .address_space:  global
        .offset:         32
        .size:           8
        .value_kind:     global_buffer
      - .actual_access:  read_only
        .address_space:  global
        .offset:         40
        .size:           8
        .value_kind:     global_buffer
      - .actual_access:  read_only
        .address_space:  global
        .offset:         48
        .size:           8
        .value_kind:     global_buffer
      - .actual_access:  read_only
        .address_space:  global
        .offset:         56
        .size:           8
        .value_kind:     global_buffer
      - .actual_access:  read_only
        .address_space:  global
        .offset:         64
        .size:           8
        .value_kind:     global_buffer
      - .offset:         72
        .size:           8
        .value_kind:     by_value
      - .address_space:  global
        .offset:         80
        .size:           8
        .value_kind:     global_buffer
      - .offset:         88
        .size:           4
        .value_kind:     by_value
      - .offset:         92
        .size:           1
        .value_kind:     by_value
    .group_segment_fixed_size: 0
    .kernarg_segment_align: 8
    .kernarg_segment_size: 96
    .language:       OpenCL C
    .language_version:
      - 2
      - 0
    .max_flat_workgroup_size: 256
    .name:           _ZN9rocsparseL18bsrxmvn_3x3_kernelILj256ELj16EiliaaiEEvT3_20rocsparse_direction_NS_24const_host_device_scalarIT1_EES1_PKS1_PKT2_SA_S7_PKT4_PKT5_S5_PT6_21rocsparse_index_base_b
    .private_segment_fixed_size: 0
    .sgpr_count:     29
    .sgpr_spill_count: 0
    .symbol:         _ZN9rocsparseL18bsrxmvn_3x3_kernelILj256ELj16EiliaaiEEvT3_20rocsparse_direction_NS_24const_host_device_scalarIT1_EES1_PKS1_PKT2_SA_S7_PKT4_PKT5_S5_PT6_21rocsparse_index_base_b.kd
    .uniform_work_group_size: 1
    .uses_dynamic_stack: false
    .vgpr_count:     25
    .vgpr_spill_count: 0
    .wavefront_size: 64
  - .agpr_count:     0
    .args:
      - .offset:         0
        .size:           4
        .value_kind:     by_value
      - .offset:         4
        .size:           4
        .value_kind:     by_value
      - .offset:         8
        .size:           8
        .value_kind:     by_value
      - .offset:         16
        .size:           4
        .value_kind:     by_value
      - .actual_access:  read_only
        .address_space:  global
        .offset:         24
        .size:           8
        .value_kind:     global_buffer
      - .actual_access:  read_only
        .address_space:  global
        .offset:         32
        .size:           8
        .value_kind:     global_buffer
      - .actual_access:  read_only
        .address_space:  global
        .offset:         40
        .size:           8
        .value_kind:     global_buffer
      - .actual_access:  read_only
        .address_space:  global
        .offset:         48
        .size:           8
        .value_kind:     global_buffer
      - .actual_access:  read_only
        .address_space:  global
        .offset:         56
        .size:           8
        .value_kind:     global_buffer
      - .actual_access:  read_only
        .address_space:  global
        .offset:         64
        .size:           8
        .value_kind:     global_buffer
      - .offset:         72
        .size:           8
        .value_kind:     by_value
      - .address_space:  global
        .offset:         80
        .size:           8
        .value_kind:     global_buffer
      - .offset:         88
        .size:           4
        .value_kind:     by_value
      - .offset:         92
        .size:           1
        .value_kind:     by_value
    .group_segment_fixed_size: 0
    .kernarg_segment_align: 8
    .kernarg_segment_size: 96
    .language:       OpenCL C
    .language_version:
      - 2
      - 0
    .max_flat_workgroup_size: 256
    .name:           _ZN9rocsparseL18bsrxmvn_3x3_kernelILj256ELj32EiliaaiEEvT3_20rocsparse_direction_NS_24const_host_device_scalarIT1_EES1_PKS1_PKT2_SA_S7_PKT4_PKT5_S5_PT6_21rocsparse_index_base_b
    .private_segment_fixed_size: 0
    .sgpr_count:     31
    .sgpr_spill_count: 0
    .symbol:         _ZN9rocsparseL18bsrxmvn_3x3_kernelILj256ELj32EiliaaiEEvT3_20rocsparse_direction_NS_24const_host_device_scalarIT1_EES1_PKS1_PKT2_SA_S7_PKT4_PKT5_S5_PT6_21rocsparse_index_base_b.kd
    .uniform_work_group_size: 1
    .uses_dynamic_stack: false
    .vgpr_count:     25
    .vgpr_spill_count: 0
    .wavefront_size: 64
  - .agpr_count:     0
    .args:
      - .offset:         0
        .size:           4
        .value_kind:     by_value
      - .offset:         4
        .size:           4
        .value_kind:     by_value
      - .offset:         8
        .size:           8
        .value_kind:     by_value
      - .offset:         16
        .size:           4
        .value_kind:     by_value
      - .actual_access:  read_only
        .address_space:  global
        .offset:         24
        .size:           8
        .value_kind:     global_buffer
      - .actual_access:  read_only
        .address_space:  global
        .offset:         32
        .size:           8
        .value_kind:     global_buffer
      - .actual_access:  read_only
        .address_space:  global
        .offset:         40
        .size:           8
        .value_kind:     global_buffer
      - .actual_access:  read_only
        .address_space:  global
        .offset:         48
        .size:           8
        .value_kind:     global_buffer
      - .actual_access:  read_only
        .address_space:  global
        .offset:         56
        .size:           8
        .value_kind:     global_buffer
      - .actual_access:  read_only
        .address_space:  global
        .offset:         64
        .size:           8
        .value_kind:     global_buffer
      - .offset:         72
        .size:           8
        .value_kind:     by_value
      - .address_space:  global
        .offset:         80
        .size:           8
        .value_kind:     global_buffer
      - .offset:         88
        .size:           4
        .value_kind:     by_value
      - .offset:         92
        .size:           1
        .value_kind:     by_value
    .group_segment_fixed_size: 0
    .kernarg_segment_align: 8
    .kernarg_segment_size: 96
    .language:       OpenCL C
    .language_version:
      - 2
      - 0
    .max_flat_workgroup_size: 256
    .name:           _ZN9rocsparseL18bsrxmvn_3x3_kernelILj256ELj64EiliaaiEEvT3_20rocsparse_direction_NS_24const_host_device_scalarIT1_EES1_PKS1_PKT2_SA_S7_PKT4_PKT5_S5_PT6_21rocsparse_index_base_b
    .private_segment_fixed_size: 0
    .sgpr_count:     31
    .sgpr_spill_count: 0
    .symbol:         _ZN9rocsparseL18bsrxmvn_3x3_kernelILj256ELj64EiliaaiEEvT3_20rocsparse_direction_NS_24const_host_device_scalarIT1_EES1_PKS1_PKT2_SA_S7_PKT4_PKT5_S5_PT6_21rocsparse_index_base_b.kd
    .uniform_work_group_size: 1
    .uses_dynamic_stack: false
    .vgpr_count:     25
    .vgpr_spill_count: 0
    .wavefront_size: 64
  - .agpr_count:     0
    .args:
      - .offset:         0
        .size:           8
        .value_kind:     by_value
      - .offset:         8
        .size:           4
        .value_kind:     by_value
      - .offset:         16
        .size:           8
        .value_kind:     by_value
      - .offset:         24
        .size:           8
        .value_kind:     by_value
      - .actual_access:  read_only
        .address_space:  global
        .offset:         32
        .size:           8
        .value_kind:     global_buffer
      - .actual_access:  read_only
        .address_space:  global
        .offset:         40
        .size:           8
        .value_kind:     global_buffer
      - .actual_access:  read_only
        .address_space:  global
        .offset:         48
        .size:           8
        .value_kind:     global_buffer
      - .actual_access:  read_only
        .address_space:  global
        .offset:         56
        .size:           8
        .value_kind:     global_buffer
      - .actual_access:  read_only
        .address_space:  global
        .offset:         64
        .size:           8
        .value_kind:     global_buffer
      - .actual_access:  read_only
        .address_space:  global
        .offset:         72
        .size:           8
        .value_kind:     global_buffer
      - .offset:         80
        .size:           8
        .value_kind:     by_value
      - .address_space:  global
        .offset:         88
        .size:           8
        .value_kind:     global_buffer
      - .offset:         96
        .size:           4
        .value_kind:     by_value
      - .offset:         100
        .size:           1
        .value_kind:     by_value
    .group_segment_fixed_size: 0
    .kernarg_segment_align: 8
    .kernarg_segment_size: 104
    .language:       OpenCL C
    .language_version:
      - 2
      - 0
    .max_flat_workgroup_size: 256
    .name:           _ZN9rocsparseL18bsrxmvn_3x3_kernelILj256ELj4EillaaiEEvT3_20rocsparse_direction_NS_24const_host_device_scalarIT1_EES1_PKS1_PKT2_SA_S7_PKT4_PKT5_S5_PT6_21rocsparse_index_base_b
    .private_segment_fixed_size: 0
    .sgpr_count:     30
    .sgpr_spill_count: 0
    .symbol:         _ZN9rocsparseL18bsrxmvn_3x3_kernelILj256ELj4EillaaiEEvT3_20rocsparse_direction_NS_24const_host_device_scalarIT1_EES1_PKS1_PKT2_SA_S7_PKT4_PKT5_S5_PT6_21rocsparse_index_base_b.kd
    .uniform_work_group_size: 1
    .uses_dynamic_stack: false
    .vgpr_count:     27
    .vgpr_spill_count: 0
    .wavefront_size: 64
  - .agpr_count:     0
    .args:
      - .offset:         0
        .size:           8
        .value_kind:     by_value
      - .offset:         8
        .size:           4
        .value_kind:     by_value
      - .offset:         16
        .size:           8
        .value_kind:     by_value
      - .offset:         24
        .size:           8
        .value_kind:     by_value
      - .actual_access:  read_only
        .address_space:  global
        .offset:         32
        .size:           8
        .value_kind:     global_buffer
      - .actual_access:  read_only
        .address_space:  global
        .offset:         40
        .size:           8
        .value_kind:     global_buffer
      - .actual_access:  read_only
        .address_space:  global
        .offset:         48
        .size:           8
        .value_kind:     global_buffer
      - .actual_access:  read_only
        .address_space:  global
        .offset:         56
        .size:           8
        .value_kind:     global_buffer
      - .actual_access:  read_only
        .address_space:  global
        .offset:         64
        .size:           8
        .value_kind:     global_buffer
      - .actual_access:  read_only
        .address_space:  global
        .offset:         72
        .size:           8
        .value_kind:     global_buffer
      - .offset:         80
        .size:           8
        .value_kind:     by_value
      - .address_space:  global
        .offset:         88
        .size:           8
        .value_kind:     global_buffer
      - .offset:         96
        .size:           4
        .value_kind:     by_value
      - .offset:         100
        .size:           1
        .value_kind:     by_value
    .group_segment_fixed_size: 0
    .kernarg_segment_align: 8
    .kernarg_segment_size: 104
    .language:       OpenCL C
    .language_version:
      - 2
      - 0
    .max_flat_workgroup_size: 256
    .name:           _ZN9rocsparseL18bsrxmvn_3x3_kernelILj256ELj8EillaaiEEvT3_20rocsparse_direction_NS_24const_host_device_scalarIT1_EES1_PKS1_PKT2_SA_S7_PKT4_PKT5_S5_PT6_21rocsparse_index_base_b
    .private_segment_fixed_size: 0
    .sgpr_count:     32
    .sgpr_spill_count: 0
    .symbol:         _ZN9rocsparseL18bsrxmvn_3x3_kernelILj256ELj8EillaaiEEvT3_20rocsparse_direction_NS_24const_host_device_scalarIT1_EES1_PKS1_PKT2_SA_S7_PKT4_PKT5_S5_PT6_21rocsparse_index_base_b.kd
    .uniform_work_group_size: 1
    .uses_dynamic_stack: false
    .vgpr_count:     27
    .vgpr_spill_count: 0
    .wavefront_size: 64
  - .agpr_count:     0
    .args:
      - .offset:         0
        .size:           8
        .value_kind:     by_value
      - .offset:         8
        .size:           4
        .value_kind:     by_value
      - .offset:         16
        .size:           8
        .value_kind:     by_value
      - .offset:         24
        .size:           8
        .value_kind:     by_value
      - .actual_access:  read_only
        .address_space:  global
        .offset:         32
        .size:           8
        .value_kind:     global_buffer
      - .actual_access:  read_only
        .address_space:  global
        .offset:         40
        .size:           8
        .value_kind:     global_buffer
      - .actual_access:  read_only
        .address_space:  global
        .offset:         48
        .size:           8
        .value_kind:     global_buffer
      - .actual_access:  read_only
        .address_space:  global
        .offset:         56
        .size:           8
        .value_kind:     global_buffer
      - .actual_access:  read_only
        .address_space:  global
        .offset:         64
        .size:           8
        .value_kind:     global_buffer
      - .actual_access:  read_only
        .address_space:  global
        .offset:         72
        .size:           8
        .value_kind:     global_buffer
      - .offset:         80
        .size:           8
        .value_kind:     by_value
      - .address_space:  global
        .offset:         88
        .size:           8
        .value_kind:     global_buffer
      - .offset:         96
        .size:           4
        .value_kind:     by_value
      - .offset:         100
        .size:           1
        .value_kind:     by_value
    .group_segment_fixed_size: 0
    .kernarg_segment_align: 8
    .kernarg_segment_size: 104
    .language:       OpenCL C
    .language_version:
      - 2
      - 0
    .max_flat_workgroup_size: 256
    .name:           _ZN9rocsparseL18bsrxmvn_3x3_kernelILj256ELj16EillaaiEEvT3_20rocsparse_direction_NS_24const_host_device_scalarIT1_EES1_PKS1_PKT2_SA_S7_PKT4_PKT5_S5_PT6_21rocsparse_index_base_b
    .private_segment_fixed_size: 0
    .sgpr_count:     34
    .sgpr_spill_count: 0
    .symbol:         _ZN9rocsparseL18bsrxmvn_3x3_kernelILj256ELj16EillaaiEEvT3_20rocsparse_direction_NS_24const_host_device_scalarIT1_EES1_PKS1_PKT2_SA_S7_PKT4_PKT5_S5_PT6_21rocsparse_index_base_b.kd
    .uniform_work_group_size: 1
    .uses_dynamic_stack: false
    .vgpr_count:     27
    .vgpr_spill_count: 0
    .wavefront_size: 64
  - .agpr_count:     0
    .args:
      - .offset:         0
        .size:           8
        .value_kind:     by_value
      - .offset:         8
        .size:           4
        .value_kind:     by_value
      - .offset:         16
        .size:           8
        .value_kind:     by_value
      - .offset:         24
        .size:           8
        .value_kind:     by_value
      - .actual_access:  read_only
        .address_space:  global
        .offset:         32
        .size:           8
        .value_kind:     global_buffer
      - .actual_access:  read_only
        .address_space:  global
        .offset:         40
        .size:           8
        .value_kind:     global_buffer
      - .actual_access:  read_only
        .address_space:  global
        .offset:         48
        .size:           8
        .value_kind:     global_buffer
      - .actual_access:  read_only
        .address_space:  global
        .offset:         56
        .size:           8
        .value_kind:     global_buffer
      - .actual_access:  read_only
        .address_space:  global
        .offset:         64
        .size:           8
        .value_kind:     global_buffer
      - .actual_access:  read_only
        .address_space:  global
        .offset:         72
        .size:           8
        .value_kind:     global_buffer
      - .offset:         80
        .size:           8
        .value_kind:     by_value
      - .address_space:  global
        .offset:         88
        .size:           8
        .value_kind:     global_buffer
      - .offset:         96
        .size:           4
        .value_kind:     by_value
      - .offset:         100
        .size:           1
        .value_kind:     by_value
    .group_segment_fixed_size: 0
    .kernarg_segment_align: 8
    .kernarg_segment_size: 104
    .language:       OpenCL C
    .language_version:
      - 2
      - 0
    .max_flat_workgroup_size: 256
    .name:           _ZN9rocsparseL18bsrxmvn_3x3_kernelILj256ELj32EillaaiEEvT3_20rocsparse_direction_NS_24const_host_device_scalarIT1_EES1_PKS1_PKT2_SA_S7_PKT4_PKT5_S5_PT6_21rocsparse_index_base_b
    .private_segment_fixed_size: 0
    .sgpr_count:     34
    .sgpr_spill_count: 0
    .symbol:         _ZN9rocsparseL18bsrxmvn_3x3_kernelILj256ELj32EillaaiEEvT3_20rocsparse_direction_NS_24const_host_device_scalarIT1_EES1_PKS1_PKT2_SA_S7_PKT4_PKT5_S5_PT6_21rocsparse_index_base_b.kd
    .uniform_work_group_size: 1
    .uses_dynamic_stack: false
    .vgpr_count:     27
    .vgpr_spill_count: 0
    .wavefront_size: 64
  - .agpr_count:     0
    .args:
      - .offset:         0
        .size:           8
        .value_kind:     by_value
      - .offset:         8
        .size:           4
        .value_kind:     by_value
      - .offset:         16
        .size:           8
        .value_kind:     by_value
      - .offset:         24
        .size:           8
        .value_kind:     by_value
      - .actual_access:  read_only
        .address_space:  global
        .offset:         32
        .size:           8
        .value_kind:     global_buffer
      - .actual_access:  read_only
        .address_space:  global
        .offset:         40
        .size:           8
        .value_kind:     global_buffer
      - .actual_access:  read_only
        .address_space:  global
        .offset:         48
        .size:           8
        .value_kind:     global_buffer
      - .actual_access:  read_only
        .address_space:  global
        .offset:         56
        .size:           8
        .value_kind:     global_buffer
      - .actual_access:  read_only
        .address_space:  global
        .offset:         64
        .size:           8
        .value_kind:     global_buffer
      - .actual_access:  read_only
        .address_space:  global
        .offset:         72
        .size:           8
        .value_kind:     global_buffer
      - .offset:         80
        .size:           8
        .value_kind:     by_value
      - .address_space:  global
        .offset:         88
        .size:           8
        .value_kind:     global_buffer
      - .offset:         96
        .size:           4
        .value_kind:     by_value
      - .offset:         100
        .size:           1
        .value_kind:     by_value
    .group_segment_fixed_size: 0
    .kernarg_segment_align: 8
    .kernarg_segment_size: 104
    .language:       OpenCL C
    .language_version:
      - 2
      - 0
    .max_flat_workgroup_size: 256
    .name:           _ZN9rocsparseL18bsrxmvn_3x3_kernelILj256ELj64EillaaiEEvT3_20rocsparse_direction_NS_24const_host_device_scalarIT1_EES1_PKS1_PKT2_SA_S7_PKT4_PKT5_S5_PT6_21rocsparse_index_base_b
    .private_segment_fixed_size: 0
    .sgpr_count:     34
    .sgpr_spill_count: 0
    .symbol:         _ZN9rocsparseL18bsrxmvn_3x3_kernelILj256ELj64EillaaiEEvT3_20rocsparse_direction_NS_24const_host_device_scalarIT1_EES1_PKS1_PKT2_SA_S7_PKT4_PKT5_S5_PT6_21rocsparse_index_base_b.kd
    .uniform_work_group_size: 1
    .uses_dynamic_stack: false
    .vgpr_count:     27
    .vgpr_spill_count: 0
    .wavefront_size: 64
  - .agpr_count:     0
    .args:
      - .offset:         0
        .size:           4
        .value_kind:     by_value
      - .offset:         4
        .size:           4
        .value_kind:     by_value
      - .offset:         8
        .size:           8
        .value_kind:     by_value
      - .offset:         16
        .size:           4
        .value_kind:     by_value
      - .actual_access:  read_only
        .address_space:  global
        .offset:         24
        .size:           8
        .value_kind:     global_buffer
      - .actual_access:  read_only
        .address_space:  global
        .offset:         32
        .size:           8
        .value_kind:     global_buffer
      - .actual_access:  read_only
        .address_space:  global
        .offset:         40
        .size:           8
        .value_kind:     global_buffer
      - .actual_access:  read_only
        .address_space:  global
        .offset:         48
        .size:           8
        .value_kind:     global_buffer
      - .actual_access:  read_only
        .address_space:  global
        .offset:         56
        .size:           8
        .value_kind:     global_buffer
      - .actual_access:  read_only
        .address_space:  global
        .offset:         64
        .size:           8
        .value_kind:     global_buffer
      - .offset:         72
        .size:           8
        .value_kind:     by_value
      - .address_space:  global
        .offset:         80
        .size:           8
        .value_kind:     global_buffer
      - .offset:         88
        .size:           4
        .value_kind:     by_value
      - .offset:         92
        .size:           1
        .value_kind:     by_value
    .group_segment_fixed_size: 0
    .kernarg_segment_align: 8
    .kernarg_segment_size: 96
    .language:       OpenCL C
    .language_version:
      - 2
      - 0
    .max_flat_workgroup_size: 256
    .name:           _ZN9rocsparseL18bsrxmvn_3x3_kernelILj256ELj4EfiiaafEEvT3_20rocsparse_direction_NS_24const_host_device_scalarIT1_EES1_PKS1_PKT2_SA_S7_PKT4_PKT5_S5_PT6_21rocsparse_index_base_b
    .private_segment_fixed_size: 0
    .sgpr_count:     26
    .sgpr_spill_count: 0
    .symbol:         _ZN9rocsparseL18bsrxmvn_3x3_kernelILj256ELj4EfiiaafEEvT3_20rocsparse_direction_NS_24const_host_device_scalarIT1_EES1_PKS1_PKT2_SA_S7_PKT4_PKT5_S5_PT6_21rocsparse_index_base_b.kd
    .uniform_work_group_size: 1
    .uses_dynamic_stack: false
    .vgpr_count:     26
    .vgpr_spill_count: 0
    .wavefront_size: 64
  - .agpr_count:     0
    .args:
      - .offset:         0
        .size:           4
        .value_kind:     by_value
      - .offset:         4
        .size:           4
        .value_kind:     by_value
      - .offset:         8
        .size:           8
        .value_kind:     by_value
      - .offset:         16
        .size:           4
        .value_kind:     by_value
      - .actual_access:  read_only
        .address_space:  global
        .offset:         24
        .size:           8
        .value_kind:     global_buffer
      - .actual_access:  read_only
        .address_space:  global
        .offset:         32
        .size:           8
        .value_kind:     global_buffer
      - .actual_access:  read_only
        .address_space:  global
        .offset:         40
        .size:           8
        .value_kind:     global_buffer
      - .actual_access:  read_only
        .address_space:  global
        .offset:         48
        .size:           8
        .value_kind:     global_buffer
      - .actual_access:  read_only
        .address_space:  global
        .offset:         56
        .size:           8
        .value_kind:     global_buffer
      - .actual_access:  read_only
        .address_space:  global
        .offset:         64
        .size:           8
        .value_kind:     global_buffer
      - .offset:         72
        .size:           8
        .value_kind:     by_value
      - .address_space:  global
        .offset:         80
        .size:           8
        .value_kind:     global_buffer
      - .offset:         88
        .size:           4
        .value_kind:     by_value
      - .offset:         92
        .size:           1
        .value_kind:     by_value
    .group_segment_fixed_size: 0
    .kernarg_segment_align: 8
    .kernarg_segment_size: 96
    .language:       OpenCL C
    .language_version:
      - 2
      - 0
    .max_flat_workgroup_size: 256
    .name:           _ZN9rocsparseL18bsrxmvn_3x3_kernelILj256ELj8EfiiaafEEvT3_20rocsparse_direction_NS_24const_host_device_scalarIT1_EES1_PKS1_PKT2_SA_S7_PKT4_PKT5_S5_PT6_21rocsparse_index_base_b
    .private_segment_fixed_size: 0
    .sgpr_count:     26
    .sgpr_spill_count: 0
    .symbol:         _ZN9rocsparseL18bsrxmvn_3x3_kernelILj256ELj8EfiiaafEEvT3_20rocsparse_direction_NS_24const_host_device_scalarIT1_EES1_PKS1_PKT2_SA_S7_PKT4_PKT5_S5_PT6_21rocsparse_index_base_b.kd
    .uniform_work_group_size: 1
    .uses_dynamic_stack: false
    .vgpr_count:     26
    .vgpr_spill_count: 0
    .wavefront_size: 64
  - .agpr_count:     0
    .args:
      - .offset:         0
        .size:           4
        .value_kind:     by_value
      - .offset:         4
        .size:           4
        .value_kind:     by_value
      - .offset:         8
        .size:           8
        .value_kind:     by_value
      - .offset:         16
        .size:           4
        .value_kind:     by_value
      - .actual_access:  read_only
        .address_space:  global
        .offset:         24
        .size:           8
        .value_kind:     global_buffer
      - .actual_access:  read_only
        .address_space:  global
        .offset:         32
        .size:           8
        .value_kind:     global_buffer
      - .actual_access:  read_only
        .address_space:  global
        .offset:         40
        .size:           8
        .value_kind:     global_buffer
      - .actual_access:  read_only
        .address_space:  global
        .offset:         48
        .size:           8
        .value_kind:     global_buffer
      - .actual_access:  read_only
        .address_space:  global
        .offset:         56
        .size:           8
        .value_kind:     global_buffer
      - .actual_access:  read_only
        .address_space:  global
        .offset:         64
        .size:           8
        .value_kind:     global_buffer
      - .offset:         72
        .size:           8
        .value_kind:     by_value
      - .address_space:  global
        .offset:         80
        .size:           8
        .value_kind:     global_buffer
      - .offset:         88
        .size:           4
        .value_kind:     by_value
      - .offset:         92
        .size:           1
        .value_kind:     by_value
    .group_segment_fixed_size: 0
    .kernarg_segment_align: 8
    .kernarg_segment_size: 96
    .language:       OpenCL C
    .language_version:
      - 2
      - 0
    .max_flat_workgroup_size: 256
    .name:           _ZN9rocsparseL18bsrxmvn_3x3_kernelILj256ELj16EfiiaafEEvT3_20rocsparse_direction_NS_24const_host_device_scalarIT1_EES1_PKS1_PKT2_SA_S7_PKT4_PKT5_S5_PT6_21rocsparse_index_base_b
    .private_segment_fixed_size: 0
    .sgpr_count:     26
    .sgpr_spill_count: 0
    .symbol:         _ZN9rocsparseL18bsrxmvn_3x3_kernelILj256ELj16EfiiaafEEvT3_20rocsparse_direction_NS_24const_host_device_scalarIT1_EES1_PKS1_PKT2_SA_S7_PKT4_PKT5_S5_PT6_21rocsparse_index_base_b.kd
    .uniform_work_group_size: 1
    .uses_dynamic_stack: false
    .vgpr_count:     26
    .vgpr_spill_count: 0
    .wavefront_size: 64
  - .agpr_count:     0
    .args:
      - .offset:         0
        .size:           4
        .value_kind:     by_value
      - .offset:         4
        .size:           4
        .value_kind:     by_value
      - .offset:         8
        .size:           8
        .value_kind:     by_value
      - .offset:         16
        .size:           4
        .value_kind:     by_value
      - .actual_access:  read_only
        .address_space:  global
        .offset:         24
        .size:           8
        .value_kind:     global_buffer
      - .actual_access:  read_only
        .address_space:  global
        .offset:         32
        .size:           8
        .value_kind:     global_buffer
      - .actual_access:  read_only
        .address_space:  global
        .offset:         40
        .size:           8
        .value_kind:     global_buffer
      - .actual_access:  read_only
        .address_space:  global
        .offset:         48
        .size:           8
        .value_kind:     global_buffer
      - .actual_access:  read_only
        .address_space:  global
        .offset:         56
        .size:           8
        .value_kind:     global_buffer
      - .actual_access:  read_only
        .address_space:  global
        .offset:         64
        .size:           8
        .value_kind:     global_buffer
      - .offset:         72
        .size:           8
        .value_kind:     by_value
      - .address_space:  global
        .offset:         80
        .size:           8
        .value_kind:     global_buffer
      - .offset:         88
        .size:           4
        .value_kind:     by_value
      - .offset:         92
        .size:           1
        .value_kind:     by_value
    .group_segment_fixed_size: 0
    .kernarg_segment_align: 8
    .kernarg_segment_size: 96
    .language:       OpenCL C
    .language_version:
      - 2
      - 0
    .max_flat_workgroup_size: 256
    .name:           _ZN9rocsparseL18bsrxmvn_3x3_kernelILj256ELj32EfiiaafEEvT3_20rocsparse_direction_NS_24const_host_device_scalarIT1_EES1_PKS1_PKT2_SA_S7_PKT4_PKT5_S5_PT6_21rocsparse_index_base_b
    .private_segment_fixed_size: 0
    .sgpr_count:     26
    .sgpr_spill_count: 0
    .symbol:         _ZN9rocsparseL18bsrxmvn_3x3_kernelILj256ELj32EfiiaafEEvT3_20rocsparse_direction_NS_24const_host_device_scalarIT1_EES1_PKS1_PKT2_SA_S7_PKT4_PKT5_S5_PT6_21rocsparse_index_base_b.kd
    .uniform_work_group_size: 1
    .uses_dynamic_stack: false
    .vgpr_count:     26
    .vgpr_spill_count: 0
    .wavefront_size: 64
  - .agpr_count:     0
    .args:
      - .offset:         0
        .size:           4
        .value_kind:     by_value
      - .offset:         4
        .size:           4
        .value_kind:     by_value
      - .offset:         8
        .size:           8
        .value_kind:     by_value
      - .offset:         16
        .size:           4
        .value_kind:     by_value
      - .actual_access:  read_only
        .address_space:  global
        .offset:         24
        .size:           8
        .value_kind:     global_buffer
      - .actual_access:  read_only
        .address_space:  global
        .offset:         32
        .size:           8
        .value_kind:     global_buffer
      - .actual_access:  read_only
        .address_space:  global
        .offset:         40
        .size:           8
        .value_kind:     global_buffer
      - .actual_access:  read_only
        .address_space:  global
        .offset:         48
        .size:           8
        .value_kind:     global_buffer
      - .actual_access:  read_only
        .address_space:  global
        .offset:         56
        .size:           8
        .value_kind:     global_buffer
      - .actual_access:  read_only
        .address_space:  global
        .offset:         64
        .size:           8
        .value_kind:     global_buffer
      - .offset:         72
        .size:           8
        .value_kind:     by_value
      - .address_space:  global
        .offset:         80
        .size:           8
        .value_kind:     global_buffer
      - .offset:         88
        .size:           4
        .value_kind:     by_value
      - .offset:         92
        .size:           1
        .value_kind:     by_value
    .group_segment_fixed_size: 0
    .kernarg_segment_align: 8
    .kernarg_segment_size: 96
    .language:       OpenCL C
    .language_version:
      - 2
      - 0
    .max_flat_workgroup_size: 256
    .name:           _ZN9rocsparseL18bsrxmvn_3x3_kernelILj256ELj64EfiiaafEEvT3_20rocsparse_direction_NS_24const_host_device_scalarIT1_EES1_PKS1_PKT2_SA_S7_PKT4_PKT5_S5_PT6_21rocsparse_index_base_b
    .private_segment_fixed_size: 0
    .sgpr_count:     26
    .sgpr_spill_count: 0
    .symbol:         _ZN9rocsparseL18bsrxmvn_3x3_kernelILj256ELj64EfiiaafEEvT3_20rocsparse_direction_NS_24const_host_device_scalarIT1_EES1_PKS1_PKT2_SA_S7_PKT4_PKT5_S5_PT6_21rocsparse_index_base_b.kd
    .uniform_work_group_size: 1
    .uses_dynamic_stack: false
    .vgpr_count:     26
    .vgpr_spill_count: 0
    .wavefront_size: 64
  - .agpr_count:     0
    .args:
      - .offset:         0
        .size:           4
        .value_kind:     by_value
      - .offset:         4
        .size:           4
        .value_kind:     by_value
      - .offset:         8
        .size:           8
        .value_kind:     by_value
      - .offset:         16
        .size:           4
        .value_kind:     by_value
      - .actual_access:  read_only
        .address_space:  global
        .offset:         24
        .size:           8
        .value_kind:     global_buffer
      - .actual_access:  read_only
        .address_space:  global
        .offset:         32
        .size:           8
        .value_kind:     global_buffer
      - .actual_access:  read_only
        .address_space:  global
        .offset:         40
        .size:           8
        .value_kind:     global_buffer
      - .actual_access:  read_only
        .address_space:  global
        .offset:         48
        .size:           8
        .value_kind:     global_buffer
      - .actual_access:  read_only
        .address_space:  global
        .offset:         56
        .size:           8
        .value_kind:     global_buffer
      - .actual_access:  read_only
        .address_space:  global
        .offset:         64
        .size:           8
        .value_kind:     global_buffer
      - .offset:         72
        .size:           8
        .value_kind:     by_value
      - .address_space:  global
        .offset:         80
        .size:           8
        .value_kind:     global_buffer
      - .offset:         88
        .size:           4
        .value_kind:     by_value
      - .offset:         92
        .size:           1
        .value_kind:     by_value
    .group_segment_fixed_size: 0
    .kernarg_segment_align: 8
    .kernarg_segment_size: 96
    .language:       OpenCL C
    .language_version:
      - 2
      - 0
    .max_flat_workgroup_size: 256
    .name:           _ZN9rocsparseL18bsrxmvn_3x3_kernelILj256ELj4EfliaafEEvT3_20rocsparse_direction_NS_24const_host_device_scalarIT1_EES1_PKS1_PKT2_SA_S7_PKT4_PKT5_S5_PT6_21rocsparse_index_base_b
    .private_segment_fixed_size: 0
    .sgpr_count:     26
    .sgpr_spill_count: 0
    .symbol:         _ZN9rocsparseL18bsrxmvn_3x3_kernelILj256ELj4EfliaafEEvT3_20rocsparse_direction_NS_24const_host_device_scalarIT1_EES1_PKS1_PKT2_SA_S7_PKT4_PKT5_S5_PT6_21rocsparse_index_base_b.kd
    .uniform_work_group_size: 1
    .uses_dynamic_stack: false
    .vgpr_count:     31
    .vgpr_spill_count: 0
    .wavefront_size: 64
  - .agpr_count:     0
    .args:
      - .offset:         0
        .size:           4
        .value_kind:     by_value
      - .offset:         4
        .size:           4
        .value_kind:     by_value
      - .offset:         8
        .size:           8
        .value_kind:     by_value
      - .offset:         16
        .size:           4
        .value_kind:     by_value
      - .actual_access:  read_only
        .address_space:  global
        .offset:         24
        .size:           8
        .value_kind:     global_buffer
      - .actual_access:  read_only
        .address_space:  global
        .offset:         32
        .size:           8
        .value_kind:     global_buffer
      - .actual_access:  read_only
        .address_space:  global
        .offset:         40
        .size:           8
        .value_kind:     global_buffer
      - .actual_access:  read_only
        .address_space:  global
        .offset:         48
        .size:           8
        .value_kind:     global_buffer
      - .actual_access:  read_only
        .address_space:  global
        .offset:         56
        .size:           8
        .value_kind:     global_buffer
      - .actual_access:  read_only
        .address_space:  global
        .offset:         64
        .size:           8
        .value_kind:     global_buffer
      - .offset:         72
        .size:           8
        .value_kind:     by_value
      - .address_space:  global
        .offset:         80
        .size:           8
        .value_kind:     global_buffer
      - .offset:         88
        .size:           4
        .value_kind:     by_value
      - .offset:         92
        .size:           1
        .value_kind:     by_value
    .group_segment_fixed_size: 0
    .kernarg_segment_align: 8
    .kernarg_segment_size: 96
    .language:       OpenCL C
    .language_version:
      - 2
      - 0
    .max_flat_workgroup_size: 256
    .name:           _ZN9rocsparseL18bsrxmvn_3x3_kernelILj256ELj8EfliaafEEvT3_20rocsparse_direction_NS_24const_host_device_scalarIT1_EES1_PKS1_PKT2_SA_S7_PKT4_PKT5_S5_PT6_21rocsparse_index_base_b
    .private_segment_fixed_size: 0
    .sgpr_count:     28
    .sgpr_spill_count: 0
    .symbol:         _ZN9rocsparseL18bsrxmvn_3x3_kernelILj256ELj8EfliaafEEvT3_20rocsparse_direction_NS_24const_host_device_scalarIT1_EES1_PKS1_PKT2_SA_S7_PKT4_PKT5_S5_PT6_21rocsparse_index_base_b.kd
    .uniform_work_group_size: 1
    .uses_dynamic_stack: false
    .vgpr_count:     31
    .vgpr_spill_count: 0
    .wavefront_size: 64
  - .agpr_count:     0
    .args:
      - .offset:         0
        .size:           4
        .value_kind:     by_value
      - .offset:         4
        .size:           4
        .value_kind:     by_value
      - .offset:         8
        .size:           8
        .value_kind:     by_value
      - .offset:         16
        .size:           4
        .value_kind:     by_value
      - .actual_access:  read_only
        .address_space:  global
        .offset:         24
        .size:           8
        .value_kind:     global_buffer
      - .actual_access:  read_only
        .address_space:  global
        .offset:         32
        .size:           8
        .value_kind:     global_buffer
      - .actual_access:  read_only
        .address_space:  global
        .offset:         40
        .size:           8
        .value_kind:     global_buffer
      - .actual_access:  read_only
        .address_space:  global
        .offset:         48
        .size:           8
        .value_kind:     global_buffer
      - .actual_access:  read_only
        .address_space:  global
        .offset:         56
        .size:           8
        .value_kind:     global_buffer
      - .actual_access:  read_only
        .address_space:  global
        .offset:         64
        .size:           8
        .value_kind:     global_buffer
      - .offset:         72
        .size:           8
        .value_kind:     by_value
      - .address_space:  global
        .offset:         80
        .size:           8
        .value_kind:     global_buffer
      - .offset:         88
        .size:           4
        .value_kind:     by_value
      - .offset:         92
        .size:           1
        .value_kind:     by_value
    .group_segment_fixed_size: 0
    .kernarg_segment_align: 8
    .kernarg_segment_size: 96
    .language:       OpenCL C
    .language_version:
      - 2
      - 0
    .max_flat_workgroup_size: 256
    .name:           _ZN9rocsparseL18bsrxmvn_3x3_kernelILj256ELj16EfliaafEEvT3_20rocsparse_direction_NS_24const_host_device_scalarIT1_EES1_PKS1_PKT2_SA_S7_PKT4_PKT5_S5_PT6_21rocsparse_index_base_b
    .private_segment_fixed_size: 0
    .sgpr_count:     26
    .sgpr_spill_count: 0
    .symbol:         _ZN9rocsparseL18bsrxmvn_3x3_kernelILj256ELj16EfliaafEEvT3_20rocsparse_direction_NS_24const_host_device_scalarIT1_EES1_PKS1_PKT2_SA_S7_PKT4_PKT5_S5_PT6_21rocsparse_index_base_b.kd
    .uniform_work_group_size: 1
    .uses_dynamic_stack: false
    .vgpr_count:     31
    .vgpr_spill_count: 0
    .wavefront_size: 64
  - .agpr_count:     0
    .args:
      - .offset:         0
        .size:           4
        .value_kind:     by_value
      - .offset:         4
        .size:           4
        .value_kind:     by_value
      - .offset:         8
        .size:           8
        .value_kind:     by_value
      - .offset:         16
        .size:           4
        .value_kind:     by_value
      - .actual_access:  read_only
        .address_space:  global
        .offset:         24
        .size:           8
        .value_kind:     global_buffer
      - .actual_access:  read_only
        .address_space:  global
        .offset:         32
        .size:           8
        .value_kind:     global_buffer
      - .actual_access:  read_only
        .address_space:  global
        .offset:         40
        .size:           8
        .value_kind:     global_buffer
      - .actual_access:  read_only
        .address_space:  global
        .offset:         48
        .size:           8
        .value_kind:     global_buffer
      - .actual_access:  read_only
        .address_space:  global
        .offset:         56
        .size:           8
        .value_kind:     global_buffer
      - .actual_access:  read_only
        .address_space:  global
        .offset:         64
        .size:           8
        .value_kind:     global_buffer
      - .offset:         72
        .size:           8
        .value_kind:     by_value
      - .address_space:  global
        .offset:         80
        .size:           8
        .value_kind:     global_buffer
      - .offset:         88
        .size:           4
        .value_kind:     by_value
      - .offset:         92
        .size:           1
        .value_kind:     by_value
    .group_segment_fixed_size: 0
    .kernarg_segment_align: 8
    .kernarg_segment_size: 96
    .language:       OpenCL C
    .language_version:
      - 2
      - 0
    .max_flat_workgroup_size: 256
    .name:           _ZN9rocsparseL18bsrxmvn_3x3_kernelILj256ELj32EfliaafEEvT3_20rocsparse_direction_NS_24const_host_device_scalarIT1_EES1_PKS1_PKT2_SA_S7_PKT4_PKT5_S5_PT6_21rocsparse_index_base_b
    .private_segment_fixed_size: 0
    .sgpr_count:     28
    .sgpr_spill_count: 0
    .symbol:         _ZN9rocsparseL18bsrxmvn_3x3_kernelILj256ELj32EfliaafEEvT3_20rocsparse_direction_NS_24const_host_device_scalarIT1_EES1_PKS1_PKT2_SA_S7_PKT4_PKT5_S5_PT6_21rocsparse_index_base_b.kd
    .uniform_work_group_size: 1
    .uses_dynamic_stack: false
    .vgpr_count:     31
    .vgpr_spill_count: 0
    .wavefront_size: 64
  - .agpr_count:     0
    .args:
      - .offset:         0
        .size:           4
        .value_kind:     by_value
      - .offset:         4
        .size:           4
        .value_kind:     by_value
      - .offset:         8
        .size:           8
        .value_kind:     by_value
      - .offset:         16
        .size:           4
        .value_kind:     by_value
      - .actual_access:  read_only
        .address_space:  global
        .offset:         24
        .size:           8
        .value_kind:     global_buffer
      - .actual_access:  read_only
        .address_space:  global
        .offset:         32
        .size:           8
        .value_kind:     global_buffer
      - .actual_access:  read_only
        .address_space:  global
        .offset:         40
        .size:           8
        .value_kind:     global_buffer
      - .actual_access:  read_only
        .address_space:  global
        .offset:         48
        .size:           8
        .value_kind:     global_buffer
      - .actual_access:  read_only
        .address_space:  global
        .offset:         56
        .size:           8
        .value_kind:     global_buffer
      - .actual_access:  read_only
        .address_space:  global
        .offset:         64
        .size:           8
        .value_kind:     global_buffer
      - .offset:         72
        .size:           8
        .value_kind:     by_value
      - .address_space:  global
        .offset:         80
        .size:           8
        .value_kind:     global_buffer
      - .offset:         88
        .size:           4
        .value_kind:     by_value
      - .offset:         92
        .size:           1
        .value_kind:     by_value
    .group_segment_fixed_size: 0
    .kernarg_segment_align: 8
    .kernarg_segment_size: 96
    .language:       OpenCL C
    .language_version:
      - 2
      - 0
    .max_flat_workgroup_size: 256
    .name:           _ZN9rocsparseL18bsrxmvn_3x3_kernelILj256ELj64EfliaafEEvT3_20rocsparse_direction_NS_24const_host_device_scalarIT1_EES1_PKS1_PKT2_SA_S7_PKT4_PKT5_S5_PT6_21rocsparse_index_base_b
    .private_segment_fixed_size: 0
    .sgpr_count:     28
    .sgpr_spill_count: 0
    .symbol:         _ZN9rocsparseL18bsrxmvn_3x3_kernelILj256ELj64EfliaafEEvT3_20rocsparse_direction_NS_24const_host_device_scalarIT1_EES1_PKS1_PKT2_SA_S7_PKT4_PKT5_S5_PT6_21rocsparse_index_base_b.kd
    .uniform_work_group_size: 1
    .uses_dynamic_stack: false
    .vgpr_count:     31
    .vgpr_spill_count: 0
    .wavefront_size: 64
  - .agpr_count:     0
    .args:
      - .offset:         0
        .size:           8
        .value_kind:     by_value
      - .offset:         8
        .size:           4
        .value_kind:     by_value
      - .offset:         16
        .size:           8
        .value_kind:     by_value
      - .offset:         24
        .size:           8
        .value_kind:     by_value
      - .actual_access:  read_only
        .address_space:  global
        .offset:         32
        .size:           8
        .value_kind:     global_buffer
      - .actual_access:  read_only
        .address_space:  global
        .offset:         40
        .size:           8
        .value_kind:     global_buffer
      - .actual_access:  read_only
        .address_space:  global
        .offset:         48
        .size:           8
        .value_kind:     global_buffer
      - .actual_access:  read_only
        .address_space:  global
        .offset:         56
        .size:           8
        .value_kind:     global_buffer
      - .actual_access:  read_only
        .address_space:  global
        .offset:         64
        .size:           8
        .value_kind:     global_buffer
      - .actual_access:  read_only
        .address_space:  global
        .offset:         72
        .size:           8
        .value_kind:     global_buffer
      - .offset:         80
        .size:           8
        .value_kind:     by_value
      - .address_space:  global
        .offset:         88
        .size:           8
        .value_kind:     global_buffer
      - .offset:         96
        .size:           4
        .value_kind:     by_value
      - .offset:         100
        .size:           1
        .value_kind:     by_value
    .group_segment_fixed_size: 0
    .kernarg_segment_align: 8
    .kernarg_segment_size: 104
    .language:       OpenCL C
    .language_version:
      - 2
      - 0
    .max_flat_workgroup_size: 256
    .name:           _ZN9rocsparseL18bsrxmvn_3x3_kernelILj256ELj4EfllaafEEvT3_20rocsparse_direction_NS_24const_host_device_scalarIT1_EES1_PKS1_PKT2_SA_S7_PKT4_PKT5_S5_PT6_21rocsparse_index_base_b
    .private_segment_fixed_size: 0
    .sgpr_count:     30
    .sgpr_spill_count: 0
    .symbol:         _ZN9rocsparseL18bsrxmvn_3x3_kernelILj256ELj4EfllaafEEvT3_20rocsparse_direction_NS_24const_host_device_scalarIT1_EES1_PKS1_PKT2_SA_S7_PKT4_PKT5_S5_PT6_21rocsparse_index_base_b.kd
    .uniform_work_group_size: 1
    .uses_dynamic_stack: false
    .vgpr_count:     32
    .vgpr_spill_count: 0
    .wavefront_size: 64
  - .agpr_count:     0
    .args:
      - .offset:         0
        .size:           8
        .value_kind:     by_value
      - .offset:         8
        .size:           4
        .value_kind:     by_value
      - .offset:         16
        .size:           8
        .value_kind:     by_value
      - .offset:         24
        .size:           8
        .value_kind:     by_value
      - .actual_access:  read_only
        .address_space:  global
        .offset:         32
        .size:           8
        .value_kind:     global_buffer
      - .actual_access:  read_only
        .address_space:  global
        .offset:         40
        .size:           8
        .value_kind:     global_buffer
      - .actual_access:  read_only
        .address_space:  global
        .offset:         48
        .size:           8
        .value_kind:     global_buffer
      - .actual_access:  read_only
        .address_space:  global
        .offset:         56
        .size:           8
        .value_kind:     global_buffer
      - .actual_access:  read_only
        .address_space:  global
        .offset:         64
        .size:           8
        .value_kind:     global_buffer
      - .actual_access:  read_only
        .address_space:  global
        .offset:         72
        .size:           8
        .value_kind:     global_buffer
      - .offset:         80
        .size:           8
        .value_kind:     by_value
      - .address_space:  global
        .offset:         88
        .size:           8
        .value_kind:     global_buffer
      - .offset:         96
        .size:           4
        .value_kind:     by_value
      - .offset:         100
        .size:           1
        .value_kind:     by_value
    .group_segment_fixed_size: 0
    .kernarg_segment_align: 8
    .kernarg_segment_size: 104
    .language:       OpenCL C
    .language_version:
      - 2
      - 0
    .max_flat_workgroup_size: 256
    .name:           _ZN9rocsparseL18bsrxmvn_3x3_kernelILj256ELj8EfllaafEEvT3_20rocsparse_direction_NS_24const_host_device_scalarIT1_EES1_PKS1_PKT2_SA_S7_PKT4_PKT5_S5_PT6_21rocsparse_index_base_b
    .private_segment_fixed_size: 0
    .sgpr_count:     32
    .sgpr_spill_count: 0
    .symbol:         _ZN9rocsparseL18bsrxmvn_3x3_kernelILj256ELj8EfllaafEEvT3_20rocsparse_direction_NS_24const_host_device_scalarIT1_EES1_PKS1_PKT2_SA_S7_PKT4_PKT5_S5_PT6_21rocsparse_index_base_b.kd
    .uniform_work_group_size: 1
    .uses_dynamic_stack: false
    .vgpr_count:     32
    .vgpr_spill_count: 0
    .wavefront_size: 64
  - .agpr_count:     0
    .args:
      - .offset:         0
        .size:           8
        .value_kind:     by_value
      - .offset:         8
        .size:           4
        .value_kind:     by_value
      - .offset:         16
        .size:           8
        .value_kind:     by_value
      - .offset:         24
        .size:           8
        .value_kind:     by_value
      - .actual_access:  read_only
        .address_space:  global
        .offset:         32
        .size:           8
        .value_kind:     global_buffer
      - .actual_access:  read_only
        .address_space:  global
        .offset:         40
        .size:           8
        .value_kind:     global_buffer
      - .actual_access:  read_only
        .address_space:  global
        .offset:         48
        .size:           8
        .value_kind:     global_buffer
      - .actual_access:  read_only
        .address_space:  global
        .offset:         56
        .size:           8
        .value_kind:     global_buffer
      - .actual_access:  read_only
        .address_space:  global
        .offset:         64
        .size:           8
        .value_kind:     global_buffer
      - .actual_access:  read_only
        .address_space:  global
        .offset:         72
        .size:           8
        .value_kind:     global_buffer
      - .offset:         80
        .size:           8
        .value_kind:     by_value
      - .address_space:  global
        .offset:         88
        .size:           8
        .value_kind:     global_buffer
      - .offset:         96
        .size:           4
        .value_kind:     by_value
      - .offset:         100
        .size:           1
        .value_kind:     by_value
    .group_segment_fixed_size: 0
    .kernarg_segment_align: 8
    .kernarg_segment_size: 104
    .language:       OpenCL C
    .language_version:
      - 2
      - 0
    .max_flat_workgroup_size: 256
    .name:           _ZN9rocsparseL18bsrxmvn_3x3_kernelILj256ELj16EfllaafEEvT3_20rocsparse_direction_NS_24const_host_device_scalarIT1_EES1_PKS1_PKT2_SA_S7_PKT4_PKT5_S5_PT6_21rocsparse_index_base_b
    .private_segment_fixed_size: 0
    .sgpr_count:     32
    .sgpr_spill_count: 0
    .symbol:         _ZN9rocsparseL18bsrxmvn_3x3_kernelILj256ELj16EfllaafEEvT3_20rocsparse_direction_NS_24const_host_device_scalarIT1_EES1_PKS1_PKT2_SA_S7_PKT4_PKT5_S5_PT6_21rocsparse_index_base_b.kd
    .uniform_work_group_size: 1
    .uses_dynamic_stack: false
    .vgpr_count:     32
    .vgpr_spill_count: 0
    .wavefront_size: 64
  - .agpr_count:     0
    .args:
      - .offset:         0
        .size:           8
        .value_kind:     by_value
      - .offset:         8
        .size:           4
        .value_kind:     by_value
      - .offset:         16
        .size:           8
        .value_kind:     by_value
      - .offset:         24
        .size:           8
        .value_kind:     by_value
      - .actual_access:  read_only
        .address_space:  global
        .offset:         32
        .size:           8
        .value_kind:     global_buffer
      - .actual_access:  read_only
        .address_space:  global
        .offset:         40
        .size:           8
        .value_kind:     global_buffer
      - .actual_access:  read_only
        .address_space:  global
        .offset:         48
        .size:           8
        .value_kind:     global_buffer
      - .actual_access:  read_only
        .address_space:  global
        .offset:         56
        .size:           8
        .value_kind:     global_buffer
      - .actual_access:  read_only
        .address_space:  global
        .offset:         64
        .size:           8
        .value_kind:     global_buffer
      - .actual_access:  read_only
        .address_space:  global
        .offset:         72
        .size:           8
        .value_kind:     global_buffer
      - .offset:         80
        .size:           8
        .value_kind:     by_value
      - .address_space:  global
        .offset:         88
        .size:           8
        .value_kind:     global_buffer
      - .offset:         96
        .size:           4
        .value_kind:     by_value
      - .offset:         100
        .size:           1
        .value_kind:     by_value
    .group_segment_fixed_size: 0
    .kernarg_segment_align: 8
    .kernarg_segment_size: 104
    .language:       OpenCL C
    .language_version:
      - 2
      - 0
    .max_flat_workgroup_size: 256
    .name:           _ZN9rocsparseL18bsrxmvn_3x3_kernelILj256ELj32EfllaafEEvT3_20rocsparse_direction_NS_24const_host_device_scalarIT1_EES1_PKS1_PKT2_SA_S7_PKT4_PKT5_S5_PT6_21rocsparse_index_base_b
    .private_segment_fixed_size: 0
    .sgpr_count:     32
    .sgpr_spill_count: 0
    .symbol:         _ZN9rocsparseL18bsrxmvn_3x3_kernelILj256ELj32EfllaafEEvT3_20rocsparse_direction_NS_24const_host_device_scalarIT1_EES1_PKS1_PKT2_SA_S7_PKT4_PKT5_S5_PT6_21rocsparse_index_base_b.kd
    .uniform_work_group_size: 1
    .uses_dynamic_stack: false
    .vgpr_count:     32
    .vgpr_spill_count: 0
    .wavefront_size: 64
  - .agpr_count:     0
    .args:
      - .offset:         0
        .size:           8
        .value_kind:     by_value
      - .offset:         8
        .size:           4
        .value_kind:     by_value
      - .offset:         16
        .size:           8
        .value_kind:     by_value
      - .offset:         24
        .size:           8
        .value_kind:     by_value
      - .actual_access:  read_only
        .address_space:  global
        .offset:         32
        .size:           8
        .value_kind:     global_buffer
      - .actual_access:  read_only
        .address_space:  global
        .offset:         40
        .size:           8
        .value_kind:     global_buffer
      - .actual_access:  read_only
        .address_space:  global
        .offset:         48
        .size:           8
        .value_kind:     global_buffer
      - .actual_access:  read_only
        .address_space:  global
        .offset:         56
        .size:           8
        .value_kind:     global_buffer
      - .actual_access:  read_only
        .address_space:  global
        .offset:         64
        .size:           8
        .value_kind:     global_buffer
      - .actual_access:  read_only
        .address_space:  global
        .offset:         72
        .size:           8
        .value_kind:     global_buffer
      - .offset:         80
        .size:           8
        .value_kind:     by_value
      - .address_space:  global
        .offset:         88
        .size:           8
        .value_kind:     global_buffer
      - .offset:         96
        .size:           4
        .value_kind:     by_value
      - .offset:         100
        .size:           1
        .value_kind:     by_value
    .group_segment_fixed_size: 0
    .kernarg_segment_align: 8
    .kernarg_segment_size: 104
    .language:       OpenCL C
    .language_version:
      - 2
      - 0
    .max_flat_workgroup_size: 256
    .name:           _ZN9rocsparseL18bsrxmvn_3x3_kernelILj256ELj64EfllaafEEvT3_20rocsparse_direction_NS_24const_host_device_scalarIT1_EES1_PKS1_PKT2_SA_S7_PKT4_PKT5_S5_PT6_21rocsparse_index_base_b
    .private_segment_fixed_size: 0
    .sgpr_count:     32
    .sgpr_spill_count: 0
    .symbol:         _ZN9rocsparseL18bsrxmvn_3x3_kernelILj256ELj64EfllaafEEvT3_20rocsparse_direction_NS_24const_host_device_scalarIT1_EES1_PKS1_PKT2_SA_S7_PKT4_PKT5_S5_PT6_21rocsparse_index_base_b.kd
    .uniform_work_group_size: 1
    .uses_dynamic_stack: false
    .vgpr_count:     33
    .vgpr_spill_count: 0
    .wavefront_size: 64
  - .agpr_count:     0
    .args:
      - .offset:         0
        .size:           4
        .value_kind:     by_value
      - .offset:         4
        .size:           4
        .value_kind:     by_value
      - .offset:         8
        .size:           8
        .value_kind:     by_value
      - .offset:         16
        .size:           4
        .value_kind:     by_value
      - .actual_access:  read_only
        .address_space:  global
        .offset:         24
        .size:           8
        .value_kind:     global_buffer
      - .actual_access:  read_only
        .address_space:  global
        .offset:         32
        .size:           8
        .value_kind:     global_buffer
      - .actual_access:  read_only
        .address_space:  global
        .offset:         40
        .size:           8
        .value_kind:     global_buffer
      - .actual_access:  read_only
        .address_space:  global
        .offset:         48
        .size:           8
        .value_kind:     global_buffer
      - .actual_access:  read_only
        .address_space:  global
        .offset:         56
        .size:           8
        .value_kind:     global_buffer
      - .actual_access:  read_only
        .address_space:  global
        .offset:         64
        .size:           8
        .value_kind:     global_buffer
      - .offset:         72
        .size:           8
        .value_kind:     by_value
      - .address_space:  global
        .offset:         80
        .size:           8
        .value_kind:     global_buffer
      - .offset:         88
        .size:           4
        .value_kind:     by_value
      - .offset:         92
        .size:           1
        .value_kind:     by_value
    .group_segment_fixed_size: 0
    .kernarg_segment_align: 8
    .kernarg_segment_size: 96
    .language:       OpenCL C
    .language_version:
      - 2
      - 0
    .max_flat_workgroup_size: 256
    .name:           _ZN9rocsparseL18bsrxmvn_3x3_kernelILj256ELj4EfiiDF16_DF16_fEEvT3_20rocsparse_direction_NS_24const_host_device_scalarIT1_EES1_PKS1_PKT2_SA_S7_PKT4_PKT5_S5_PT6_21rocsparse_index_base_b
    .private_segment_fixed_size: 0
    .sgpr_count:     26
    .sgpr_spill_count: 0
    .symbol:         _ZN9rocsparseL18bsrxmvn_3x3_kernelILj256ELj4EfiiDF16_DF16_fEEvT3_20rocsparse_direction_NS_24const_host_device_scalarIT1_EES1_PKS1_PKT2_SA_S7_PKT4_PKT5_S5_PT6_21rocsparse_index_base_b.kd
    .uniform_work_group_size: 1
    .uses_dynamic_stack: false
    .vgpr_count:     26
    .vgpr_spill_count: 0
    .wavefront_size: 64
  - .agpr_count:     0
    .args:
      - .offset:         0
        .size:           4
        .value_kind:     by_value
      - .offset:         4
        .size:           4
        .value_kind:     by_value
      - .offset:         8
        .size:           8
        .value_kind:     by_value
      - .offset:         16
        .size:           4
        .value_kind:     by_value
      - .actual_access:  read_only
        .address_space:  global
        .offset:         24
        .size:           8
        .value_kind:     global_buffer
      - .actual_access:  read_only
        .address_space:  global
        .offset:         32
        .size:           8
        .value_kind:     global_buffer
      - .actual_access:  read_only
        .address_space:  global
        .offset:         40
        .size:           8
        .value_kind:     global_buffer
      - .actual_access:  read_only
        .address_space:  global
        .offset:         48
        .size:           8
        .value_kind:     global_buffer
      - .actual_access:  read_only
        .address_space:  global
        .offset:         56
        .size:           8
        .value_kind:     global_buffer
      - .actual_access:  read_only
        .address_space:  global
        .offset:         64
        .size:           8
        .value_kind:     global_buffer
      - .offset:         72
        .size:           8
        .value_kind:     by_value
      - .address_space:  global
        .offset:         80
        .size:           8
        .value_kind:     global_buffer
      - .offset:         88
        .size:           4
        .value_kind:     by_value
      - .offset:         92
        .size:           1
        .value_kind:     by_value
    .group_segment_fixed_size: 0
    .kernarg_segment_align: 8
    .kernarg_segment_size: 96
    .language:       OpenCL C
    .language_version:
      - 2
      - 0
    .max_flat_workgroup_size: 256
    .name:           _ZN9rocsparseL18bsrxmvn_3x3_kernelILj256ELj8EfiiDF16_DF16_fEEvT3_20rocsparse_direction_NS_24const_host_device_scalarIT1_EES1_PKS1_PKT2_SA_S7_PKT4_PKT5_S5_PT6_21rocsparse_index_base_b
    .private_segment_fixed_size: 0
    .sgpr_count:     26
    .sgpr_spill_count: 0
    .symbol:         _ZN9rocsparseL18bsrxmvn_3x3_kernelILj256ELj8EfiiDF16_DF16_fEEvT3_20rocsparse_direction_NS_24const_host_device_scalarIT1_EES1_PKS1_PKT2_SA_S7_PKT4_PKT5_S5_PT6_21rocsparse_index_base_b.kd
    .uniform_work_group_size: 1
    .uses_dynamic_stack: false
    .vgpr_count:     26
    .vgpr_spill_count: 0
    .wavefront_size: 64
  - .agpr_count:     0
    .args:
      - .offset:         0
        .size:           4
        .value_kind:     by_value
      - .offset:         4
        .size:           4
        .value_kind:     by_value
      - .offset:         8
        .size:           8
        .value_kind:     by_value
      - .offset:         16
        .size:           4
        .value_kind:     by_value
      - .actual_access:  read_only
        .address_space:  global
        .offset:         24
        .size:           8
        .value_kind:     global_buffer
      - .actual_access:  read_only
        .address_space:  global
        .offset:         32
        .size:           8
        .value_kind:     global_buffer
      - .actual_access:  read_only
        .address_space:  global
        .offset:         40
        .size:           8
        .value_kind:     global_buffer
      - .actual_access:  read_only
        .address_space:  global
        .offset:         48
        .size:           8
        .value_kind:     global_buffer
      - .actual_access:  read_only
        .address_space:  global
        .offset:         56
        .size:           8
        .value_kind:     global_buffer
      - .actual_access:  read_only
        .address_space:  global
        .offset:         64
        .size:           8
        .value_kind:     global_buffer
      - .offset:         72
        .size:           8
        .value_kind:     by_value
      - .address_space:  global
        .offset:         80
        .size:           8
        .value_kind:     global_buffer
      - .offset:         88
        .size:           4
        .value_kind:     by_value
      - .offset:         92
        .size:           1
        .value_kind:     by_value
    .group_segment_fixed_size: 0
    .kernarg_segment_align: 8
    .kernarg_segment_size: 96
    .language:       OpenCL C
    .language_version:
      - 2
      - 0
    .max_flat_workgroup_size: 256
    .name:           _ZN9rocsparseL18bsrxmvn_3x3_kernelILj256ELj16EfiiDF16_DF16_fEEvT3_20rocsparse_direction_NS_24const_host_device_scalarIT1_EES1_PKS1_PKT2_SA_S7_PKT4_PKT5_S5_PT6_21rocsparse_index_base_b
    .private_segment_fixed_size: 0
    .sgpr_count:     26
    .sgpr_spill_count: 0
    .symbol:         _ZN9rocsparseL18bsrxmvn_3x3_kernelILj256ELj16EfiiDF16_DF16_fEEvT3_20rocsparse_direction_NS_24const_host_device_scalarIT1_EES1_PKS1_PKT2_SA_S7_PKT4_PKT5_S5_PT6_21rocsparse_index_base_b.kd
    .uniform_work_group_size: 1
    .uses_dynamic_stack: false
    .vgpr_count:     26
    .vgpr_spill_count: 0
    .wavefront_size: 64
  - .agpr_count:     0
    .args:
      - .offset:         0
        .size:           4
        .value_kind:     by_value
      - .offset:         4
        .size:           4
        .value_kind:     by_value
      - .offset:         8
        .size:           8
        .value_kind:     by_value
      - .offset:         16
        .size:           4
        .value_kind:     by_value
      - .actual_access:  read_only
        .address_space:  global
        .offset:         24
        .size:           8
        .value_kind:     global_buffer
      - .actual_access:  read_only
        .address_space:  global
        .offset:         32
        .size:           8
        .value_kind:     global_buffer
      - .actual_access:  read_only
        .address_space:  global
        .offset:         40
        .size:           8
        .value_kind:     global_buffer
      - .actual_access:  read_only
        .address_space:  global
        .offset:         48
        .size:           8
        .value_kind:     global_buffer
      - .actual_access:  read_only
        .address_space:  global
        .offset:         56
        .size:           8
        .value_kind:     global_buffer
      - .actual_access:  read_only
        .address_space:  global
        .offset:         64
        .size:           8
        .value_kind:     global_buffer
      - .offset:         72
        .size:           8
        .value_kind:     by_value
      - .address_space:  global
        .offset:         80
        .size:           8
        .value_kind:     global_buffer
      - .offset:         88
        .size:           4
        .value_kind:     by_value
      - .offset:         92
        .size:           1
        .value_kind:     by_value
    .group_segment_fixed_size: 0
    .kernarg_segment_align: 8
    .kernarg_segment_size: 96
    .language:       OpenCL C
    .language_version:
      - 2
      - 0
    .max_flat_workgroup_size: 256
    .name:           _ZN9rocsparseL18bsrxmvn_3x3_kernelILj256ELj32EfiiDF16_DF16_fEEvT3_20rocsparse_direction_NS_24const_host_device_scalarIT1_EES1_PKS1_PKT2_SA_S7_PKT4_PKT5_S5_PT6_21rocsparse_index_base_b
    .private_segment_fixed_size: 0
    .sgpr_count:     26
    .sgpr_spill_count: 0
    .symbol:         _ZN9rocsparseL18bsrxmvn_3x3_kernelILj256ELj32EfiiDF16_DF16_fEEvT3_20rocsparse_direction_NS_24const_host_device_scalarIT1_EES1_PKS1_PKT2_SA_S7_PKT4_PKT5_S5_PT6_21rocsparse_index_base_b.kd
    .uniform_work_group_size: 1
    .uses_dynamic_stack: false
    .vgpr_count:     26
    .vgpr_spill_count: 0
    .wavefront_size: 64
  - .agpr_count:     0
    .args:
      - .offset:         0
        .size:           4
        .value_kind:     by_value
      - .offset:         4
        .size:           4
        .value_kind:     by_value
      - .offset:         8
        .size:           8
        .value_kind:     by_value
      - .offset:         16
        .size:           4
        .value_kind:     by_value
      - .actual_access:  read_only
        .address_space:  global
        .offset:         24
        .size:           8
        .value_kind:     global_buffer
      - .actual_access:  read_only
        .address_space:  global
        .offset:         32
        .size:           8
        .value_kind:     global_buffer
      - .actual_access:  read_only
        .address_space:  global
        .offset:         40
        .size:           8
        .value_kind:     global_buffer
      - .actual_access:  read_only
        .address_space:  global
        .offset:         48
        .size:           8
        .value_kind:     global_buffer
      - .actual_access:  read_only
        .address_space:  global
        .offset:         56
        .size:           8
        .value_kind:     global_buffer
      - .actual_access:  read_only
        .address_space:  global
        .offset:         64
        .size:           8
        .value_kind:     global_buffer
      - .offset:         72
        .size:           8
        .value_kind:     by_value
      - .address_space:  global
        .offset:         80
        .size:           8
        .value_kind:     global_buffer
      - .offset:         88
        .size:           4
        .value_kind:     by_value
      - .offset:         92
        .size:           1
        .value_kind:     by_value
    .group_segment_fixed_size: 0
    .kernarg_segment_align: 8
    .kernarg_segment_size: 96
    .language:       OpenCL C
    .language_version:
      - 2
      - 0
    .max_flat_workgroup_size: 256
    .name:           _ZN9rocsparseL18bsrxmvn_3x3_kernelILj256ELj64EfiiDF16_DF16_fEEvT3_20rocsparse_direction_NS_24const_host_device_scalarIT1_EES1_PKS1_PKT2_SA_S7_PKT4_PKT5_S5_PT6_21rocsparse_index_base_b
    .private_segment_fixed_size: 0
    .sgpr_count:     26
    .sgpr_spill_count: 0
    .symbol:         _ZN9rocsparseL18bsrxmvn_3x3_kernelILj256ELj64EfiiDF16_DF16_fEEvT3_20rocsparse_direction_NS_24const_host_device_scalarIT1_EES1_PKS1_PKT2_SA_S7_PKT4_PKT5_S5_PT6_21rocsparse_index_base_b.kd
    .uniform_work_group_size: 1
    .uses_dynamic_stack: false
    .vgpr_count:     26
    .vgpr_spill_count: 0
    .wavefront_size: 64
  - .agpr_count:     0
    .args:
      - .offset:         0
        .size:           4
        .value_kind:     by_value
      - .offset:         4
        .size:           4
        .value_kind:     by_value
      - .offset:         8
        .size:           8
        .value_kind:     by_value
      - .offset:         16
        .size:           4
        .value_kind:     by_value
      - .actual_access:  read_only
        .address_space:  global
        .offset:         24
        .size:           8
        .value_kind:     global_buffer
      - .actual_access:  read_only
        .address_space:  global
        .offset:         32
        .size:           8
        .value_kind:     global_buffer
      - .actual_access:  read_only
        .address_space:  global
        .offset:         40
        .size:           8
        .value_kind:     global_buffer
      - .actual_access:  read_only
        .address_space:  global
        .offset:         48
        .size:           8
        .value_kind:     global_buffer
      - .actual_access:  read_only
        .address_space:  global
        .offset:         56
        .size:           8
        .value_kind:     global_buffer
      - .actual_access:  read_only
        .address_space:  global
        .offset:         64
        .size:           8
        .value_kind:     global_buffer
      - .offset:         72
        .size:           8
        .value_kind:     by_value
      - .address_space:  global
        .offset:         80
        .size:           8
        .value_kind:     global_buffer
      - .offset:         88
        .size:           4
        .value_kind:     by_value
      - .offset:         92
        .size:           1
        .value_kind:     by_value
    .group_segment_fixed_size: 0
    .kernarg_segment_align: 8
    .kernarg_segment_size: 96
    .language:       OpenCL C
    .language_version:
      - 2
      - 0
    .max_flat_workgroup_size: 256
    .name:           _ZN9rocsparseL18bsrxmvn_3x3_kernelILj256ELj4EfliDF16_DF16_fEEvT3_20rocsparse_direction_NS_24const_host_device_scalarIT1_EES1_PKS1_PKT2_SA_S7_PKT4_PKT5_S5_PT6_21rocsparse_index_base_b
    .private_segment_fixed_size: 0
    .sgpr_count:     28
    .sgpr_spill_count: 0
    .symbol:         _ZN9rocsparseL18bsrxmvn_3x3_kernelILj256ELj4EfliDF16_DF16_fEEvT3_20rocsparse_direction_NS_24const_host_device_scalarIT1_EES1_PKS1_PKT2_SA_S7_PKT4_PKT5_S5_PT6_21rocsparse_index_base_b.kd
    .uniform_work_group_size: 1
    .uses_dynamic_stack: false
    .vgpr_count:     31
    .vgpr_spill_count: 0
    .wavefront_size: 64
  - .agpr_count:     0
    .args:
      - .offset:         0
        .size:           4
        .value_kind:     by_value
      - .offset:         4
        .size:           4
        .value_kind:     by_value
      - .offset:         8
        .size:           8
        .value_kind:     by_value
      - .offset:         16
        .size:           4
        .value_kind:     by_value
      - .actual_access:  read_only
        .address_space:  global
        .offset:         24
        .size:           8
        .value_kind:     global_buffer
      - .actual_access:  read_only
        .address_space:  global
        .offset:         32
        .size:           8
        .value_kind:     global_buffer
      - .actual_access:  read_only
        .address_space:  global
        .offset:         40
        .size:           8
        .value_kind:     global_buffer
      - .actual_access:  read_only
        .address_space:  global
        .offset:         48
        .size:           8
        .value_kind:     global_buffer
      - .actual_access:  read_only
        .address_space:  global
        .offset:         56
        .size:           8
        .value_kind:     global_buffer
      - .actual_access:  read_only
        .address_space:  global
        .offset:         64
        .size:           8
        .value_kind:     global_buffer
      - .offset:         72
        .size:           8
        .value_kind:     by_value
      - .address_space:  global
        .offset:         80
        .size:           8
        .value_kind:     global_buffer
      - .offset:         88
        .size:           4
        .value_kind:     by_value
      - .offset:         92
        .size:           1
        .value_kind:     by_value
    .group_segment_fixed_size: 0
    .kernarg_segment_align: 8
    .kernarg_segment_size: 96
    .language:       OpenCL C
    .language_version:
      - 2
      - 0
    .max_flat_workgroup_size: 256
    .name:           _ZN9rocsparseL18bsrxmvn_3x3_kernelILj256ELj8EfliDF16_DF16_fEEvT3_20rocsparse_direction_NS_24const_host_device_scalarIT1_EES1_PKS1_PKT2_SA_S7_PKT4_PKT5_S5_PT6_21rocsparse_index_base_b
    .private_segment_fixed_size: 0
    .sgpr_count:     28
    .sgpr_spill_count: 0
    .symbol:         _ZN9rocsparseL18bsrxmvn_3x3_kernelILj256ELj8EfliDF16_DF16_fEEvT3_20rocsparse_direction_NS_24const_host_device_scalarIT1_EES1_PKS1_PKT2_SA_S7_PKT4_PKT5_S5_PT6_21rocsparse_index_base_b.kd
    .uniform_work_group_size: 1
    .uses_dynamic_stack: false
    .vgpr_count:     31
    .vgpr_spill_count: 0
    .wavefront_size: 64
  - .agpr_count:     0
    .args:
      - .offset:         0
        .size:           4
        .value_kind:     by_value
      - .offset:         4
        .size:           4
        .value_kind:     by_value
      - .offset:         8
        .size:           8
        .value_kind:     by_value
      - .offset:         16
        .size:           4
        .value_kind:     by_value
      - .actual_access:  read_only
        .address_space:  global
        .offset:         24
        .size:           8
        .value_kind:     global_buffer
      - .actual_access:  read_only
        .address_space:  global
        .offset:         32
        .size:           8
        .value_kind:     global_buffer
      - .actual_access:  read_only
        .address_space:  global
        .offset:         40
        .size:           8
        .value_kind:     global_buffer
      - .actual_access:  read_only
        .address_space:  global
        .offset:         48
        .size:           8
        .value_kind:     global_buffer
      - .actual_access:  read_only
        .address_space:  global
        .offset:         56
        .size:           8
        .value_kind:     global_buffer
      - .actual_access:  read_only
        .address_space:  global
        .offset:         64
        .size:           8
        .value_kind:     global_buffer
      - .offset:         72
        .size:           8
        .value_kind:     by_value
      - .address_space:  global
        .offset:         80
        .size:           8
        .value_kind:     global_buffer
      - .offset:         88
        .size:           4
        .value_kind:     by_value
      - .offset:         92
        .size:           1
        .value_kind:     by_value
    .group_segment_fixed_size: 0
    .kernarg_segment_align: 8
    .kernarg_segment_size: 96
    .language:       OpenCL C
    .language_version:
      - 2
      - 0
    .max_flat_workgroup_size: 256
    .name:           _ZN9rocsparseL18bsrxmvn_3x3_kernelILj256ELj16EfliDF16_DF16_fEEvT3_20rocsparse_direction_NS_24const_host_device_scalarIT1_EES1_PKS1_PKT2_SA_S7_PKT4_PKT5_S5_PT6_21rocsparse_index_base_b
    .private_segment_fixed_size: 0
    .sgpr_count:     26
    .sgpr_spill_count: 0
    .symbol:         _ZN9rocsparseL18bsrxmvn_3x3_kernelILj256ELj16EfliDF16_DF16_fEEvT3_20rocsparse_direction_NS_24const_host_device_scalarIT1_EES1_PKS1_PKT2_SA_S7_PKT4_PKT5_S5_PT6_21rocsparse_index_base_b.kd
    .uniform_work_group_size: 1
    .uses_dynamic_stack: false
    .vgpr_count:     31
    .vgpr_spill_count: 0
    .wavefront_size: 64
  - .agpr_count:     0
    .args:
      - .offset:         0
        .size:           4
        .value_kind:     by_value
      - .offset:         4
        .size:           4
        .value_kind:     by_value
      - .offset:         8
        .size:           8
        .value_kind:     by_value
      - .offset:         16
        .size:           4
        .value_kind:     by_value
      - .actual_access:  read_only
        .address_space:  global
        .offset:         24
        .size:           8
        .value_kind:     global_buffer
      - .actual_access:  read_only
        .address_space:  global
        .offset:         32
        .size:           8
        .value_kind:     global_buffer
      - .actual_access:  read_only
        .address_space:  global
        .offset:         40
        .size:           8
        .value_kind:     global_buffer
      - .actual_access:  read_only
        .address_space:  global
        .offset:         48
        .size:           8
        .value_kind:     global_buffer
      - .actual_access:  read_only
        .address_space:  global
        .offset:         56
        .size:           8
        .value_kind:     global_buffer
      - .actual_access:  read_only
        .address_space:  global
        .offset:         64
        .size:           8
        .value_kind:     global_buffer
      - .offset:         72
        .size:           8
        .value_kind:     by_value
      - .address_space:  global
        .offset:         80
        .size:           8
        .value_kind:     global_buffer
      - .offset:         88
        .size:           4
        .value_kind:     by_value
      - .offset:         92
        .size:           1
        .value_kind:     by_value
    .group_segment_fixed_size: 0
    .kernarg_segment_align: 8
    .kernarg_segment_size: 96
    .language:       OpenCL C
    .language_version:
      - 2
      - 0
    .max_flat_workgroup_size: 256
    .name:           _ZN9rocsparseL18bsrxmvn_3x3_kernelILj256ELj32EfliDF16_DF16_fEEvT3_20rocsparse_direction_NS_24const_host_device_scalarIT1_EES1_PKS1_PKT2_SA_S7_PKT4_PKT5_S5_PT6_21rocsparse_index_base_b
    .private_segment_fixed_size: 0
    .sgpr_count:     28
    .sgpr_spill_count: 0
    .symbol:         _ZN9rocsparseL18bsrxmvn_3x3_kernelILj256ELj32EfliDF16_DF16_fEEvT3_20rocsparse_direction_NS_24const_host_device_scalarIT1_EES1_PKS1_PKT2_SA_S7_PKT4_PKT5_S5_PT6_21rocsparse_index_base_b.kd
    .uniform_work_group_size: 1
    .uses_dynamic_stack: false
    .vgpr_count:     31
    .vgpr_spill_count: 0
    .wavefront_size: 64
  - .agpr_count:     0
    .args:
      - .offset:         0
        .size:           4
        .value_kind:     by_value
      - .offset:         4
        .size:           4
        .value_kind:     by_value
      - .offset:         8
        .size:           8
        .value_kind:     by_value
      - .offset:         16
        .size:           4
        .value_kind:     by_value
      - .actual_access:  read_only
        .address_space:  global
        .offset:         24
        .size:           8
        .value_kind:     global_buffer
      - .actual_access:  read_only
        .address_space:  global
        .offset:         32
        .size:           8
        .value_kind:     global_buffer
      - .actual_access:  read_only
        .address_space:  global
        .offset:         40
        .size:           8
        .value_kind:     global_buffer
      - .actual_access:  read_only
        .address_space:  global
        .offset:         48
        .size:           8
        .value_kind:     global_buffer
      - .actual_access:  read_only
        .address_space:  global
        .offset:         56
        .size:           8
        .value_kind:     global_buffer
      - .actual_access:  read_only
        .address_space:  global
        .offset:         64
        .size:           8
        .value_kind:     global_buffer
      - .offset:         72
        .size:           8
        .value_kind:     by_value
      - .address_space:  global
        .offset:         80
        .size:           8
        .value_kind:     global_buffer
      - .offset:         88
        .size:           4
        .value_kind:     by_value
      - .offset:         92
        .size:           1
        .value_kind:     by_value
    .group_segment_fixed_size: 0
    .kernarg_segment_align: 8
    .kernarg_segment_size: 96
    .language:       OpenCL C
    .language_version:
      - 2
      - 0
    .max_flat_workgroup_size: 256
    .name:           _ZN9rocsparseL18bsrxmvn_3x3_kernelILj256ELj64EfliDF16_DF16_fEEvT3_20rocsparse_direction_NS_24const_host_device_scalarIT1_EES1_PKS1_PKT2_SA_S7_PKT4_PKT5_S5_PT6_21rocsparse_index_base_b
    .private_segment_fixed_size: 0
    .sgpr_count:     28
    .sgpr_spill_count: 0
    .symbol:         _ZN9rocsparseL18bsrxmvn_3x3_kernelILj256ELj64EfliDF16_DF16_fEEvT3_20rocsparse_direction_NS_24const_host_device_scalarIT1_EES1_PKS1_PKT2_SA_S7_PKT4_PKT5_S5_PT6_21rocsparse_index_base_b.kd
    .uniform_work_group_size: 1
    .uses_dynamic_stack: false
    .vgpr_count:     31
    .vgpr_spill_count: 0
    .wavefront_size: 64
  - .agpr_count:     0
    .args:
      - .offset:         0
        .size:           8
        .value_kind:     by_value
      - .offset:         8
        .size:           4
        .value_kind:     by_value
      - .offset:         16
        .size:           8
        .value_kind:     by_value
      - .offset:         24
        .size:           8
        .value_kind:     by_value
      - .actual_access:  read_only
        .address_space:  global
        .offset:         32
        .size:           8
        .value_kind:     global_buffer
      - .actual_access:  read_only
        .address_space:  global
        .offset:         40
        .size:           8
        .value_kind:     global_buffer
      - .actual_access:  read_only
        .address_space:  global
        .offset:         48
        .size:           8
        .value_kind:     global_buffer
      - .actual_access:  read_only
        .address_space:  global
        .offset:         56
        .size:           8
        .value_kind:     global_buffer
      - .actual_access:  read_only
        .address_space:  global
        .offset:         64
        .size:           8
        .value_kind:     global_buffer
      - .actual_access:  read_only
        .address_space:  global
        .offset:         72
        .size:           8
        .value_kind:     global_buffer
      - .offset:         80
        .size:           8
        .value_kind:     by_value
      - .address_space:  global
        .offset:         88
        .size:           8
        .value_kind:     global_buffer
      - .offset:         96
        .size:           4
        .value_kind:     by_value
      - .offset:         100
        .size:           1
        .value_kind:     by_value
    .group_segment_fixed_size: 0
    .kernarg_segment_align: 8
    .kernarg_segment_size: 104
    .language:       OpenCL C
    .language_version:
      - 2
      - 0
    .max_flat_workgroup_size: 256
    .name:           _ZN9rocsparseL18bsrxmvn_3x3_kernelILj256ELj4EfllDF16_DF16_fEEvT3_20rocsparse_direction_NS_24const_host_device_scalarIT1_EES1_PKS1_PKT2_SA_S7_PKT4_PKT5_S5_PT6_21rocsparse_index_base_b
    .private_segment_fixed_size: 0
    .sgpr_count:     32
    .sgpr_spill_count: 0
    .symbol:         _ZN9rocsparseL18bsrxmvn_3x3_kernelILj256ELj4EfllDF16_DF16_fEEvT3_20rocsparse_direction_NS_24const_host_device_scalarIT1_EES1_PKS1_PKT2_SA_S7_PKT4_PKT5_S5_PT6_21rocsparse_index_base_b.kd
    .uniform_work_group_size: 1
    .uses_dynamic_stack: false
    .vgpr_count:     33
    .vgpr_spill_count: 0
    .wavefront_size: 64
  - .agpr_count:     0
    .args:
      - .offset:         0
        .size:           8
        .value_kind:     by_value
      - .offset:         8
        .size:           4
        .value_kind:     by_value
      - .offset:         16
        .size:           8
        .value_kind:     by_value
      - .offset:         24
        .size:           8
        .value_kind:     by_value
      - .actual_access:  read_only
        .address_space:  global
        .offset:         32
        .size:           8
        .value_kind:     global_buffer
      - .actual_access:  read_only
        .address_space:  global
        .offset:         40
        .size:           8
        .value_kind:     global_buffer
      - .actual_access:  read_only
        .address_space:  global
        .offset:         48
        .size:           8
        .value_kind:     global_buffer
      - .actual_access:  read_only
        .address_space:  global
        .offset:         56
        .size:           8
        .value_kind:     global_buffer
      - .actual_access:  read_only
        .address_space:  global
        .offset:         64
        .size:           8
        .value_kind:     global_buffer
      - .actual_access:  read_only
        .address_space:  global
        .offset:         72
        .size:           8
        .value_kind:     global_buffer
      - .offset:         80
        .size:           8
        .value_kind:     by_value
      - .address_space:  global
        .offset:         88
        .size:           8
        .value_kind:     global_buffer
      - .offset:         96
        .size:           4
        .value_kind:     by_value
      - .offset:         100
        .size:           1
        .value_kind:     by_value
    .group_segment_fixed_size: 0
    .kernarg_segment_align: 8
    .kernarg_segment_size: 104
    .language:       OpenCL C
    .language_version:
      - 2
      - 0
    .max_flat_workgroup_size: 256
    .name:           _ZN9rocsparseL18bsrxmvn_3x3_kernelILj256ELj8EfllDF16_DF16_fEEvT3_20rocsparse_direction_NS_24const_host_device_scalarIT1_EES1_PKS1_PKT2_SA_S7_PKT4_PKT5_S5_PT6_21rocsparse_index_base_b
    .private_segment_fixed_size: 0
    .sgpr_count:     32
    .sgpr_spill_count: 0
    .symbol:         _ZN9rocsparseL18bsrxmvn_3x3_kernelILj256ELj8EfllDF16_DF16_fEEvT3_20rocsparse_direction_NS_24const_host_device_scalarIT1_EES1_PKS1_PKT2_SA_S7_PKT4_PKT5_S5_PT6_21rocsparse_index_base_b.kd
    .uniform_work_group_size: 1
    .uses_dynamic_stack: false
    .vgpr_count:     33
    .vgpr_spill_count: 0
    .wavefront_size: 64
  - .agpr_count:     0
    .args:
      - .offset:         0
        .size:           8
        .value_kind:     by_value
      - .offset:         8
        .size:           4
        .value_kind:     by_value
      - .offset:         16
        .size:           8
        .value_kind:     by_value
      - .offset:         24
        .size:           8
        .value_kind:     by_value
      - .actual_access:  read_only
        .address_space:  global
        .offset:         32
        .size:           8
        .value_kind:     global_buffer
      - .actual_access:  read_only
        .address_space:  global
        .offset:         40
        .size:           8
        .value_kind:     global_buffer
      - .actual_access:  read_only
        .address_space:  global
        .offset:         48
        .size:           8
        .value_kind:     global_buffer
      - .actual_access:  read_only
        .address_space:  global
        .offset:         56
        .size:           8
        .value_kind:     global_buffer
      - .actual_access:  read_only
        .address_space:  global
        .offset:         64
        .size:           8
        .value_kind:     global_buffer
      - .actual_access:  read_only
        .address_space:  global
        .offset:         72
        .size:           8
        .value_kind:     global_buffer
      - .offset:         80
        .size:           8
        .value_kind:     by_value
      - .address_space:  global
        .offset:         88
        .size:           8
        .value_kind:     global_buffer
      - .offset:         96
        .size:           4
        .value_kind:     by_value
      - .offset:         100
        .size:           1
        .value_kind:     by_value
    .group_segment_fixed_size: 0
    .kernarg_segment_align: 8
    .kernarg_segment_size: 104
    .language:       OpenCL C
    .language_version:
      - 2
      - 0
    .max_flat_workgroup_size: 256
    .name:           _ZN9rocsparseL18bsrxmvn_3x3_kernelILj256ELj16EfllDF16_DF16_fEEvT3_20rocsparse_direction_NS_24const_host_device_scalarIT1_EES1_PKS1_PKT2_SA_S7_PKT4_PKT5_S5_PT6_21rocsparse_index_base_b
    .private_segment_fixed_size: 0
    .sgpr_count:     32
    .sgpr_spill_count: 0
    .symbol:         _ZN9rocsparseL18bsrxmvn_3x3_kernelILj256ELj16EfllDF16_DF16_fEEvT3_20rocsparse_direction_NS_24const_host_device_scalarIT1_EES1_PKS1_PKT2_SA_S7_PKT4_PKT5_S5_PT6_21rocsparse_index_base_b.kd
    .uniform_work_group_size: 1
    .uses_dynamic_stack: false
    .vgpr_count:     33
    .vgpr_spill_count: 0
    .wavefront_size: 64
  - .agpr_count:     0
    .args:
      - .offset:         0
        .size:           8
        .value_kind:     by_value
      - .offset:         8
        .size:           4
        .value_kind:     by_value
      - .offset:         16
        .size:           8
        .value_kind:     by_value
      - .offset:         24
        .size:           8
        .value_kind:     by_value
      - .actual_access:  read_only
        .address_space:  global
        .offset:         32
        .size:           8
        .value_kind:     global_buffer
      - .actual_access:  read_only
        .address_space:  global
        .offset:         40
        .size:           8
        .value_kind:     global_buffer
      - .actual_access:  read_only
        .address_space:  global
        .offset:         48
        .size:           8
        .value_kind:     global_buffer
      - .actual_access:  read_only
        .address_space:  global
        .offset:         56
        .size:           8
        .value_kind:     global_buffer
      - .actual_access:  read_only
        .address_space:  global
        .offset:         64
        .size:           8
        .value_kind:     global_buffer
      - .actual_access:  read_only
        .address_space:  global
        .offset:         72
        .size:           8
        .value_kind:     global_buffer
      - .offset:         80
        .size:           8
        .value_kind:     by_value
      - .address_space:  global
        .offset:         88
        .size:           8
        .value_kind:     global_buffer
      - .offset:         96
        .size:           4
        .value_kind:     by_value
      - .offset:         100
        .size:           1
        .value_kind:     by_value
    .group_segment_fixed_size: 0
    .kernarg_segment_align: 8
    .kernarg_segment_size: 104
    .language:       OpenCL C
    .language_version:
      - 2
      - 0
    .max_flat_workgroup_size: 256
    .name:           _ZN9rocsparseL18bsrxmvn_3x3_kernelILj256ELj32EfllDF16_DF16_fEEvT3_20rocsparse_direction_NS_24const_host_device_scalarIT1_EES1_PKS1_PKT2_SA_S7_PKT4_PKT5_S5_PT6_21rocsparse_index_base_b
    .private_segment_fixed_size: 0
    .sgpr_count:     32
    .sgpr_spill_count: 0
    .symbol:         _ZN9rocsparseL18bsrxmvn_3x3_kernelILj256ELj32EfllDF16_DF16_fEEvT3_20rocsparse_direction_NS_24const_host_device_scalarIT1_EES1_PKS1_PKT2_SA_S7_PKT4_PKT5_S5_PT6_21rocsparse_index_base_b.kd
    .uniform_work_group_size: 1
    .uses_dynamic_stack: false
    .vgpr_count:     33
    .vgpr_spill_count: 0
    .wavefront_size: 64
  - .agpr_count:     0
    .args:
      - .offset:         0
        .size:           8
        .value_kind:     by_value
      - .offset:         8
        .size:           4
        .value_kind:     by_value
      - .offset:         16
        .size:           8
        .value_kind:     by_value
      - .offset:         24
        .size:           8
        .value_kind:     by_value
      - .actual_access:  read_only
        .address_space:  global
        .offset:         32
        .size:           8
        .value_kind:     global_buffer
      - .actual_access:  read_only
        .address_space:  global
        .offset:         40
        .size:           8
        .value_kind:     global_buffer
      - .actual_access:  read_only
        .address_space:  global
        .offset:         48
        .size:           8
        .value_kind:     global_buffer
      - .actual_access:  read_only
        .address_space:  global
        .offset:         56
        .size:           8
        .value_kind:     global_buffer
      - .actual_access:  read_only
        .address_space:  global
        .offset:         64
        .size:           8
        .value_kind:     global_buffer
      - .actual_access:  read_only
        .address_space:  global
        .offset:         72
        .size:           8
        .value_kind:     global_buffer
      - .offset:         80
        .size:           8
        .value_kind:     by_value
      - .address_space:  global
        .offset:         88
        .size:           8
        .value_kind:     global_buffer
      - .offset:         96
        .size:           4
        .value_kind:     by_value
      - .offset:         100
        .size:           1
        .value_kind:     by_value
    .group_segment_fixed_size: 0
    .kernarg_segment_align: 8
    .kernarg_segment_size: 104
    .language:       OpenCL C
    .language_version:
      - 2
      - 0
    .max_flat_workgroup_size: 256
    .name:           _ZN9rocsparseL18bsrxmvn_3x3_kernelILj256ELj64EfllDF16_DF16_fEEvT3_20rocsparse_direction_NS_24const_host_device_scalarIT1_EES1_PKS1_PKT2_SA_S7_PKT4_PKT5_S5_PT6_21rocsparse_index_base_b
    .private_segment_fixed_size: 0
    .sgpr_count:     32
    .sgpr_spill_count: 0
    .symbol:         _ZN9rocsparseL18bsrxmvn_3x3_kernelILj256ELj64EfllDF16_DF16_fEEvT3_20rocsparse_direction_NS_24const_host_device_scalarIT1_EES1_PKS1_PKT2_SA_S7_PKT4_PKT5_S5_PT6_21rocsparse_index_base_b.kd
    .uniform_work_group_size: 1
    .uses_dynamic_stack: false
    .vgpr_count:     33
    .vgpr_spill_count: 0
    .wavefront_size: 64
  - .agpr_count:     0
    .args:
      - .offset:         0
        .size:           4
        .value_kind:     by_value
      - .offset:         4
        .size:           4
        .value_kind:     by_value
      - .offset:         8
        .size:           8
        .value_kind:     by_value
      - .offset:         16
        .size:           4
        .value_kind:     by_value
      - .actual_access:  read_only
        .address_space:  global
        .offset:         24
        .size:           8
        .value_kind:     global_buffer
      - .actual_access:  read_only
        .address_space:  global
        .offset:         32
        .size:           8
        .value_kind:     global_buffer
      - .actual_access:  read_only
        .address_space:  global
        .offset:         40
        .size:           8
        .value_kind:     global_buffer
      - .actual_access:  read_only
        .address_space:  global
        .offset:         48
        .size:           8
        .value_kind:     global_buffer
      - .actual_access:  read_only
        .address_space:  global
        .offset:         56
        .size:           8
        .value_kind:     global_buffer
      - .actual_access:  read_only
        .address_space:  global
        .offset:         64
        .size:           8
        .value_kind:     global_buffer
      - .offset:         72
        .size:           8
        .value_kind:     by_value
      - .address_space:  global
        .offset:         80
        .size:           8
        .value_kind:     global_buffer
      - .offset:         88
        .size:           4
        .value_kind:     by_value
      - .offset:         92
        .size:           1
        .value_kind:     by_value
    .group_segment_fixed_size: 0
    .kernarg_segment_align: 8
    .kernarg_segment_size: 96
    .language:       OpenCL C
    .language_version:
      - 2
      - 0
    .max_flat_workgroup_size: 256
    .name:           _ZN9rocsparseL18bsrxmvn_3x3_kernelILj256ELj4Efii18rocsparse_bfloat16S1_fEEvT3_20rocsparse_direction_NS_24const_host_device_scalarIT1_EES2_PKS2_PKT2_SB_S8_PKT4_PKT5_S6_PT6_21rocsparse_index_base_b
    .private_segment_fixed_size: 0
    .sgpr_count:     26
    .sgpr_spill_count: 0
    .symbol:         _ZN9rocsparseL18bsrxmvn_3x3_kernelILj256ELj4Efii18rocsparse_bfloat16S1_fEEvT3_20rocsparse_direction_NS_24const_host_device_scalarIT1_EES2_PKS2_PKT2_SB_S8_PKT4_PKT5_S6_PT6_21rocsparse_index_base_b.kd
    .uniform_work_group_size: 1
    .uses_dynamic_stack: false
    .vgpr_count:     26
    .vgpr_spill_count: 0
    .wavefront_size: 64
  - .agpr_count:     0
    .args:
      - .offset:         0
        .size:           4
        .value_kind:     by_value
      - .offset:         4
        .size:           4
        .value_kind:     by_value
      - .offset:         8
        .size:           8
        .value_kind:     by_value
      - .offset:         16
        .size:           4
        .value_kind:     by_value
      - .actual_access:  read_only
        .address_space:  global
        .offset:         24
        .size:           8
        .value_kind:     global_buffer
      - .actual_access:  read_only
        .address_space:  global
        .offset:         32
        .size:           8
        .value_kind:     global_buffer
      - .actual_access:  read_only
        .address_space:  global
        .offset:         40
        .size:           8
        .value_kind:     global_buffer
      - .actual_access:  read_only
        .address_space:  global
        .offset:         48
        .size:           8
        .value_kind:     global_buffer
      - .actual_access:  read_only
        .address_space:  global
        .offset:         56
        .size:           8
        .value_kind:     global_buffer
      - .actual_access:  read_only
        .address_space:  global
        .offset:         64
        .size:           8
        .value_kind:     global_buffer
      - .offset:         72
        .size:           8
        .value_kind:     by_value
      - .address_space:  global
        .offset:         80
        .size:           8
        .value_kind:     global_buffer
      - .offset:         88
        .size:           4
        .value_kind:     by_value
      - .offset:         92
        .size:           1
        .value_kind:     by_value
    .group_segment_fixed_size: 0
    .kernarg_segment_align: 8
    .kernarg_segment_size: 96
    .language:       OpenCL C
    .language_version:
      - 2
      - 0
    .max_flat_workgroup_size: 256
    .name:           _ZN9rocsparseL18bsrxmvn_3x3_kernelILj256ELj8Efii18rocsparse_bfloat16S1_fEEvT3_20rocsparse_direction_NS_24const_host_device_scalarIT1_EES2_PKS2_PKT2_SB_S8_PKT4_PKT5_S6_PT6_21rocsparse_index_base_b
    .private_segment_fixed_size: 0
    .sgpr_count:     26
    .sgpr_spill_count: 0
    .symbol:         _ZN9rocsparseL18bsrxmvn_3x3_kernelILj256ELj8Efii18rocsparse_bfloat16S1_fEEvT3_20rocsparse_direction_NS_24const_host_device_scalarIT1_EES2_PKS2_PKT2_SB_S8_PKT4_PKT5_S6_PT6_21rocsparse_index_base_b.kd
    .uniform_work_group_size: 1
    .uses_dynamic_stack: false
    .vgpr_count:     26
    .vgpr_spill_count: 0
    .wavefront_size: 64
  - .agpr_count:     0
    .args:
      - .offset:         0
        .size:           4
        .value_kind:     by_value
      - .offset:         4
        .size:           4
        .value_kind:     by_value
      - .offset:         8
        .size:           8
        .value_kind:     by_value
      - .offset:         16
        .size:           4
        .value_kind:     by_value
      - .actual_access:  read_only
        .address_space:  global
        .offset:         24
        .size:           8
        .value_kind:     global_buffer
      - .actual_access:  read_only
        .address_space:  global
        .offset:         32
        .size:           8
        .value_kind:     global_buffer
      - .actual_access:  read_only
        .address_space:  global
        .offset:         40
        .size:           8
        .value_kind:     global_buffer
      - .actual_access:  read_only
        .address_space:  global
        .offset:         48
        .size:           8
        .value_kind:     global_buffer
      - .actual_access:  read_only
        .address_space:  global
        .offset:         56
        .size:           8
        .value_kind:     global_buffer
      - .actual_access:  read_only
        .address_space:  global
        .offset:         64
        .size:           8
        .value_kind:     global_buffer
      - .offset:         72
        .size:           8
        .value_kind:     by_value
      - .address_space:  global
        .offset:         80
        .size:           8
        .value_kind:     global_buffer
      - .offset:         88
        .size:           4
        .value_kind:     by_value
      - .offset:         92
        .size:           1
        .value_kind:     by_value
    .group_segment_fixed_size: 0
    .kernarg_segment_align: 8
    .kernarg_segment_size: 96
    .language:       OpenCL C
    .language_version:
      - 2
      - 0
    .max_flat_workgroup_size: 256
    .name:           _ZN9rocsparseL18bsrxmvn_3x3_kernelILj256ELj16Efii18rocsparse_bfloat16S1_fEEvT3_20rocsparse_direction_NS_24const_host_device_scalarIT1_EES2_PKS2_PKT2_SB_S8_PKT4_PKT5_S6_PT6_21rocsparse_index_base_b
    .private_segment_fixed_size: 0
    .sgpr_count:     26
    .sgpr_spill_count: 0
    .symbol:         _ZN9rocsparseL18bsrxmvn_3x3_kernelILj256ELj16Efii18rocsparse_bfloat16S1_fEEvT3_20rocsparse_direction_NS_24const_host_device_scalarIT1_EES2_PKS2_PKT2_SB_S8_PKT4_PKT5_S6_PT6_21rocsparse_index_base_b.kd
    .uniform_work_group_size: 1
    .uses_dynamic_stack: false
    .vgpr_count:     26
    .vgpr_spill_count: 0
    .wavefront_size: 64
  - .agpr_count:     0
    .args:
      - .offset:         0
        .size:           4
        .value_kind:     by_value
      - .offset:         4
        .size:           4
        .value_kind:     by_value
      - .offset:         8
        .size:           8
        .value_kind:     by_value
      - .offset:         16
        .size:           4
        .value_kind:     by_value
      - .actual_access:  read_only
        .address_space:  global
        .offset:         24
        .size:           8
        .value_kind:     global_buffer
      - .actual_access:  read_only
        .address_space:  global
        .offset:         32
        .size:           8
        .value_kind:     global_buffer
      - .actual_access:  read_only
        .address_space:  global
        .offset:         40
        .size:           8
        .value_kind:     global_buffer
      - .actual_access:  read_only
        .address_space:  global
        .offset:         48
        .size:           8
        .value_kind:     global_buffer
      - .actual_access:  read_only
        .address_space:  global
        .offset:         56
        .size:           8
        .value_kind:     global_buffer
      - .actual_access:  read_only
        .address_space:  global
        .offset:         64
        .size:           8
        .value_kind:     global_buffer
      - .offset:         72
        .size:           8
        .value_kind:     by_value
      - .address_space:  global
        .offset:         80
        .size:           8
        .value_kind:     global_buffer
      - .offset:         88
        .size:           4
        .value_kind:     by_value
      - .offset:         92
        .size:           1
        .value_kind:     by_value
    .group_segment_fixed_size: 0
    .kernarg_segment_align: 8
    .kernarg_segment_size: 96
    .language:       OpenCL C
    .language_version:
      - 2
      - 0
    .max_flat_workgroup_size: 256
    .name:           _ZN9rocsparseL18bsrxmvn_3x3_kernelILj256ELj32Efii18rocsparse_bfloat16S1_fEEvT3_20rocsparse_direction_NS_24const_host_device_scalarIT1_EES2_PKS2_PKT2_SB_S8_PKT4_PKT5_S6_PT6_21rocsparse_index_base_b
    .private_segment_fixed_size: 0
    .sgpr_count:     26
    .sgpr_spill_count: 0
    .symbol:         _ZN9rocsparseL18bsrxmvn_3x3_kernelILj256ELj32Efii18rocsparse_bfloat16S1_fEEvT3_20rocsparse_direction_NS_24const_host_device_scalarIT1_EES2_PKS2_PKT2_SB_S8_PKT4_PKT5_S6_PT6_21rocsparse_index_base_b.kd
    .uniform_work_group_size: 1
    .uses_dynamic_stack: false
    .vgpr_count:     26
    .vgpr_spill_count: 0
    .wavefront_size: 64
  - .agpr_count:     0
    .args:
      - .offset:         0
        .size:           4
        .value_kind:     by_value
      - .offset:         4
        .size:           4
        .value_kind:     by_value
      - .offset:         8
        .size:           8
        .value_kind:     by_value
      - .offset:         16
        .size:           4
        .value_kind:     by_value
      - .actual_access:  read_only
        .address_space:  global
        .offset:         24
        .size:           8
        .value_kind:     global_buffer
      - .actual_access:  read_only
        .address_space:  global
        .offset:         32
        .size:           8
        .value_kind:     global_buffer
      - .actual_access:  read_only
        .address_space:  global
        .offset:         40
        .size:           8
        .value_kind:     global_buffer
      - .actual_access:  read_only
        .address_space:  global
        .offset:         48
        .size:           8
        .value_kind:     global_buffer
      - .actual_access:  read_only
        .address_space:  global
        .offset:         56
        .size:           8
        .value_kind:     global_buffer
      - .actual_access:  read_only
        .address_space:  global
        .offset:         64
        .size:           8
        .value_kind:     global_buffer
      - .offset:         72
        .size:           8
        .value_kind:     by_value
      - .address_space:  global
        .offset:         80
        .size:           8
        .value_kind:     global_buffer
      - .offset:         88
        .size:           4
        .value_kind:     by_value
      - .offset:         92
        .size:           1
        .value_kind:     by_value
    .group_segment_fixed_size: 0
    .kernarg_segment_align: 8
    .kernarg_segment_size: 96
    .language:       OpenCL C
    .language_version:
      - 2
      - 0
    .max_flat_workgroup_size: 256
    .name:           _ZN9rocsparseL18bsrxmvn_3x3_kernelILj256ELj64Efii18rocsparse_bfloat16S1_fEEvT3_20rocsparse_direction_NS_24const_host_device_scalarIT1_EES2_PKS2_PKT2_SB_S8_PKT4_PKT5_S6_PT6_21rocsparse_index_base_b
    .private_segment_fixed_size: 0
    .sgpr_count:     26
    .sgpr_spill_count: 0
    .symbol:         _ZN9rocsparseL18bsrxmvn_3x3_kernelILj256ELj64Efii18rocsparse_bfloat16S1_fEEvT3_20rocsparse_direction_NS_24const_host_device_scalarIT1_EES2_PKS2_PKT2_SB_S8_PKT4_PKT5_S6_PT6_21rocsparse_index_base_b.kd
    .uniform_work_group_size: 1
    .uses_dynamic_stack: false
    .vgpr_count:     26
    .vgpr_spill_count: 0
    .wavefront_size: 64
  - .agpr_count:     0
    .args:
      - .offset:         0
        .size:           4
        .value_kind:     by_value
      - .offset:         4
        .size:           4
        .value_kind:     by_value
      - .offset:         8
        .size:           8
        .value_kind:     by_value
      - .offset:         16
        .size:           4
        .value_kind:     by_value
      - .actual_access:  read_only
        .address_space:  global
        .offset:         24
        .size:           8
        .value_kind:     global_buffer
      - .actual_access:  read_only
        .address_space:  global
        .offset:         32
        .size:           8
        .value_kind:     global_buffer
      - .actual_access:  read_only
        .address_space:  global
        .offset:         40
        .size:           8
        .value_kind:     global_buffer
      - .actual_access:  read_only
        .address_space:  global
        .offset:         48
        .size:           8
        .value_kind:     global_buffer
      - .actual_access:  read_only
        .address_space:  global
        .offset:         56
        .size:           8
        .value_kind:     global_buffer
      - .actual_access:  read_only
        .address_space:  global
        .offset:         64
        .size:           8
        .value_kind:     global_buffer
      - .offset:         72
        .size:           8
        .value_kind:     by_value
      - .address_space:  global
        .offset:         80
        .size:           8
        .value_kind:     global_buffer
      - .offset:         88
        .size:           4
        .value_kind:     by_value
      - .offset:         92
        .size:           1
        .value_kind:     by_value
    .group_segment_fixed_size: 0
    .kernarg_segment_align: 8
    .kernarg_segment_size: 96
    .language:       OpenCL C
    .language_version:
      - 2
      - 0
    .max_flat_workgroup_size: 256
    .name:           _ZN9rocsparseL18bsrxmvn_3x3_kernelILj256ELj4Efli18rocsparse_bfloat16S1_fEEvT3_20rocsparse_direction_NS_24const_host_device_scalarIT1_EES2_PKS2_PKT2_SB_S8_PKT4_PKT5_S6_PT6_21rocsparse_index_base_b
    .private_segment_fixed_size: 0
    .sgpr_count:     26
    .sgpr_spill_count: 0
    .symbol:         _ZN9rocsparseL18bsrxmvn_3x3_kernelILj256ELj4Efli18rocsparse_bfloat16S1_fEEvT3_20rocsparse_direction_NS_24const_host_device_scalarIT1_EES2_PKS2_PKT2_SB_S8_PKT4_PKT5_S6_PT6_21rocsparse_index_base_b.kd
    .uniform_work_group_size: 1
    .uses_dynamic_stack: false
    .vgpr_count:     31
    .vgpr_spill_count: 0
    .wavefront_size: 64
  - .agpr_count:     0
    .args:
      - .offset:         0
        .size:           4
        .value_kind:     by_value
      - .offset:         4
        .size:           4
        .value_kind:     by_value
      - .offset:         8
        .size:           8
        .value_kind:     by_value
      - .offset:         16
        .size:           4
        .value_kind:     by_value
      - .actual_access:  read_only
        .address_space:  global
        .offset:         24
        .size:           8
        .value_kind:     global_buffer
      - .actual_access:  read_only
        .address_space:  global
        .offset:         32
        .size:           8
        .value_kind:     global_buffer
      - .actual_access:  read_only
        .address_space:  global
        .offset:         40
        .size:           8
        .value_kind:     global_buffer
      - .actual_access:  read_only
        .address_space:  global
        .offset:         48
        .size:           8
        .value_kind:     global_buffer
      - .actual_access:  read_only
        .address_space:  global
        .offset:         56
        .size:           8
        .value_kind:     global_buffer
      - .actual_access:  read_only
        .address_space:  global
        .offset:         64
        .size:           8
        .value_kind:     global_buffer
      - .offset:         72
        .size:           8
        .value_kind:     by_value
      - .address_space:  global
        .offset:         80
        .size:           8
        .value_kind:     global_buffer
      - .offset:         88
        .size:           4
        .value_kind:     by_value
      - .offset:         92
        .size:           1
        .value_kind:     by_value
    .group_segment_fixed_size: 0
    .kernarg_segment_align: 8
    .kernarg_segment_size: 96
    .language:       OpenCL C
    .language_version:
      - 2
      - 0
    .max_flat_workgroup_size: 256
    .name:           _ZN9rocsparseL18bsrxmvn_3x3_kernelILj256ELj8Efli18rocsparse_bfloat16S1_fEEvT3_20rocsparse_direction_NS_24const_host_device_scalarIT1_EES2_PKS2_PKT2_SB_S8_PKT4_PKT5_S6_PT6_21rocsparse_index_base_b
    .private_segment_fixed_size: 0
    .sgpr_count:     26
    .sgpr_spill_count: 0
    .symbol:         _ZN9rocsparseL18bsrxmvn_3x3_kernelILj256ELj8Efli18rocsparse_bfloat16S1_fEEvT3_20rocsparse_direction_NS_24const_host_device_scalarIT1_EES2_PKS2_PKT2_SB_S8_PKT4_PKT5_S6_PT6_21rocsparse_index_base_b.kd
    .uniform_work_group_size: 1
    .uses_dynamic_stack: false
    .vgpr_count:     31
    .vgpr_spill_count: 0
    .wavefront_size: 64
  - .agpr_count:     0
    .args:
      - .offset:         0
        .size:           4
        .value_kind:     by_value
      - .offset:         4
        .size:           4
        .value_kind:     by_value
      - .offset:         8
        .size:           8
        .value_kind:     by_value
      - .offset:         16
        .size:           4
        .value_kind:     by_value
      - .actual_access:  read_only
        .address_space:  global
        .offset:         24
        .size:           8
        .value_kind:     global_buffer
      - .actual_access:  read_only
        .address_space:  global
        .offset:         32
        .size:           8
        .value_kind:     global_buffer
      - .actual_access:  read_only
        .address_space:  global
        .offset:         40
        .size:           8
        .value_kind:     global_buffer
      - .actual_access:  read_only
        .address_space:  global
        .offset:         48
        .size:           8
        .value_kind:     global_buffer
      - .actual_access:  read_only
        .address_space:  global
        .offset:         56
        .size:           8
        .value_kind:     global_buffer
      - .actual_access:  read_only
        .address_space:  global
        .offset:         64
        .size:           8
        .value_kind:     global_buffer
      - .offset:         72
        .size:           8
        .value_kind:     by_value
      - .address_space:  global
        .offset:         80
        .size:           8
        .value_kind:     global_buffer
      - .offset:         88
        .size:           4
        .value_kind:     by_value
      - .offset:         92
        .size:           1
        .value_kind:     by_value
    .group_segment_fixed_size: 0
    .kernarg_segment_align: 8
    .kernarg_segment_size: 96
    .language:       OpenCL C
    .language_version:
      - 2
      - 0
    .max_flat_workgroup_size: 256
    .name:           _ZN9rocsparseL18bsrxmvn_3x3_kernelILj256ELj16Efli18rocsparse_bfloat16S1_fEEvT3_20rocsparse_direction_NS_24const_host_device_scalarIT1_EES2_PKS2_PKT2_SB_S8_PKT4_PKT5_S6_PT6_21rocsparse_index_base_b
    .private_segment_fixed_size: 0
    .sgpr_count:     26
    .sgpr_spill_count: 0
    .symbol:         _ZN9rocsparseL18bsrxmvn_3x3_kernelILj256ELj16Efli18rocsparse_bfloat16S1_fEEvT3_20rocsparse_direction_NS_24const_host_device_scalarIT1_EES2_PKS2_PKT2_SB_S8_PKT4_PKT5_S6_PT6_21rocsparse_index_base_b.kd
    .uniform_work_group_size: 1
    .uses_dynamic_stack: false
    .vgpr_count:     31
    .vgpr_spill_count: 0
    .wavefront_size: 64
  - .agpr_count:     0
    .args:
      - .offset:         0
        .size:           4
        .value_kind:     by_value
      - .offset:         4
        .size:           4
        .value_kind:     by_value
      - .offset:         8
        .size:           8
        .value_kind:     by_value
      - .offset:         16
        .size:           4
        .value_kind:     by_value
      - .actual_access:  read_only
        .address_space:  global
        .offset:         24
        .size:           8
        .value_kind:     global_buffer
      - .actual_access:  read_only
        .address_space:  global
        .offset:         32
        .size:           8
        .value_kind:     global_buffer
      - .actual_access:  read_only
        .address_space:  global
        .offset:         40
        .size:           8
        .value_kind:     global_buffer
      - .actual_access:  read_only
        .address_space:  global
        .offset:         48
        .size:           8
        .value_kind:     global_buffer
      - .actual_access:  read_only
        .address_space:  global
        .offset:         56
        .size:           8
        .value_kind:     global_buffer
      - .actual_access:  read_only
        .address_space:  global
        .offset:         64
        .size:           8
        .value_kind:     global_buffer
      - .offset:         72
        .size:           8
        .value_kind:     by_value
      - .address_space:  global
        .offset:         80
        .size:           8
        .value_kind:     global_buffer
      - .offset:         88
        .size:           4
        .value_kind:     by_value
      - .offset:         92
        .size:           1
        .value_kind:     by_value
    .group_segment_fixed_size: 0
    .kernarg_segment_align: 8
    .kernarg_segment_size: 96
    .language:       OpenCL C
    .language_version:
      - 2
      - 0
    .max_flat_workgroup_size: 256
    .name:           _ZN9rocsparseL18bsrxmvn_3x3_kernelILj256ELj32Efli18rocsparse_bfloat16S1_fEEvT3_20rocsparse_direction_NS_24const_host_device_scalarIT1_EES2_PKS2_PKT2_SB_S8_PKT4_PKT5_S6_PT6_21rocsparse_index_base_b
    .private_segment_fixed_size: 0
    .sgpr_count:     28
    .sgpr_spill_count: 0
    .symbol:         _ZN9rocsparseL18bsrxmvn_3x3_kernelILj256ELj32Efli18rocsparse_bfloat16S1_fEEvT3_20rocsparse_direction_NS_24const_host_device_scalarIT1_EES2_PKS2_PKT2_SB_S8_PKT4_PKT5_S6_PT6_21rocsparse_index_base_b.kd
    .uniform_work_group_size: 1
    .uses_dynamic_stack: false
    .vgpr_count:     31
    .vgpr_spill_count: 0
    .wavefront_size: 64
  - .agpr_count:     0
    .args:
      - .offset:         0
        .size:           4
        .value_kind:     by_value
      - .offset:         4
        .size:           4
        .value_kind:     by_value
      - .offset:         8
        .size:           8
        .value_kind:     by_value
      - .offset:         16
        .size:           4
        .value_kind:     by_value
      - .actual_access:  read_only
        .address_space:  global
        .offset:         24
        .size:           8
        .value_kind:     global_buffer
      - .actual_access:  read_only
        .address_space:  global
        .offset:         32
        .size:           8
        .value_kind:     global_buffer
      - .actual_access:  read_only
        .address_space:  global
        .offset:         40
        .size:           8
        .value_kind:     global_buffer
      - .actual_access:  read_only
        .address_space:  global
        .offset:         48
        .size:           8
        .value_kind:     global_buffer
      - .actual_access:  read_only
        .address_space:  global
        .offset:         56
        .size:           8
        .value_kind:     global_buffer
      - .actual_access:  read_only
        .address_space:  global
        .offset:         64
        .size:           8
        .value_kind:     global_buffer
      - .offset:         72
        .size:           8
        .value_kind:     by_value
      - .address_space:  global
        .offset:         80
        .size:           8
        .value_kind:     global_buffer
      - .offset:         88
        .size:           4
        .value_kind:     by_value
      - .offset:         92
        .size:           1
        .value_kind:     by_value
    .group_segment_fixed_size: 0
    .kernarg_segment_align: 8
    .kernarg_segment_size: 96
    .language:       OpenCL C
    .language_version:
      - 2
      - 0
    .max_flat_workgroup_size: 256
    .name:           _ZN9rocsparseL18bsrxmvn_3x3_kernelILj256ELj64Efli18rocsparse_bfloat16S1_fEEvT3_20rocsparse_direction_NS_24const_host_device_scalarIT1_EES2_PKS2_PKT2_SB_S8_PKT4_PKT5_S6_PT6_21rocsparse_index_base_b
    .private_segment_fixed_size: 0
    .sgpr_count:     28
    .sgpr_spill_count: 0
    .symbol:         _ZN9rocsparseL18bsrxmvn_3x3_kernelILj256ELj64Efli18rocsparse_bfloat16S1_fEEvT3_20rocsparse_direction_NS_24const_host_device_scalarIT1_EES2_PKS2_PKT2_SB_S8_PKT4_PKT5_S6_PT6_21rocsparse_index_base_b.kd
    .uniform_work_group_size: 1
    .uses_dynamic_stack: false
    .vgpr_count:     31
    .vgpr_spill_count: 0
    .wavefront_size: 64
  - .agpr_count:     0
    .args:
      - .offset:         0
        .size:           8
        .value_kind:     by_value
      - .offset:         8
        .size:           4
        .value_kind:     by_value
      - .offset:         16
        .size:           8
        .value_kind:     by_value
      - .offset:         24
        .size:           8
        .value_kind:     by_value
      - .actual_access:  read_only
        .address_space:  global
        .offset:         32
        .size:           8
        .value_kind:     global_buffer
      - .actual_access:  read_only
        .address_space:  global
        .offset:         40
        .size:           8
        .value_kind:     global_buffer
      - .actual_access:  read_only
        .address_space:  global
        .offset:         48
        .size:           8
        .value_kind:     global_buffer
      - .actual_access:  read_only
        .address_space:  global
        .offset:         56
        .size:           8
        .value_kind:     global_buffer
      - .actual_access:  read_only
        .address_space:  global
        .offset:         64
        .size:           8
        .value_kind:     global_buffer
      - .actual_access:  read_only
        .address_space:  global
        .offset:         72
        .size:           8
        .value_kind:     global_buffer
      - .offset:         80
        .size:           8
        .value_kind:     by_value
      - .address_space:  global
        .offset:         88
        .size:           8
        .value_kind:     global_buffer
      - .offset:         96
        .size:           4
        .value_kind:     by_value
      - .offset:         100
        .size:           1
        .value_kind:     by_value
    .group_segment_fixed_size: 0
    .kernarg_segment_align: 8
    .kernarg_segment_size: 104
    .language:       OpenCL C
    .language_version:
      - 2
      - 0
    .max_flat_workgroup_size: 256
    .name:           _ZN9rocsparseL18bsrxmvn_3x3_kernelILj256ELj4Efll18rocsparse_bfloat16S1_fEEvT3_20rocsparse_direction_NS_24const_host_device_scalarIT1_EES2_PKS2_PKT2_SB_S8_PKT4_PKT5_S6_PT6_21rocsparse_index_base_b
    .private_segment_fixed_size: 0
    .sgpr_count:     30
    .sgpr_spill_count: 0
    .symbol:         _ZN9rocsparseL18bsrxmvn_3x3_kernelILj256ELj4Efll18rocsparse_bfloat16S1_fEEvT3_20rocsparse_direction_NS_24const_host_device_scalarIT1_EES2_PKS2_PKT2_SB_S8_PKT4_PKT5_S6_PT6_21rocsparse_index_base_b.kd
    .uniform_work_group_size: 1
    .uses_dynamic_stack: false
    .vgpr_count:     32
    .vgpr_spill_count: 0
    .wavefront_size: 64
  - .agpr_count:     0
    .args:
      - .offset:         0
        .size:           8
        .value_kind:     by_value
      - .offset:         8
        .size:           4
        .value_kind:     by_value
      - .offset:         16
        .size:           8
        .value_kind:     by_value
      - .offset:         24
        .size:           8
        .value_kind:     by_value
      - .actual_access:  read_only
        .address_space:  global
        .offset:         32
        .size:           8
        .value_kind:     global_buffer
      - .actual_access:  read_only
        .address_space:  global
        .offset:         40
        .size:           8
        .value_kind:     global_buffer
      - .actual_access:  read_only
        .address_space:  global
        .offset:         48
        .size:           8
        .value_kind:     global_buffer
      - .actual_access:  read_only
        .address_space:  global
        .offset:         56
        .size:           8
        .value_kind:     global_buffer
      - .actual_access:  read_only
        .address_space:  global
        .offset:         64
        .size:           8
        .value_kind:     global_buffer
      - .actual_access:  read_only
        .address_space:  global
        .offset:         72
        .size:           8
        .value_kind:     global_buffer
      - .offset:         80
        .size:           8
        .value_kind:     by_value
      - .address_space:  global
        .offset:         88
        .size:           8
        .value_kind:     global_buffer
      - .offset:         96
        .size:           4
        .value_kind:     by_value
      - .offset:         100
        .size:           1
        .value_kind:     by_value
    .group_segment_fixed_size: 0
    .kernarg_segment_align: 8
    .kernarg_segment_size: 104
    .language:       OpenCL C
    .language_version:
      - 2
      - 0
    .max_flat_workgroup_size: 256
    .name:           _ZN9rocsparseL18bsrxmvn_3x3_kernelILj256ELj8Efll18rocsparse_bfloat16S1_fEEvT3_20rocsparse_direction_NS_24const_host_device_scalarIT1_EES2_PKS2_PKT2_SB_S8_PKT4_PKT5_S6_PT6_21rocsparse_index_base_b
    .private_segment_fixed_size: 0
    .sgpr_count:     30
    .sgpr_spill_count: 0
    .symbol:         _ZN9rocsparseL18bsrxmvn_3x3_kernelILj256ELj8Efll18rocsparse_bfloat16S1_fEEvT3_20rocsparse_direction_NS_24const_host_device_scalarIT1_EES2_PKS2_PKT2_SB_S8_PKT4_PKT5_S6_PT6_21rocsparse_index_base_b.kd
    .uniform_work_group_size: 1
    .uses_dynamic_stack: false
    .vgpr_count:     32
    .vgpr_spill_count: 0
    .wavefront_size: 64
  - .agpr_count:     0
    .args:
      - .offset:         0
        .size:           8
        .value_kind:     by_value
      - .offset:         8
        .size:           4
        .value_kind:     by_value
      - .offset:         16
        .size:           8
        .value_kind:     by_value
      - .offset:         24
        .size:           8
        .value_kind:     by_value
      - .actual_access:  read_only
        .address_space:  global
        .offset:         32
        .size:           8
        .value_kind:     global_buffer
      - .actual_access:  read_only
        .address_space:  global
        .offset:         40
        .size:           8
        .value_kind:     global_buffer
      - .actual_access:  read_only
        .address_space:  global
        .offset:         48
        .size:           8
        .value_kind:     global_buffer
      - .actual_access:  read_only
        .address_space:  global
        .offset:         56
        .size:           8
        .value_kind:     global_buffer
      - .actual_access:  read_only
        .address_space:  global
        .offset:         64
        .size:           8
        .value_kind:     global_buffer
      - .actual_access:  read_only
        .address_space:  global
        .offset:         72
        .size:           8
        .value_kind:     global_buffer
      - .offset:         80
        .size:           8
        .value_kind:     by_value
      - .address_space:  global
        .offset:         88
        .size:           8
        .value_kind:     global_buffer
      - .offset:         96
        .size:           4
        .value_kind:     by_value
      - .offset:         100
        .size:           1
        .value_kind:     by_value
    .group_segment_fixed_size: 0
    .kernarg_segment_align: 8
    .kernarg_segment_size: 104
    .language:       OpenCL C
    .language_version:
      - 2
      - 0
    .max_flat_workgroup_size: 256
    .name:           _ZN9rocsparseL18bsrxmvn_3x3_kernelILj256ELj16Efll18rocsparse_bfloat16S1_fEEvT3_20rocsparse_direction_NS_24const_host_device_scalarIT1_EES2_PKS2_PKT2_SB_S8_PKT4_PKT5_S6_PT6_21rocsparse_index_base_b
    .private_segment_fixed_size: 0
    .sgpr_count:     32
    .sgpr_spill_count: 0
    .symbol:         _ZN9rocsparseL18bsrxmvn_3x3_kernelILj256ELj16Efll18rocsparse_bfloat16S1_fEEvT3_20rocsparse_direction_NS_24const_host_device_scalarIT1_EES2_PKS2_PKT2_SB_S8_PKT4_PKT5_S6_PT6_21rocsparse_index_base_b.kd
    .uniform_work_group_size: 1
    .uses_dynamic_stack: false
    .vgpr_count:     32
    .vgpr_spill_count: 0
    .wavefront_size: 64
  - .agpr_count:     0
    .args:
      - .offset:         0
        .size:           8
        .value_kind:     by_value
      - .offset:         8
        .size:           4
        .value_kind:     by_value
      - .offset:         16
        .size:           8
        .value_kind:     by_value
      - .offset:         24
        .size:           8
        .value_kind:     by_value
      - .actual_access:  read_only
        .address_space:  global
        .offset:         32
        .size:           8
        .value_kind:     global_buffer
      - .actual_access:  read_only
        .address_space:  global
        .offset:         40
        .size:           8
        .value_kind:     global_buffer
      - .actual_access:  read_only
        .address_space:  global
        .offset:         48
        .size:           8
        .value_kind:     global_buffer
      - .actual_access:  read_only
        .address_space:  global
        .offset:         56
        .size:           8
        .value_kind:     global_buffer
      - .actual_access:  read_only
        .address_space:  global
        .offset:         64
        .size:           8
        .value_kind:     global_buffer
      - .actual_access:  read_only
        .address_space:  global
        .offset:         72
        .size:           8
        .value_kind:     global_buffer
      - .offset:         80
        .size:           8
        .value_kind:     by_value
      - .address_space:  global
        .offset:         88
        .size:           8
        .value_kind:     global_buffer
      - .offset:         96
        .size:           4
        .value_kind:     by_value
      - .offset:         100
        .size:           1
        .value_kind:     by_value
    .group_segment_fixed_size: 0
    .kernarg_segment_align: 8
    .kernarg_segment_size: 104
    .language:       OpenCL C
    .language_version:
      - 2
      - 0
    .max_flat_workgroup_size: 256
    .name:           _ZN9rocsparseL18bsrxmvn_3x3_kernelILj256ELj32Efll18rocsparse_bfloat16S1_fEEvT3_20rocsparse_direction_NS_24const_host_device_scalarIT1_EES2_PKS2_PKT2_SB_S8_PKT4_PKT5_S6_PT6_21rocsparse_index_base_b
    .private_segment_fixed_size: 0
    .sgpr_count:     32
    .sgpr_spill_count: 0
    .symbol:         _ZN9rocsparseL18bsrxmvn_3x3_kernelILj256ELj32Efll18rocsparse_bfloat16S1_fEEvT3_20rocsparse_direction_NS_24const_host_device_scalarIT1_EES2_PKS2_PKT2_SB_S8_PKT4_PKT5_S6_PT6_21rocsparse_index_base_b.kd
    .uniform_work_group_size: 1
    .uses_dynamic_stack: false
    .vgpr_count:     32
    .vgpr_spill_count: 0
    .wavefront_size: 64
  - .agpr_count:     0
    .args:
      - .offset:         0
        .size:           8
        .value_kind:     by_value
      - .offset:         8
        .size:           4
        .value_kind:     by_value
      - .offset:         16
        .size:           8
        .value_kind:     by_value
      - .offset:         24
        .size:           8
        .value_kind:     by_value
      - .actual_access:  read_only
        .address_space:  global
        .offset:         32
        .size:           8
        .value_kind:     global_buffer
      - .actual_access:  read_only
        .address_space:  global
        .offset:         40
        .size:           8
        .value_kind:     global_buffer
      - .actual_access:  read_only
        .address_space:  global
        .offset:         48
        .size:           8
        .value_kind:     global_buffer
      - .actual_access:  read_only
        .address_space:  global
        .offset:         56
        .size:           8
        .value_kind:     global_buffer
      - .actual_access:  read_only
        .address_space:  global
        .offset:         64
        .size:           8
        .value_kind:     global_buffer
      - .actual_access:  read_only
        .address_space:  global
        .offset:         72
        .size:           8
        .value_kind:     global_buffer
      - .offset:         80
        .size:           8
        .value_kind:     by_value
      - .address_space:  global
        .offset:         88
        .size:           8
        .value_kind:     global_buffer
      - .offset:         96
        .size:           4
        .value_kind:     by_value
      - .offset:         100
        .size:           1
        .value_kind:     by_value
    .group_segment_fixed_size: 0
    .kernarg_segment_align: 8
    .kernarg_segment_size: 104
    .language:       OpenCL C
    .language_version:
      - 2
      - 0
    .max_flat_workgroup_size: 256
    .name:           _ZN9rocsparseL18bsrxmvn_3x3_kernelILj256ELj64Efll18rocsparse_bfloat16S1_fEEvT3_20rocsparse_direction_NS_24const_host_device_scalarIT1_EES2_PKS2_PKT2_SB_S8_PKT4_PKT5_S6_PT6_21rocsparse_index_base_b
    .private_segment_fixed_size: 0
    .sgpr_count:     32
    .sgpr_spill_count: 0
    .symbol:         _ZN9rocsparseL18bsrxmvn_3x3_kernelILj256ELj64Efll18rocsparse_bfloat16S1_fEEvT3_20rocsparse_direction_NS_24const_host_device_scalarIT1_EES2_PKS2_PKT2_SB_S8_PKT4_PKT5_S6_PT6_21rocsparse_index_base_b.kd
    .uniform_work_group_size: 1
    .uses_dynamic_stack: false
    .vgpr_count:     32
    .vgpr_spill_count: 0
    .wavefront_size: 64
  - .agpr_count:     0
    .args:
      - .offset:         0
        .size:           4
        .value_kind:     by_value
      - .offset:         4
        .size:           4
        .value_kind:     by_value
      - .offset:         8
        .size:           8
        .value_kind:     by_value
      - .offset:         16
        .size:           4
        .value_kind:     by_value
      - .actual_access:  read_only
        .address_space:  global
        .offset:         24
        .size:           8
        .value_kind:     global_buffer
      - .actual_access:  read_only
        .address_space:  global
        .offset:         32
        .size:           8
        .value_kind:     global_buffer
      - .actual_access:  read_only
        .address_space:  global
        .offset:         40
        .size:           8
        .value_kind:     global_buffer
      - .actual_access:  read_only
        .address_space:  global
        .offset:         48
        .size:           8
        .value_kind:     global_buffer
      - .actual_access:  read_only
        .address_space:  global
        .offset:         56
        .size:           8
        .value_kind:     global_buffer
      - .actual_access:  read_only
        .address_space:  global
        .offset:         64
        .size:           8
        .value_kind:     global_buffer
      - .offset:         72
        .size:           8
        .value_kind:     by_value
      - .address_space:  global
        .offset:         80
        .size:           8
        .value_kind:     global_buffer
      - .offset:         88
        .size:           4
        .value_kind:     by_value
      - .offset:         92
        .size:           1
        .value_kind:     by_value
    .group_segment_fixed_size: 0
    .kernarg_segment_align: 8
    .kernarg_segment_size: 96
    .language:       OpenCL C
    .language_version:
      - 2
      - 0
    .max_flat_workgroup_size: 256
    .name:           _ZN9rocsparseL18bsrxmvn_3x3_kernelILj256ELj4E21rocsparse_complex_numIfEiifS2_S2_EEvT3_20rocsparse_direction_NS_24const_host_device_scalarIT1_EES3_PKS3_PKT2_SC_S9_PKT4_PKT5_S7_PT6_21rocsparse_index_base_b
    .private_segment_fixed_size: 0
    .sgpr_count:     22
    .sgpr_spill_count: 0
    .symbol:         _ZN9rocsparseL18bsrxmvn_3x3_kernelILj256ELj4E21rocsparse_complex_numIfEiifS2_S2_EEvT3_20rocsparse_direction_NS_24const_host_device_scalarIT1_EES3_PKS3_PKT2_SC_S9_PKT4_PKT5_S7_PT6_21rocsparse_index_base_b.kd
    .uniform_work_group_size: 1
    .uses_dynamic_stack: false
    .vgpr_count:     44
    .vgpr_spill_count: 0
    .wavefront_size: 64
  - .agpr_count:     0
    .args:
      - .offset:         0
        .size:           4
        .value_kind:     by_value
      - .offset:         4
        .size:           4
        .value_kind:     by_value
      - .offset:         8
        .size:           8
        .value_kind:     by_value
      - .offset:         16
        .size:           4
        .value_kind:     by_value
      - .actual_access:  read_only
        .address_space:  global
        .offset:         24
        .size:           8
        .value_kind:     global_buffer
      - .actual_access:  read_only
        .address_space:  global
        .offset:         32
        .size:           8
        .value_kind:     global_buffer
      - .actual_access:  read_only
        .address_space:  global
        .offset:         40
        .size:           8
        .value_kind:     global_buffer
      - .actual_access:  read_only
        .address_space:  global
        .offset:         48
        .size:           8
        .value_kind:     global_buffer
      - .actual_access:  read_only
        .address_space:  global
        .offset:         56
        .size:           8
        .value_kind:     global_buffer
      - .actual_access:  read_only
        .address_space:  global
        .offset:         64
        .size:           8
        .value_kind:     global_buffer
      - .offset:         72
        .size:           8
        .value_kind:     by_value
      - .address_space:  global
        .offset:         80
        .size:           8
        .value_kind:     global_buffer
      - .offset:         88
        .size:           4
        .value_kind:     by_value
      - .offset:         92
        .size:           1
        .value_kind:     by_value
    .group_segment_fixed_size: 0
    .kernarg_segment_align: 8
    .kernarg_segment_size: 96
    .language:       OpenCL C
    .language_version:
      - 2
      - 0
    .max_flat_workgroup_size: 256
    .name:           _ZN9rocsparseL18bsrxmvn_3x3_kernelILj256ELj8E21rocsparse_complex_numIfEiifS2_S2_EEvT3_20rocsparse_direction_NS_24const_host_device_scalarIT1_EES3_PKS3_PKT2_SC_S9_PKT4_PKT5_S7_PT6_21rocsparse_index_base_b
    .private_segment_fixed_size: 0
    .sgpr_count:     22
    .sgpr_spill_count: 0
    .symbol:         _ZN9rocsparseL18bsrxmvn_3x3_kernelILj256ELj8E21rocsparse_complex_numIfEiifS2_S2_EEvT3_20rocsparse_direction_NS_24const_host_device_scalarIT1_EES3_PKS3_PKT2_SC_S9_PKT4_PKT5_S7_PT6_21rocsparse_index_base_b.kd
    .uniform_work_group_size: 1
    .uses_dynamic_stack: false
    .vgpr_count:     44
    .vgpr_spill_count: 0
    .wavefront_size: 64
  - .agpr_count:     0
    .args:
      - .offset:         0
        .size:           4
        .value_kind:     by_value
      - .offset:         4
        .size:           4
        .value_kind:     by_value
      - .offset:         8
        .size:           8
        .value_kind:     by_value
      - .offset:         16
        .size:           4
        .value_kind:     by_value
      - .actual_access:  read_only
        .address_space:  global
        .offset:         24
        .size:           8
        .value_kind:     global_buffer
      - .actual_access:  read_only
        .address_space:  global
        .offset:         32
        .size:           8
        .value_kind:     global_buffer
      - .actual_access:  read_only
        .address_space:  global
        .offset:         40
        .size:           8
        .value_kind:     global_buffer
      - .actual_access:  read_only
        .address_space:  global
        .offset:         48
        .size:           8
        .value_kind:     global_buffer
      - .actual_access:  read_only
        .address_space:  global
        .offset:         56
        .size:           8
        .value_kind:     global_buffer
      - .actual_access:  read_only
        .address_space:  global
        .offset:         64
        .size:           8
        .value_kind:     global_buffer
      - .offset:         72
        .size:           8
        .value_kind:     by_value
      - .address_space:  global
        .offset:         80
        .size:           8
        .value_kind:     global_buffer
      - .offset:         88
        .size:           4
        .value_kind:     by_value
      - .offset:         92
        .size:           1
        .value_kind:     by_value
    .group_segment_fixed_size: 0
    .kernarg_segment_align: 8
    .kernarg_segment_size: 96
    .language:       OpenCL C
    .language_version:
      - 2
      - 0
    .max_flat_workgroup_size: 256
    .name:           _ZN9rocsparseL18bsrxmvn_3x3_kernelILj256ELj16E21rocsparse_complex_numIfEiifS2_S2_EEvT3_20rocsparse_direction_NS_24const_host_device_scalarIT1_EES3_PKS3_PKT2_SC_S9_PKT4_PKT5_S7_PT6_21rocsparse_index_base_b
    .private_segment_fixed_size: 0
    .sgpr_count:     22
    .sgpr_spill_count: 0
    .symbol:         _ZN9rocsparseL18bsrxmvn_3x3_kernelILj256ELj16E21rocsparse_complex_numIfEiifS2_S2_EEvT3_20rocsparse_direction_NS_24const_host_device_scalarIT1_EES3_PKS3_PKT2_SC_S9_PKT4_PKT5_S7_PT6_21rocsparse_index_base_b.kd
    .uniform_work_group_size: 1
    .uses_dynamic_stack: false
    .vgpr_count:     44
    .vgpr_spill_count: 0
    .wavefront_size: 64
  - .agpr_count:     0
    .args:
      - .offset:         0
        .size:           4
        .value_kind:     by_value
      - .offset:         4
        .size:           4
        .value_kind:     by_value
      - .offset:         8
        .size:           8
        .value_kind:     by_value
      - .offset:         16
        .size:           4
        .value_kind:     by_value
      - .actual_access:  read_only
        .address_space:  global
        .offset:         24
        .size:           8
        .value_kind:     global_buffer
      - .actual_access:  read_only
        .address_space:  global
        .offset:         32
        .size:           8
        .value_kind:     global_buffer
      - .actual_access:  read_only
        .address_space:  global
        .offset:         40
        .size:           8
        .value_kind:     global_buffer
      - .actual_access:  read_only
        .address_space:  global
        .offset:         48
        .size:           8
        .value_kind:     global_buffer
      - .actual_access:  read_only
        .address_space:  global
        .offset:         56
        .size:           8
        .value_kind:     global_buffer
      - .actual_access:  read_only
        .address_space:  global
        .offset:         64
        .size:           8
        .value_kind:     global_buffer
      - .offset:         72
        .size:           8
        .value_kind:     by_value
      - .address_space:  global
        .offset:         80
        .size:           8
        .value_kind:     global_buffer
      - .offset:         88
        .size:           4
        .value_kind:     by_value
      - .offset:         92
        .size:           1
        .value_kind:     by_value
    .group_segment_fixed_size: 0
    .kernarg_segment_align: 8
    .kernarg_segment_size: 96
    .language:       OpenCL C
    .language_version:
      - 2
      - 0
    .max_flat_workgroup_size: 256
    .name:           _ZN9rocsparseL18bsrxmvn_3x3_kernelILj256ELj32E21rocsparse_complex_numIfEiifS2_S2_EEvT3_20rocsparse_direction_NS_24const_host_device_scalarIT1_EES3_PKS3_PKT2_SC_S9_PKT4_PKT5_S7_PT6_21rocsparse_index_base_b
    .private_segment_fixed_size: 0
    .sgpr_count:     22
    .sgpr_spill_count: 0
    .symbol:         _ZN9rocsparseL18bsrxmvn_3x3_kernelILj256ELj32E21rocsparse_complex_numIfEiifS2_S2_EEvT3_20rocsparse_direction_NS_24const_host_device_scalarIT1_EES3_PKS3_PKT2_SC_S9_PKT4_PKT5_S7_PT6_21rocsparse_index_base_b.kd
    .uniform_work_group_size: 1
    .uses_dynamic_stack: false
    .vgpr_count:     44
    .vgpr_spill_count: 0
    .wavefront_size: 64
  - .agpr_count:     0
    .args:
      - .offset:         0
        .size:           4
        .value_kind:     by_value
      - .offset:         4
        .size:           4
        .value_kind:     by_value
      - .offset:         8
        .size:           8
        .value_kind:     by_value
      - .offset:         16
        .size:           4
        .value_kind:     by_value
      - .actual_access:  read_only
        .address_space:  global
        .offset:         24
        .size:           8
        .value_kind:     global_buffer
      - .actual_access:  read_only
        .address_space:  global
        .offset:         32
        .size:           8
        .value_kind:     global_buffer
      - .actual_access:  read_only
        .address_space:  global
        .offset:         40
        .size:           8
        .value_kind:     global_buffer
      - .actual_access:  read_only
        .address_space:  global
        .offset:         48
        .size:           8
        .value_kind:     global_buffer
      - .actual_access:  read_only
        .address_space:  global
        .offset:         56
        .size:           8
        .value_kind:     global_buffer
      - .actual_access:  read_only
        .address_space:  global
        .offset:         64
        .size:           8
        .value_kind:     global_buffer
      - .offset:         72
        .size:           8
        .value_kind:     by_value
      - .address_space:  global
        .offset:         80
        .size:           8
        .value_kind:     global_buffer
      - .offset:         88
        .size:           4
        .value_kind:     by_value
      - .offset:         92
        .size:           1
        .value_kind:     by_value
    .group_segment_fixed_size: 0
    .kernarg_segment_align: 8
    .kernarg_segment_size: 96
    .language:       OpenCL C
    .language_version:
      - 2
      - 0
    .max_flat_workgroup_size: 256
    .name:           _ZN9rocsparseL18bsrxmvn_3x3_kernelILj256ELj64E21rocsparse_complex_numIfEiifS2_S2_EEvT3_20rocsparse_direction_NS_24const_host_device_scalarIT1_EES3_PKS3_PKT2_SC_S9_PKT4_PKT5_S7_PT6_21rocsparse_index_base_b
    .private_segment_fixed_size: 0
    .sgpr_count:     22
    .sgpr_spill_count: 0
    .symbol:         _ZN9rocsparseL18bsrxmvn_3x3_kernelILj256ELj64E21rocsparse_complex_numIfEiifS2_S2_EEvT3_20rocsparse_direction_NS_24const_host_device_scalarIT1_EES3_PKS3_PKT2_SC_S9_PKT4_PKT5_S7_PT6_21rocsparse_index_base_b.kd
    .uniform_work_group_size: 1
    .uses_dynamic_stack: false
    .vgpr_count:     44
    .vgpr_spill_count: 0
    .wavefront_size: 64
  - .agpr_count:     0
    .args:
      - .offset:         0
        .size:           4
        .value_kind:     by_value
      - .offset:         4
        .size:           4
        .value_kind:     by_value
      - .offset:         8
        .size:           8
        .value_kind:     by_value
      - .offset:         16
        .size:           4
        .value_kind:     by_value
      - .actual_access:  read_only
        .address_space:  global
        .offset:         24
        .size:           8
        .value_kind:     global_buffer
      - .actual_access:  read_only
        .address_space:  global
        .offset:         32
        .size:           8
        .value_kind:     global_buffer
      - .actual_access:  read_only
        .address_space:  global
        .offset:         40
        .size:           8
        .value_kind:     global_buffer
      - .actual_access:  read_only
        .address_space:  global
        .offset:         48
        .size:           8
        .value_kind:     global_buffer
      - .actual_access:  read_only
        .address_space:  global
        .offset:         56
        .size:           8
        .value_kind:     global_buffer
      - .actual_access:  read_only
        .address_space:  global
        .offset:         64
        .size:           8
        .value_kind:     global_buffer
      - .offset:         72
        .size:           8
        .value_kind:     by_value
      - .address_space:  global
        .offset:         80
        .size:           8
        .value_kind:     global_buffer
      - .offset:         88
        .size:           4
        .value_kind:     by_value
      - .offset:         92
        .size:           1
        .value_kind:     by_value
    .group_segment_fixed_size: 0
    .kernarg_segment_align: 8
    .kernarg_segment_size: 96
    .language:       OpenCL C
    .language_version:
      - 2
      - 0
    .max_flat_workgroup_size: 256
    .name:           _ZN9rocsparseL18bsrxmvn_3x3_kernelILj256ELj4E21rocsparse_complex_numIfElifS2_S2_EEvT3_20rocsparse_direction_NS_24const_host_device_scalarIT1_EES3_PKS3_PKT2_SC_S9_PKT4_PKT5_S7_PT6_21rocsparse_index_base_b
    .private_segment_fixed_size: 0
    .sgpr_count:     22
    .sgpr_spill_count: 0
    .symbol:         _ZN9rocsparseL18bsrxmvn_3x3_kernelILj256ELj4E21rocsparse_complex_numIfElifS2_S2_EEvT3_20rocsparse_direction_NS_24const_host_device_scalarIT1_EES3_PKS3_PKT2_SC_S9_PKT4_PKT5_S7_PT6_21rocsparse_index_base_b.kd
    .uniform_work_group_size: 1
    .uses_dynamic_stack: false
    .vgpr_count:     48
    .vgpr_spill_count: 0
    .wavefront_size: 64
  - .agpr_count:     0
    .args:
      - .offset:         0
        .size:           4
        .value_kind:     by_value
      - .offset:         4
        .size:           4
        .value_kind:     by_value
      - .offset:         8
        .size:           8
        .value_kind:     by_value
      - .offset:         16
        .size:           4
        .value_kind:     by_value
      - .actual_access:  read_only
        .address_space:  global
        .offset:         24
        .size:           8
        .value_kind:     global_buffer
      - .actual_access:  read_only
        .address_space:  global
        .offset:         32
        .size:           8
        .value_kind:     global_buffer
      - .actual_access:  read_only
        .address_space:  global
        .offset:         40
        .size:           8
        .value_kind:     global_buffer
      - .actual_access:  read_only
        .address_space:  global
        .offset:         48
        .size:           8
        .value_kind:     global_buffer
      - .actual_access:  read_only
        .address_space:  global
        .offset:         56
        .size:           8
        .value_kind:     global_buffer
      - .actual_access:  read_only
        .address_space:  global
        .offset:         64
        .size:           8
        .value_kind:     global_buffer
      - .offset:         72
        .size:           8
        .value_kind:     by_value
      - .address_space:  global
        .offset:         80
        .size:           8
        .value_kind:     global_buffer
      - .offset:         88
        .size:           4
        .value_kind:     by_value
      - .offset:         92
        .size:           1
        .value_kind:     by_value
    .group_segment_fixed_size: 0
    .kernarg_segment_align: 8
    .kernarg_segment_size: 96
    .language:       OpenCL C
    .language_version:
      - 2
      - 0
    .max_flat_workgroup_size: 256
    .name:           _ZN9rocsparseL18bsrxmvn_3x3_kernelILj256ELj8E21rocsparse_complex_numIfElifS2_S2_EEvT3_20rocsparse_direction_NS_24const_host_device_scalarIT1_EES3_PKS3_PKT2_SC_S9_PKT4_PKT5_S7_PT6_21rocsparse_index_base_b
    .private_segment_fixed_size: 0
    .sgpr_count:     22
    .sgpr_spill_count: 0
    .symbol:         _ZN9rocsparseL18bsrxmvn_3x3_kernelILj256ELj8E21rocsparse_complex_numIfElifS2_S2_EEvT3_20rocsparse_direction_NS_24const_host_device_scalarIT1_EES3_PKS3_PKT2_SC_S9_PKT4_PKT5_S7_PT6_21rocsparse_index_base_b.kd
    .uniform_work_group_size: 1
    .uses_dynamic_stack: false
    .vgpr_count:     48
    .vgpr_spill_count: 0
    .wavefront_size: 64
  - .agpr_count:     0
    .args:
      - .offset:         0
        .size:           4
        .value_kind:     by_value
      - .offset:         4
        .size:           4
        .value_kind:     by_value
      - .offset:         8
        .size:           8
        .value_kind:     by_value
      - .offset:         16
        .size:           4
        .value_kind:     by_value
      - .actual_access:  read_only
        .address_space:  global
        .offset:         24
        .size:           8
        .value_kind:     global_buffer
      - .actual_access:  read_only
        .address_space:  global
        .offset:         32
        .size:           8
        .value_kind:     global_buffer
      - .actual_access:  read_only
        .address_space:  global
        .offset:         40
        .size:           8
        .value_kind:     global_buffer
      - .actual_access:  read_only
        .address_space:  global
        .offset:         48
        .size:           8
        .value_kind:     global_buffer
      - .actual_access:  read_only
        .address_space:  global
        .offset:         56
        .size:           8
        .value_kind:     global_buffer
      - .actual_access:  read_only
        .address_space:  global
        .offset:         64
        .size:           8
        .value_kind:     global_buffer
      - .offset:         72
        .size:           8
        .value_kind:     by_value
      - .address_space:  global
        .offset:         80
        .size:           8
        .value_kind:     global_buffer
      - .offset:         88
        .size:           4
        .value_kind:     by_value
      - .offset:         92
        .size:           1
        .value_kind:     by_value
    .group_segment_fixed_size: 0
    .kernarg_segment_align: 8
    .kernarg_segment_size: 96
    .language:       OpenCL C
    .language_version:
      - 2
      - 0
    .max_flat_workgroup_size: 256
    .name:           _ZN9rocsparseL18bsrxmvn_3x3_kernelILj256ELj16E21rocsparse_complex_numIfElifS2_S2_EEvT3_20rocsparse_direction_NS_24const_host_device_scalarIT1_EES3_PKS3_PKT2_SC_S9_PKT4_PKT5_S7_PT6_21rocsparse_index_base_b
    .private_segment_fixed_size: 0
    .sgpr_count:     22
    .sgpr_spill_count: 0
    .symbol:         _ZN9rocsparseL18bsrxmvn_3x3_kernelILj256ELj16E21rocsparse_complex_numIfElifS2_S2_EEvT3_20rocsparse_direction_NS_24const_host_device_scalarIT1_EES3_PKS3_PKT2_SC_S9_PKT4_PKT5_S7_PT6_21rocsparse_index_base_b.kd
    .uniform_work_group_size: 1
    .uses_dynamic_stack: false
    .vgpr_count:     48
    .vgpr_spill_count: 0
    .wavefront_size: 64
  - .agpr_count:     0
    .args:
      - .offset:         0
        .size:           4
        .value_kind:     by_value
      - .offset:         4
        .size:           4
        .value_kind:     by_value
      - .offset:         8
        .size:           8
        .value_kind:     by_value
      - .offset:         16
        .size:           4
        .value_kind:     by_value
      - .actual_access:  read_only
        .address_space:  global
        .offset:         24
        .size:           8
        .value_kind:     global_buffer
      - .actual_access:  read_only
        .address_space:  global
        .offset:         32
        .size:           8
        .value_kind:     global_buffer
      - .actual_access:  read_only
        .address_space:  global
        .offset:         40
        .size:           8
        .value_kind:     global_buffer
      - .actual_access:  read_only
        .address_space:  global
        .offset:         48
        .size:           8
        .value_kind:     global_buffer
      - .actual_access:  read_only
        .address_space:  global
        .offset:         56
        .size:           8
        .value_kind:     global_buffer
      - .actual_access:  read_only
        .address_space:  global
        .offset:         64
        .size:           8
        .value_kind:     global_buffer
      - .offset:         72
        .size:           8
        .value_kind:     by_value
      - .address_space:  global
        .offset:         80
        .size:           8
        .value_kind:     global_buffer
      - .offset:         88
        .size:           4
        .value_kind:     by_value
      - .offset:         92
        .size:           1
        .value_kind:     by_value
    .group_segment_fixed_size: 0
    .kernarg_segment_align: 8
    .kernarg_segment_size: 96
    .language:       OpenCL C
    .language_version:
      - 2
      - 0
    .max_flat_workgroup_size: 256
    .name:           _ZN9rocsparseL18bsrxmvn_3x3_kernelILj256ELj32E21rocsparse_complex_numIfElifS2_S2_EEvT3_20rocsparse_direction_NS_24const_host_device_scalarIT1_EES3_PKS3_PKT2_SC_S9_PKT4_PKT5_S7_PT6_21rocsparse_index_base_b
    .private_segment_fixed_size: 0
    .sgpr_count:     24
    .sgpr_spill_count: 0
    .symbol:         _ZN9rocsparseL18bsrxmvn_3x3_kernelILj256ELj32E21rocsparse_complex_numIfElifS2_S2_EEvT3_20rocsparse_direction_NS_24const_host_device_scalarIT1_EES3_PKS3_PKT2_SC_S9_PKT4_PKT5_S7_PT6_21rocsparse_index_base_b.kd
    .uniform_work_group_size: 1
    .uses_dynamic_stack: false
    .vgpr_count:     48
    .vgpr_spill_count: 0
    .wavefront_size: 64
  - .agpr_count:     0
    .args:
      - .offset:         0
        .size:           4
        .value_kind:     by_value
      - .offset:         4
        .size:           4
        .value_kind:     by_value
      - .offset:         8
        .size:           8
        .value_kind:     by_value
      - .offset:         16
        .size:           4
        .value_kind:     by_value
      - .actual_access:  read_only
        .address_space:  global
        .offset:         24
        .size:           8
        .value_kind:     global_buffer
      - .actual_access:  read_only
        .address_space:  global
        .offset:         32
        .size:           8
        .value_kind:     global_buffer
      - .actual_access:  read_only
        .address_space:  global
        .offset:         40
        .size:           8
        .value_kind:     global_buffer
      - .actual_access:  read_only
        .address_space:  global
        .offset:         48
        .size:           8
        .value_kind:     global_buffer
      - .actual_access:  read_only
        .address_space:  global
        .offset:         56
        .size:           8
        .value_kind:     global_buffer
      - .actual_access:  read_only
        .address_space:  global
        .offset:         64
        .size:           8
        .value_kind:     global_buffer
      - .offset:         72
        .size:           8
        .value_kind:     by_value
      - .address_space:  global
        .offset:         80
        .size:           8
        .value_kind:     global_buffer
      - .offset:         88
        .size:           4
        .value_kind:     by_value
      - .offset:         92
        .size:           1
        .value_kind:     by_value
    .group_segment_fixed_size: 0
    .kernarg_segment_align: 8
    .kernarg_segment_size: 96
    .language:       OpenCL C
    .language_version:
      - 2
      - 0
    .max_flat_workgroup_size: 256
    .name:           _ZN9rocsparseL18bsrxmvn_3x3_kernelILj256ELj64E21rocsparse_complex_numIfElifS2_S2_EEvT3_20rocsparse_direction_NS_24const_host_device_scalarIT1_EES3_PKS3_PKT2_SC_S9_PKT4_PKT5_S7_PT6_21rocsparse_index_base_b
    .private_segment_fixed_size: 0
    .sgpr_count:     24
    .sgpr_spill_count: 0
    .symbol:         _ZN9rocsparseL18bsrxmvn_3x3_kernelILj256ELj64E21rocsparse_complex_numIfElifS2_S2_EEvT3_20rocsparse_direction_NS_24const_host_device_scalarIT1_EES3_PKS3_PKT2_SC_S9_PKT4_PKT5_S7_PT6_21rocsparse_index_base_b.kd
    .uniform_work_group_size: 1
    .uses_dynamic_stack: false
    .vgpr_count:     48
    .vgpr_spill_count: 0
    .wavefront_size: 64
  - .agpr_count:     0
    .args:
      - .offset:         0
        .size:           8
        .value_kind:     by_value
      - .offset:         8
        .size:           4
        .value_kind:     by_value
      - .offset:         16
        .size:           8
        .value_kind:     by_value
      - .offset:         24
        .size:           8
        .value_kind:     by_value
      - .actual_access:  read_only
        .address_space:  global
        .offset:         32
        .size:           8
        .value_kind:     global_buffer
      - .actual_access:  read_only
        .address_space:  global
        .offset:         40
        .size:           8
        .value_kind:     global_buffer
      - .actual_access:  read_only
        .address_space:  global
        .offset:         48
        .size:           8
        .value_kind:     global_buffer
      - .actual_access:  read_only
        .address_space:  global
        .offset:         56
        .size:           8
        .value_kind:     global_buffer
      - .actual_access:  read_only
        .address_space:  global
        .offset:         64
        .size:           8
        .value_kind:     global_buffer
      - .actual_access:  read_only
        .address_space:  global
        .offset:         72
        .size:           8
        .value_kind:     global_buffer
      - .offset:         80
        .size:           8
        .value_kind:     by_value
      - .address_space:  global
        .offset:         88
        .size:           8
        .value_kind:     global_buffer
      - .offset:         96
        .size:           4
        .value_kind:     by_value
      - .offset:         100
        .size:           1
        .value_kind:     by_value
    .group_segment_fixed_size: 0
    .kernarg_segment_align: 8
    .kernarg_segment_size: 104
    .language:       OpenCL C
    .language_version:
      - 2
      - 0
    .max_flat_workgroup_size: 256
    .name:           _ZN9rocsparseL18bsrxmvn_3x3_kernelILj256ELj4E21rocsparse_complex_numIfEllfS2_S2_EEvT3_20rocsparse_direction_NS_24const_host_device_scalarIT1_EES3_PKS3_PKT2_SC_S9_PKT4_PKT5_S7_PT6_21rocsparse_index_base_b
    .private_segment_fixed_size: 0
    .sgpr_count:     26
    .sgpr_spill_count: 0
    .symbol:         _ZN9rocsparseL18bsrxmvn_3x3_kernelILj256ELj4E21rocsparse_complex_numIfEllfS2_S2_EEvT3_20rocsparse_direction_NS_24const_host_device_scalarIT1_EES3_PKS3_PKT2_SC_S9_PKT4_PKT5_S7_PT6_21rocsparse_index_base_b.kd
    .uniform_work_group_size: 1
    .uses_dynamic_stack: false
    .vgpr_count:     48
    .vgpr_spill_count: 0
    .wavefront_size: 64
  - .agpr_count:     0
    .args:
      - .offset:         0
        .size:           8
        .value_kind:     by_value
      - .offset:         8
        .size:           4
        .value_kind:     by_value
      - .offset:         16
        .size:           8
        .value_kind:     by_value
      - .offset:         24
        .size:           8
        .value_kind:     by_value
      - .actual_access:  read_only
        .address_space:  global
        .offset:         32
        .size:           8
        .value_kind:     global_buffer
      - .actual_access:  read_only
        .address_space:  global
        .offset:         40
        .size:           8
        .value_kind:     global_buffer
      - .actual_access:  read_only
        .address_space:  global
        .offset:         48
        .size:           8
        .value_kind:     global_buffer
      - .actual_access:  read_only
        .address_space:  global
        .offset:         56
        .size:           8
        .value_kind:     global_buffer
      - .actual_access:  read_only
        .address_space:  global
        .offset:         64
        .size:           8
        .value_kind:     global_buffer
      - .actual_access:  read_only
        .address_space:  global
        .offset:         72
        .size:           8
        .value_kind:     global_buffer
      - .offset:         80
        .size:           8
        .value_kind:     by_value
      - .address_space:  global
        .offset:         88
        .size:           8
        .value_kind:     global_buffer
      - .offset:         96
        .size:           4
        .value_kind:     by_value
      - .offset:         100
        .size:           1
        .value_kind:     by_value
    .group_segment_fixed_size: 0
    .kernarg_segment_align: 8
    .kernarg_segment_size: 104
    .language:       OpenCL C
    .language_version:
      - 2
      - 0
    .max_flat_workgroup_size: 256
    .name:           _ZN9rocsparseL18bsrxmvn_3x3_kernelILj256ELj8E21rocsparse_complex_numIfEllfS2_S2_EEvT3_20rocsparse_direction_NS_24const_host_device_scalarIT1_EES3_PKS3_PKT2_SC_S9_PKT4_PKT5_S7_PT6_21rocsparse_index_base_b
    .private_segment_fixed_size: 0
    .sgpr_count:     26
    .sgpr_spill_count: 0
    .symbol:         _ZN9rocsparseL18bsrxmvn_3x3_kernelILj256ELj8E21rocsparse_complex_numIfEllfS2_S2_EEvT3_20rocsparse_direction_NS_24const_host_device_scalarIT1_EES3_PKS3_PKT2_SC_S9_PKT4_PKT5_S7_PT6_21rocsparse_index_base_b.kd
    .uniform_work_group_size: 1
    .uses_dynamic_stack: false
    .vgpr_count:     48
    .vgpr_spill_count: 0
    .wavefront_size: 64
  - .agpr_count:     0
    .args:
      - .offset:         0
        .size:           8
        .value_kind:     by_value
      - .offset:         8
        .size:           4
        .value_kind:     by_value
      - .offset:         16
        .size:           8
        .value_kind:     by_value
      - .offset:         24
        .size:           8
        .value_kind:     by_value
      - .actual_access:  read_only
        .address_space:  global
        .offset:         32
        .size:           8
        .value_kind:     global_buffer
      - .actual_access:  read_only
        .address_space:  global
        .offset:         40
        .size:           8
        .value_kind:     global_buffer
      - .actual_access:  read_only
        .address_space:  global
        .offset:         48
        .size:           8
        .value_kind:     global_buffer
      - .actual_access:  read_only
        .address_space:  global
        .offset:         56
        .size:           8
        .value_kind:     global_buffer
      - .actual_access:  read_only
        .address_space:  global
        .offset:         64
        .size:           8
        .value_kind:     global_buffer
      - .actual_access:  read_only
        .address_space:  global
        .offset:         72
        .size:           8
        .value_kind:     global_buffer
      - .offset:         80
        .size:           8
        .value_kind:     by_value
      - .address_space:  global
        .offset:         88
        .size:           8
        .value_kind:     global_buffer
      - .offset:         96
        .size:           4
        .value_kind:     by_value
      - .offset:         100
        .size:           1
        .value_kind:     by_value
    .group_segment_fixed_size: 0
    .kernarg_segment_align: 8
    .kernarg_segment_size: 104
    .language:       OpenCL C
    .language_version:
      - 2
      - 0
    .max_flat_workgroup_size: 256
    .name:           _ZN9rocsparseL18bsrxmvn_3x3_kernelILj256ELj16E21rocsparse_complex_numIfEllfS2_S2_EEvT3_20rocsparse_direction_NS_24const_host_device_scalarIT1_EES3_PKS3_PKT2_SC_S9_PKT4_PKT5_S7_PT6_21rocsparse_index_base_b
    .private_segment_fixed_size: 0
    .sgpr_count:     28
    .sgpr_spill_count: 0
    .symbol:         _ZN9rocsparseL18bsrxmvn_3x3_kernelILj256ELj16E21rocsparse_complex_numIfEllfS2_S2_EEvT3_20rocsparse_direction_NS_24const_host_device_scalarIT1_EES3_PKS3_PKT2_SC_S9_PKT4_PKT5_S7_PT6_21rocsparse_index_base_b.kd
    .uniform_work_group_size: 1
    .uses_dynamic_stack: false
    .vgpr_count:     48
    .vgpr_spill_count: 0
    .wavefront_size: 64
  - .agpr_count:     0
    .args:
      - .offset:         0
        .size:           8
        .value_kind:     by_value
      - .offset:         8
        .size:           4
        .value_kind:     by_value
      - .offset:         16
        .size:           8
        .value_kind:     by_value
      - .offset:         24
        .size:           8
        .value_kind:     by_value
      - .actual_access:  read_only
        .address_space:  global
        .offset:         32
        .size:           8
        .value_kind:     global_buffer
      - .actual_access:  read_only
        .address_space:  global
        .offset:         40
        .size:           8
        .value_kind:     global_buffer
      - .actual_access:  read_only
        .address_space:  global
        .offset:         48
        .size:           8
        .value_kind:     global_buffer
      - .actual_access:  read_only
        .address_space:  global
        .offset:         56
        .size:           8
        .value_kind:     global_buffer
      - .actual_access:  read_only
        .address_space:  global
        .offset:         64
        .size:           8
        .value_kind:     global_buffer
      - .actual_access:  read_only
        .address_space:  global
        .offset:         72
        .size:           8
        .value_kind:     global_buffer
      - .offset:         80
        .size:           8
        .value_kind:     by_value
      - .address_space:  global
        .offset:         88
        .size:           8
        .value_kind:     global_buffer
      - .offset:         96
        .size:           4
        .value_kind:     by_value
      - .offset:         100
        .size:           1
        .value_kind:     by_value
    .group_segment_fixed_size: 0
    .kernarg_segment_align: 8
    .kernarg_segment_size: 104
    .language:       OpenCL C
    .language_version:
      - 2
      - 0
    .max_flat_workgroup_size: 256
    .name:           _ZN9rocsparseL18bsrxmvn_3x3_kernelILj256ELj32E21rocsparse_complex_numIfEllfS2_S2_EEvT3_20rocsparse_direction_NS_24const_host_device_scalarIT1_EES3_PKS3_PKT2_SC_S9_PKT4_PKT5_S7_PT6_21rocsparse_index_base_b
    .private_segment_fixed_size: 0
    .sgpr_count:     28
    .sgpr_spill_count: 0
    .symbol:         _ZN9rocsparseL18bsrxmvn_3x3_kernelILj256ELj32E21rocsparse_complex_numIfEllfS2_S2_EEvT3_20rocsparse_direction_NS_24const_host_device_scalarIT1_EES3_PKS3_PKT2_SC_S9_PKT4_PKT5_S7_PT6_21rocsparse_index_base_b.kd
    .uniform_work_group_size: 1
    .uses_dynamic_stack: false
    .vgpr_count:     48
    .vgpr_spill_count: 0
    .wavefront_size: 64
  - .agpr_count:     0
    .args:
      - .offset:         0
        .size:           8
        .value_kind:     by_value
      - .offset:         8
        .size:           4
        .value_kind:     by_value
      - .offset:         16
        .size:           8
        .value_kind:     by_value
      - .offset:         24
        .size:           8
        .value_kind:     by_value
      - .actual_access:  read_only
        .address_space:  global
        .offset:         32
        .size:           8
        .value_kind:     global_buffer
      - .actual_access:  read_only
        .address_space:  global
        .offset:         40
        .size:           8
        .value_kind:     global_buffer
      - .actual_access:  read_only
        .address_space:  global
        .offset:         48
        .size:           8
        .value_kind:     global_buffer
      - .actual_access:  read_only
        .address_space:  global
        .offset:         56
        .size:           8
        .value_kind:     global_buffer
      - .actual_access:  read_only
        .address_space:  global
        .offset:         64
        .size:           8
        .value_kind:     global_buffer
      - .actual_access:  read_only
        .address_space:  global
        .offset:         72
        .size:           8
        .value_kind:     global_buffer
      - .offset:         80
        .size:           8
        .value_kind:     by_value
      - .address_space:  global
        .offset:         88
        .size:           8
        .value_kind:     global_buffer
      - .offset:         96
        .size:           4
        .value_kind:     by_value
      - .offset:         100
        .size:           1
        .value_kind:     by_value
    .group_segment_fixed_size: 0
    .kernarg_segment_align: 8
    .kernarg_segment_size: 104
    .language:       OpenCL C
    .language_version:
      - 2
      - 0
    .max_flat_workgroup_size: 256
    .name:           _ZN9rocsparseL18bsrxmvn_3x3_kernelILj256ELj64E21rocsparse_complex_numIfEllfS2_S2_EEvT3_20rocsparse_direction_NS_24const_host_device_scalarIT1_EES3_PKS3_PKT2_SC_S9_PKT4_PKT5_S7_PT6_21rocsparse_index_base_b
    .private_segment_fixed_size: 0
    .sgpr_count:     28
    .sgpr_spill_count: 0
    .symbol:         _ZN9rocsparseL18bsrxmvn_3x3_kernelILj256ELj64E21rocsparse_complex_numIfEllfS2_S2_EEvT3_20rocsparse_direction_NS_24const_host_device_scalarIT1_EES3_PKS3_PKT2_SC_S9_PKT4_PKT5_S7_PT6_21rocsparse_index_base_b.kd
    .uniform_work_group_size: 1
    .uses_dynamic_stack: false
    .vgpr_count:     48
    .vgpr_spill_count: 0
    .wavefront_size: 64
  - .agpr_count:     0
    .args:
      - .offset:         0
        .size:           4
        .value_kind:     by_value
      - .offset:         4
        .size:           4
        .value_kind:     by_value
      - .offset:         8
        .size:           16
        .value_kind:     by_value
      - .offset:         24
        .size:           4
        .value_kind:     by_value
      - .actual_access:  read_only
        .address_space:  global
        .offset:         32
        .size:           8
        .value_kind:     global_buffer
      - .actual_access:  read_only
        .address_space:  global
        .offset:         40
        .size:           8
        .value_kind:     global_buffer
      - .actual_access:  read_only
        .address_space:  global
        .offset:         48
        .size:           8
        .value_kind:     global_buffer
      - .actual_access:  read_only
        .address_space:  global
        .offset:         56
        .size:           8
        .value_kind:     global_buffer
      - .actual_access:  read_only
        .address_space:  global
        .offset:         64
        .size:           8
        .value_kind:     global_buffer
      - .actual_access:  read_only
        .address_space:  global
        .offset:         72
        .size:           8
        .value_kind:     global_buffer
      - .offset:         80
        .size:           16
        .value_kind:     by_value
      - .address_space:  global
        .offset:         96
        .size:           8
        .value_kind:     global_buffer
      - .offset:         104
        .size:           4
        .value_kind:     by_value
      - .offset:         108
        .size:           1
        .value_kind:     by_value
    .group_segment_fixed_size: 4096
    .kernarg_segment_align: 8
    .kernarg_segment_size: 112
    .language:       OpenCL C
    .language_version:
      - 2
      - 0
    .max_flat_workgroup_size: 256
    .name:           _ZN9rocsparseL18bsrxmvn_3x3_kernelILj256ELj4E21rocsparse_complex_numIdEiidS2_S2_EEvT3_20rocsparse_direction_NS_24const_host_device_scalarIT1_EES3_PKS3_PKT2_SC_S9_PKT4_PKT5_S7_PT6_21rocsparse_index_base_b
    .private_segment_fixed_size: 0
    .sgpr_count:     26
    .sgpr_spill_count: 0
    .symbol:         _ZN9rocsparseL18bsrxmvn_3x3_kernelILj256ELj4E21rocsparse_complex_numIdEiidS2_S2_EEvT3_20rocsparse_direction_NS_24const_host_device_scalarIT1_EES3_PKS3_PKT2_SC_S9_PKT4_PKT5_S7_PT6_21rocsparse_index_base_b.kd
    .uniform_work_group_size: 1
    .uses_dynamic_stack: false
    .vgpr_count:     64
    .vgpr_spill_count: 0
    .wavefront_size: 64
  - .agpr_count:     0
    .args:
      - .offset:         0
        .size:           4
        .value_kind:     by_value
      - .offset:         4
        .size:           4
        .value_kind:     by_value
      - .offset:         8
        .size:           16
        .value_kind:     by_value
      - .offset:         24
        .size:           4
        .value_kind:     by_value
      - .actual_access:  read_only
        .address_space:  global
        .offset:         32
        .size:           8
        .value_kind:     global_buffer
      - .actual_access:  read_only
        .address_space:  global
        .offset:         40
        .size:           8
        .value_kind:     global_buffer
      - .actual_access:  read_only
        .address_space:  global
        .offset:         48
        .size:           8
        .value_kind:     global_buffer
      - .actual_access:  read_only
        .address_space:  global
        .offset:         56
        .size:           8
        .value_kind:     global_buffer
      - .actual_access:  read_only
        .address_space:  global
        .offset:         64
        .size:           8
        .value_kind:     global_buffer
      - .actual_access:  read_only
        .address_space:  global
        .offset:         72
        .size:           8
        .value_kind:     global_buffer
      - .offset:         80
        .size:           16
        .value_kind:     by_value
      - .address_space:  global
        .offset:         96
        .size:           8
        .value_kind:     global_buffer
      - .offset:         104
        .size:           4
        .value_kind:     by_value
      - .offset:         108
        .size:           1
        .value_kind:     by_value
    .group_segment_fixed_size: 4096
    .kernarg_segment_align: 8
    .kernarg_segment_size: 112
    .language:       OpenCL C
    .language_version:
      - 2
      - 0
    .max_flat_workgroup_size: 256
    .name:           _ZN9rocsparseL18bsrxmvn_3x3_kernelILj256ELj8E21rocsparse_complex_numIdEiidS2_S2_EEvT3_20rocsparse_direction_NS_24const_host_device_scalarIT1_EES3_PKS3_PKT2_SC_S9_PKT4_PKT5_S7_PT6_21rocsparse_index_base_b
    .private_segment_fixed_size: 0
    .sgpr_count:     26
    .sgpr_spill_count: 0
    .symbol:         _ZN9rocsparseL18bsrxmvn_3x3_kernelILj256ELj8E21rocsparse_complex_numIdEiidS2_S2_EEvT3_20rocsparse_direction_NS_24const_host_device_scalarIT1_EES3_PKS3_PKT2_SC_S9_PKT4_PKT5_S7_PT6_21rocsparse_index_base_b.kd
    .uniform_work_group_size: 1
    .uses_dynamic_stack: false
    .vgpr_count:     64
    .vgpr_spill_count: 0
    .wavefront_size: 64
  - .agpr_count:     0
    .args:
      - .offset:         0
        .size:           4
        .value_kind:     by_value
      - .offset:         4
        .size:           4
        .value_kind:     by_value
      - .offset:         8
        .size:           16
        .value_kind:     by_value
      - .offset:         24
        .size:           4
        .value_kind:     by_value
      - .actual_access:  read_only
        .address_space:  global
        .offset:         32
        .size:           8
        .value_kind:     global_buffer
      - .actual_access:  read_only
        .address_space:  global
        .offset:         40
        .size:           8
        .value_kind:     global_buffer
      - .actual_access:  read_only
        .address_space:  global
        .offset:         48
        .size:           8
        .value_kind:     global_buffer
      - .actual_access:  read_only
        .address_space:  global
        .offset:         56
        .size:           8
        .value_kind:     global_buffer
      - .actual_access:  read_only
        .address_space:  global
        .offset:         64
        .size:           8
        .value_kind:     global_buffer
      - .actual_access:  read_only
        .address_space:  global
        .offset:         72
        .size:           8
        .value_kind:     global_buffer
      - .offset:         80
        .size:           16
        .value_kind:     by_value
      - .address_space:  global
        .offset:         96
        .size:           8
        .value_kind:     global_buffer
      - .offset:         104
        .size:           4
        .value_kind:     by_value
      - .offset:         108
        .size:           1
        .value_kind:     by_value
    .group_segment_fixed_size: 4096
    .kernarg_segment_align: 8
    .kernarg_segment_size: 112
    .language:       OpenCL C
    .language_version:
      - 2
      - 0
    .max_flat_workgroup_size: 256
    .name:           _ZN9rocsparseL18bsrxmvn_3x3_kernelILj256ELj16E21rocsparse_complex_numIdEiidS2_S2_EEvT3_20rocsparse_direction_NS_24const_host_device_scalarIT1_EES3_PKS3_PKT2_SC_S9_PKT4_PKT5_S7_PT6_21rocsparse_index_base_b
    .private_segment_fixed_size: 0
    .sgpr_count:     26
    .sgpr_spill_count: 0
    .symbol:         _ZN9rocsparseL18bsrxmvn_3x3_kernelILj256ELj16E21rocsparse_complex_numIdEiidS2_S2_EEvT3_20rocsparse_direction_NS_24const_host_device_scalarIT1_EES3_PKS3_PKT2_SC_S9_PKT4_PKT5_S7_PT6_21rocsparse_index_base_b.kd
    .uniform_work_group_size: 1
    .uses_dynamic_stack: false
    .vgpr_count:     64
    .vgpr_spill_count: 0
    .wavefront_size: 64
  - .agpr_count:     0
    .args:
      - .offset:         0
        .size:           4
        .value_kind:     by_value
      - .offset:         4
        .size:           4
        .value_kind:     by_value
      - .offset:         8
        .size:           16
        .value_kind:     by_value
      - .offset:         24
        .size:           4
        .value_kind:     by_value
      - .actual_access:  read_only
        .address_space:  global
        .offset:         32
        .size:           8
        .value_kind:     global_buffer
      - .actual_access:  read_only
        .address_space:  global
        .offset:         40
        .size:           8
        .value_kind:     global_buffer
      - .actual_access:  read_only
        .address_space:  global
        .offset:         48
        .size:           8
        .value_kind:     global_buffer
      - .actual_access:  read_only
        .address_space:  global
        .offset:         56
        .size:           8
        .value_kind:     global_buffer
      - .actual_access:  read_only
        .address_space:  global
        .offset:         64
        .size:           8
        .value_kind:     global_buffer
      - .actual_access:  read_only
        .address_space:  global
        .offset:         72
        .size:           8
        .value_kind:     global_buffer
      - .offset:         80
        .size:           16
        .value_kind:     by_value
      - .address_space:  global
        .offset:         96
        .size:           8
        .value_kind:     global_buffer
      - .offset:         104
        .size:           4
        .value_kind:     by_value
      - .offset:         108
        .size:           1
        .value_kind:     by_value
    .group_segment_fixed_size: 4096
    .kernarg_segment_align: 8
    .kernarg_segment_size: 112
    .language:       OpenCL C
    .language_version:
      - 2
      - 0
    .max_flat_workgroup_size: 256
    .name:           _ZN9rocsparseL18bsrxmvn_3x3_kernelILj256ELj32E21rocsparse_complex_numIdEiidS2_S2_EEvT3_20rocsparse_direction_NS_24const_host_device_scalarIT1_EES3_PKS3_PKT2_SC_S9_PKT4_PKT5_S7_PT6_21rocsparse_index_base_b
    .private_segment_fixed_size: 0
    .sgpr_count:     26
    .sgpr_spill_count: 0
    .symbol:         _ZN9rocsparseL18bsrxmvn_3x3_kernelILj256ELj32E21rocsparse_complex_numIdEiidS2_S2_EEvT3_20rocsparse_direction_NS_24const_host_device_scalarIT1_EES3_PKS3_PKT2_SC_S9_PKT4_PKT5_S7_PT6_21rocsparse_index_base_b.kd
    .uniform_work_group_size: 1
    .uses_dynamic_stack: false
    .vgpr_count:     64
    .vgpr_spill_count: 0
    .wavefront_size: 64
  - .agpr_count:     0
    .args:
      - .offset:         0
        .size:           4
        .value_kind:     by_value
      - .offset:         4
        .size:           4
        .value_kind:     by_value
      - .offset:         8
        .size:           16
        .value_kind:     by_value
      - .offset:         24
        .size:           4
        .value_kind:     by_value
      - .actual_access:  read_only
        .address_space:  global
        .offset:         32
        .size:           8
        .value_kind:     global_buffer
      - .actual_access:  read_only
        .address_space:  global
        .offset:         40
        .size:           8
        .value_kind:     global_buffer
      - .actual_access:  read_only
        .address_space:  global
        .offset:         48
        .size:           8
        .value_kind:     global_buffer
      - .actual_access:  read_only
        .address_space:  global
        .offset:         56
        .size:           8
        .value_kind:     global_buffer
      - .actual_access:  read_only
        .address_space:  global
        .offset:         64
        .size:           8
        .value_kind:     global_buffer
      - .actual_access:  read_only
        .address_space:  global
        .offset:         72
        .size:           8
        .value_kind:     global_buffer
      - .offset:         80
        .size:           16
        .value_kind:     by_value
      - .address_space:  global
        .offset:         96
        .size:           8
        .value_kind:     global_buffer
      - .offset:         104
        .size:           4
        .value_kind:     by_value
      - .offset:         108
        .size:           1
        .value_kind:     by_value
    .group_segment_fixed_size: 4096
    .kernarg_segment_align: 8
    .kernarg_segment_size: 112
    .language:       OpenCL C
    .language_version:
      - 2
      - 0
    .max_flat_workgroup_size: 256
    .name:           _ZN9rocsparseL18bsrxmvn_3x3_kernelILj256ELj64E21rocsparse_complex_numIdEiidS2_S2_EEvT3_20rocsparse_direction_NS_24const_host_device_scalarIT1_EES3_PKS3_PKT2_SC_S9_PKT4_PKT5_S7_PT6_21rocsparse_index_base_b
    .private_segment_fixed_size: 0
    .sgpr_count:     26
    .sgpr_spill_count: 0
    .symbol:         _ZN9rocsparseL18bsrxmvn_3x3_kernelILj256ELj64E21rocsparse_complex_numIdEiidS2_S2_EEvT3_20rocsparse_direction_NS_24const_host_device_scalarIT1_EES3_PKS3_PKT2_SC_S9_PKT4_PKT5_S7_PT6_21rocsparse_index_base_b.kd
    .uniform_work_group_size: 1
    .uses_dynamic_stack: false
    .vgpr_count:     64
    .vgpr_spill_count: 0
    .wavefront_size: 64
  - .agpr_count:     0
    .args:
      - .offset:         0
        .size:           4
        .value_kind:     by_value
      - .offset:         4
        .size:           4
        .value_kind:     by_value
      - .offset:         8
        .size:           16
        .value_kind:     by_value
      - .offset:         24
        .size:           4
        .value_kind:     by_value
      - .actual_access:  read_only
        .address_space:  global
        .offset:         32
        .size:           8
        .value_kind:     global_buffer
      - .actual_access:  read_only
        .address_space:  global
        .offset:         40
        .size:           8
        .value_kind:     global_buffer
      - .actual_access:  read_only
        .address_space:  global
        .offset:         48
        .size:           8
        .value_kind:     global_buffer
      - .actual_access:  read_only
        .address_space:  global
        .offset:         56
        .size:           8
        .value_kind:     global_buffer
      - .actual_access:  read_only
        .address_space:  global
        .offset:         64
        .size:           8
        .value_kind:     global_buffer
      - .actual_access:  read_only
        .address_space:  global
        .offset:         72
        .size:           8
        .value_kind:     global_buffer
      - .offset:         80
        .size:           16
        .value_kind:     by_value
      - .address_space:  global
        .offset:         96
        .size:           8
        .value_kind:     global_buffer
      - .offset:         104
        .size:           4
        .value_kind:     by_value
      - .offset:         108
        .size:           1
        .value_kind:     by_value
    .group_segment_fixed_size: 4096
    .kernarg_segment_align: 8
    .kernarg_segment_size: 112
    .language:       OpenCL C
    .language_version:
      - 2
      - 0
    .max_flat_workgroup_size: 256
    .name:           _ZN9rocsparseL18bsrxmvn_3x3_kernelILj256ELj4E21rocsparse_complex_numIdElidS2_S2_EEvT3_20rocsparse_direction_NS_24const_host_device_scalarIT1_EES3_PKS3_PKT2_SC_S9_PKT4_PKT5_S7_PT6_21rocsparse_index_base_b
    .private_segment_fixed_size: 0
    .sgpr_count:     26
    .sgpr_spill_count: 0
    .symbol:         _ZN9rocsparseL18bsrxmvn_3x3_kernelILj256ELj4E21rocsparse_complex_numIdElidS2_S2_EEvT3_20rocsparse_direction_NS_24const_host_device_scalarIT1_EES3_PKS3_PKT2_SC_S9_PKT4_PKT5_S7_PT6_21rocsparse_index_base_b.kd
    .uniform_work_group_size: 1
    .uses_dynamic_stack: false
    .vgpr_count:     68
    .vgpr_spill_count: 0
    .wavefront_size: 64
  - .agpr_count:     0
    .args:
      - .offset:         0
        .size:           4
        .value_kind:     by_value
      - .offset:         4
        .size:           4
        .value_kind:     by_value
      - .offset:         8
        .size:           16
        .value_kind:     by_value
      - .offset:         24
        .size:           4
        .value_kind:     by_value
      - .actual_access:  read_only
        .address_space:  global
        .offset:         32
        .size:           8
        .value_kind:     global_buffer
      - .actual_access:  read_only
        .address_space:  global
        .offset:         40
        .size:           8
        .value_kind:     global_buffer
      - .actual_access:  read_only
        .address_space:  global
        .offset:         48
        .size:           8
        .value_kind:     global_buffer
      - .actual_access:  read_only
        .address_space:  global
        .offset:         56
        .size:           8
        .value_kind:     global_buffer
      - .actual_access:  read_only
        .address_space:  global
        .offset:         64
        .size:           8
        .value_kind:     global_buffer
      - .actual_access:  read_only
        .address_space:  global
        .offset:         72
        .size:           8
        .value_kind:     global_buffer
      - .offset:         80
        .size:           16
        .value_kind:     by_value
      - .address_space:  global
        .offset:         96
        .size:           8
        .value_kind:     global_buffer
      - .offset:         104
        .size:           4
        .value_kind:     by_value
      - .offset:         108
        .size:           1
        .value_kind:     by_value
    .group_segment_fixed_size: 4096
    .kernarg_segment_align: 8
    .kernarg_segment_size: 112
    .language:       OpenCL C
    .language_version:
      - 2
      - 0
    .max_flat_workgroup_size: 256
    .name:           _ZN9rocsparseL18bsrxmvn_3x3_kernelILj256ELj8E21rocsparse_complex_numIdElidS2_S2_EEvT3_20rocsparse_direction_NS_24const_host_device_scalarIT1_EES3_PKS3_PKT2_SC_S9_PKT4_PKT5_S7_PT6_21rocsparse_index_base_b
    .private_segment_fixed_size: 0
    .sgpr_count:     26
    .sgpr_spill_count: 0
    .symbol:         _ZN9rocsparseL18bsrxmvn_3x3_kernelILj256ELj8E21rocsparse_complex_numIdElidS2_S2_EEvT3_20rocsparse_direction_NS_24const_host_device_scalarIT1_EES3_PKS3_PKT2_SC_S9_PKT4_PKT5_S7_PT6_21rocsparse_index_base_b.kd
    .uniform_work_group_size: 1
    .uses_dynamic_stack: false
    .vgpr_count:     68
    .vgpr_spill_count: 0
    .wavefront_size: 64
  - .agpr_count:     0
    .args:
      - .offset:         0
        .size:           4
        .value_kind:     by_value
      - .offset:         4
        .size:           4
        .value_kind:     by_value
      - .offset:         8
        .size:           16
        .value_kind:     by_value
      - .offset:         24
        .size:           4
        .value_kind:     by_value
      - .actual_access:  read_only
        .address_space:  global
        .offset:         32
        .size:           8
        .value_kind:     global_buffer
      - .actual_access:  read_only
        .address_space:  global
        .offset:         40
        .size:           8
        .value_kind:     global_buffer
      - .actual_access:  read_only
        .address_space:  global
        .offset:         48
        .size:           8
        .value_kind:     global_buffer
      - .actual_access:  read_only
        .address_space:  global
        .offset:         56
        .size:           8
        .value_kind:     global_buffer
      - .actual_access:  read_only
        .address_space:  global
        .offset:         64
        .size:           8
        .value_kind:     global_buffer
      - .actual_access:  read_only
        .address_space:  global
        .offset:         72
        .size:           8
        .value_kind:     global_buffer
      - .offset:         80
        .size:           16
        .value_kind:     by_value
      - .address_space:  global
        .offset:         96
        .size:           8
        .value_kind:     global_buffer
      - .offset:         104
        .size:           4
        .value_kind:     by_value
      - .offset:         108
        .size:           1
        .value_kind:     by_value
    .group_segment_fixed_size: 4096
    .kernarg_segment_align: 8
    .kernarg_segment_size: 112
    .language:       OpenCL C
    .language_version:
      - 2
      - 0
    .max_flat_workgroup_size: 256
    .name:           _ZN9rocsparseL18bsrxmvn_3x3_kernelILj256ELj16E21rocsparse_complex_numIdElidS2_S2_EEvT3_20rocsparse_direction_NS_24const_host_device_scalarIT1_EES3_PKS3_PKT2_SC_S9_PKT4_PKT5_S7_PT6_21rocsparse_index_base_b
    .private_segment_fixed_size: 0
    .sgpr_count:     26
    .sgpr_spill_count: 0
    .symbol:         _ZN9rocsparseL18bsrxmvn_3x3_kernelILj256ELj16E21rocsparse_complex_numIdElidS2_S2_EEvT3_20rocsparse_direction_NS_24const_host_device_scalarIT1_EES3_PKS3_PKT2_SC_S9_PKT4_PKT5_S7_PT6_21rocsparse_index_base_b.kd
    .uniform_work_group_size: 1
    .uses_dynamic_stack: false
    .vgpr_count:     68
    .vgpr_spill_count: 0
    .wavefront_size: 64
  - .agpr_count:     0
    .args:
      - .offset:         0
        .size:           4
        .value_kind:     by_value
      - .offset:         4
        .size:           4
        .value_kind:     by_value
      - .offset:         8
        .size:           16
        .value_kind:     by_value
      - .offset:         24
        .size:           4
        .value_kind:     by_value
      - .actual_access:  read_only
        .address_space:  global
        .offset:         32
        .size:           8
        .value_kind:     global_buffer
      - .actual_access:  read_only
        .address_space:  global
        .offset:         40
        .size:           8
        .value_kind:     global_buffer
      - .actual_access:  read_only
        .address_space:  global
        .offset:         48
        .size:           8
        .value_kind:     global_buffer
      - .actual_access:  read_only
        .address_space:  global
        .offset:         56
        .size:           8
        .value_kind:     global_buffer
      - .actual_access:  read_only
        .address_space:  global
        .offset:         64
        .size:           8
        .value_kind:     global_buffer
      - .actual_access:  read_only
        .address_space:  global
        .offset:         72
        .size:           8
        .value_kind:     global_buffer
      - .offset:         80
        .size:           16
        .value_kind:     by_value
      - .address_space:  global
        .offset:         96
        .size:           8
        .value_kind:     global_buffer
      - .offset:         104
        .size:           4
        .value_kind:     by_value
      - .offset:         108
        .size:           1
        .value_kind:     by_value
    .group_segment_fixed_size: 4096
    .kernarg_segment_align: 8
    .kernarg_segment_size: 112
    .language:       OpenCL C
    .language_version:
      - 2
      - 0
    .max_flat_workgroup_size: 256
    .name:           _ZN9rocsparseL18bsrxmvn_3x3_kernelILj256ELj32E21rocsparse_complex_numIdElidS2_S2_EEvT3_20rocsparse_direction_NS_24const_host_device_scalarIT1_EES3_PKS3_PKT2_SC_S9_PKT4_PKT5_S7_PT6_21rocsparse_index_base_b
    .private_segment_fixed_size: 0
    .sgpr_count:     26
    .sgpr_spill_count: 0
    .symbol:         _ZN9rocsparseL18bsrxmvn_3x3_kernelILj256ELj32E21rocsparse_complex_numIdElidS2_S2_EEvT3_20rocsparse_direction_NS_24const_host_device_scalarIT1_EES3_PKS3_PKT2_SC_S9_PKT4_PKT5_S7_PT6_21rocsparse_index_base_b.kd
    .uniform_work_group_size: 1
    .uses_dynamic_stack: false
    .vgpr_count:     68
    .vgpr_spill_count: 0
    .wavefront_size: 64
  - .agpr_count:     0
    .args:
      - .offset:         0
        .size:           4
        .value_kind:     by_value
      - .offset:         4
        .size:           4
        .value_kind:     by_value
      - .offset:         8
        .size:           16
        .value_kind:     by_value
      - .offset:         24
        .size:           4
        .value_kind:     by_value
      - .actual_access:  read_only
        .address_space:  global
        .offset:         32
        .size:           8
        .value_kind:     global_buffer
      - .actual_access:  read_only
        .address_space:  global
        .offset:         40
        .size:           8
        .value_kind:     global_buffer
      - .actual_access:  read_only
        .address_space:  global
        .offset:         48
        .size:           8
        .value_kind:     global_buffer
      - .actual_access:  read_only
        .address_space:  global
        .offset:         56
        .size:           8
        .value_kind:     global_buffer
      - .actual_access:  read_only
        .address_space:  global
        .offset:         64
        .size:           8
        .value_kind:     global_buffer
      - .actual_access:  read_only
        .address_space:  global
        .offset:         72
        .size:           8
        .value_kind:     global_buffer
      - .offset:         80
        .size:           16
        .value_kind:     by_value
      - .address_space:  global
        .offset:         96
        .size:           8
        .value_kind:     global_buffer
      - .offset:         104
        .size:           4
        .value_kind:     by_value
      - .offset:         108
        .size:           1
        .value_kind:     by_value
    .group_segment_fixed_size: 4096
    .kernarg_segment_align: 8
    .kernarg_segment_size: 112
    .language:       OpenCL C
    .language_version:
      - 2
      - 0
    .max_flat_workgroup_size: 256
    .name:           _ZN9rocsparseL18bsrxmvn_3x3_kernelILj256ELj64E21rocsparse_complex_numIdElidS2_S2_EEvT3_20rocsparse_direction_NS_24const_host_device_scalarIT1_EES3_PKS3_PKT2_SC_S9_PKT4_PKT5_S7_PT6_21rocsparse_index_base_b
    .private_segment_fixed_size: 0
    .sgpr_count:     26
    .sgpr_spill_count: 0
    .symbol:         _ZN9rocsparseL18bsrxmvn_3x3_kernelILj256ELj64E21rocsparse_complex_numIdElidS2_S2_EEvT3_20rocsparse_direction_NS_24const_host_device_scalarIT1_EES3_PKS3_PKT2_SC_S9_PKT4_PKT5_S7_PT6_21rocsparse_index_base_b.kd
    .uniform_work_group_size: 1
    .uses_dynamic_stack: false
    .vgpr_count:     68
    .vgpr_spill_count: 0
    .wavefront_size: 64
  - .agpr_count:     0
    .args:
      - .offset:         0
        .size:           8
        .value_kind:     by_value
      - .offset:         8
        .size:           4
        .value_kind:     by_value
      - .offset:         16
        .size:           16
        .value_kind:     by_value
      - .offset:         32
        .size:           8
        .value_kind:     by_value
      - .actual_access:  read_only
        .address_space:  global
        .offset:         40
        .size:           8
        .value_kind:     global_buffer
      - .actual_access:  read_only
        .address_space:  global
        .offset:         48
        .size:           8
        .value_kind:     global_buffer
      - .actual_access:  read_only
        .address_space:  global
        .offset:         56
        .size:           8
        .value_kind:     global_buffer
      - .actual_access:  read_only
        .address_space:  global
        .offset:         64
        .size:           8
        .value_kind:     global_buffer
      - .actual_access:  read_only
        .address_space:  global
        .offset:         72
        .size:           8
        .value_kind:     global_buffer
      - .actual_access:  read_only
        .address_space:  global
        .offset:         80
        .size:           8
        .value_kind:     global_buffer
      - .offset:         88
        .size:           16
        .value_kind:     by_value
      - .address_space:  global
        .offset:         104
        .size:           8
        .value_kind:     global_buffer
      - .offset:         112
        .size:           4
        .value_kind:     by_value
      - .offset:         116
        .size:           1
        .value_kind:     by_value
    .group_segment_fixed_size: 4096
    .kernarg_segment_align: 8
    .kernarg_segment_size: 120
    .language:       OpenCL C
    .language_version:
      - 2
      - 0
    .max_flat_workgroup_size: 256
    .name:           _ZN9rocsparseL18bsrxmvn_3x3_kernelILj256ELj4E21rocsparse_complex_numIdElldS2_S2_EEvT3_20rocsparse_direction_NS_24const_host_device_scalarIT1_EES3_PKS3_PKT2_SC_S9_PKT4_PKT5_S7_PT6_21rocsparse_index_base_b
    .private_segment_fixed_size: 0
    .sgpr_count:     28
    .sgpr_spill_count: 0
    .symbol:         _ZN9rocsparseL18bsrxmvn_3x3_kernelILj256ELj4E21rocsparse_complex_numIdElldS2_S2_EEvT3_20rocsparse_direction_NS_24const_host_device_scalarIT1_EES3_PKS3_PKT2_SC_S9_PKT4_PKT5_S7_PT6_21rocsparse_index_base_b.kd
    .uniform_work_group_size: 1
    .uses_dynamic_stack: false
    .vgpr_count:     68
    .vgpr_spill_count: 0
    .wavefront_size: 64
  - .agpr_count:     0
    .args:
      - .offset:         0
        .size:           8
        .value_kind:     by_value
      - .offset:         8
        .size:           4
        .value_kind:     by_value
      - .offset:         16
        .size:           16
        .value_kind:     by_value
      - .offset:         32
        .size:           8
        .value_kind:     by_value
      - .actual_access:  read_only
        .address_space:  global
        .offset:         40
        .size:           8
        .value_kind:     global_buffer
      - .actual_access:  read_only
        .address_space:  global
        .offset:         48
        .size:           8
        .value_kind:     global_buffer
      - .actual_access:  read_only
        .address_space:  global
        .offset:         56
        .size:           8
        .value_kind:     global_buffer
      - .actual_access:  read_only
        .address_space:  global
        .offset:         64
        .size:           8
        .value_kind:     global_buffer
      - .actual_access:  read_only
        .address_space:  global
        .offset:         72
        .size:           8
        .value_kind:     global_buffer
      - .actual_access:  read_only
        .address_space:  global
        .offset:         80
        .size:           8
        .value_kind:     global_buffer
      - .offset:         88
        .size:           16
        .value_kind:     by_value
      - .address_space:  global
        .offset:         104
        .size:           8
        .value_kind:     global_buffer
      - .offset:         112
        .size:           4
        .value_kind:     by_value
      - .offset:         116
        .size:           1
        .value_kind:     by_value
    .group_segment_fixed_size: 4096
    .kernarg_segment_align: 8
    .kernarg_segment_size: 120
    .language:       OpenCL C
    .language_version:
      - 2
      - 0
    .max_flat_workgroup_size: 256
    .name:           _ZN9rocsparseL18bsrxmvn_3x3_kernelILj256ELj8E21rocsparse_complex_numIdElldS2_S2_EEvT3_20rocsparse_direction_NS_24const_host_device_scalarIT1_EES3_PKS3_PKT2_SC_S9_PKT4_PKT5_S7_PT6_21rocsparse_index_base_b
    .private_segment_fixed_size: 0
    .sgpr_count:     28
    .sgpr_spill_count: 0
    .symbol:         _ZN9rocsparseL18bsrxmvn_3x3_kernelILj256ELj8E21rocsparse_complex_numIdElldS2_S2_EEvT3_20rocsparse_direction_NS_24const_host_device_scalarIT1_EES3_PKS3_PKT2_SC_S9_PKT4_PKT5_S7_PT6_21rocsparse_index_base_b.kd
    .uniform_work_group_size: 1
    .uses_dynamic_stack: false
    .vgpr_count:     68
    .vgpr_spill_count: 0
    .wavefront_size: 64
  - .agpr_count:     0
    .args:
      - .offset:         0
        .size:           8
        .value_kind:     by_value
      - .offset:         8
        .size:           4
        .value_kind:     by_value
      - .offset:         16
        .size:           16
        .value_kind:     by_value
      - .offset:         32
        .size:           8
        .value_kind:     by_value
      - .actual_access:  read_only
        .address_space:  global
        .offset:         40
        .size:           8
        .value_kind:     global_buffer
      - .actual_access:  read_only
        .address_space:  global
        .offset:         48
        .size:           8
        .value_kind:     global_buffer
      - .actual_access:  read_only
        .address_space:  global
        .offset:         56
        .size:           8
        .value_kind:     global_buffer
      - .actual_access:  read_only
        .address_space:  global
        .offset:         64
        .size:           8
        .value_kind:     global_buffer
      - .actual_access:  read_only
        .address_space:  global
        .offset:         72
        .size:           8
        .value_kind:     global_buffer
      - .actual_access:  read_only
        .address_space:  global
        .offset:         80
        .size:           8
        .value_kind:     global_buffer
      - .offset:         88
        .size:           16
        .value_kind:     by_value
      - .address_space:  global
        .offset:         104
        .size:           8
        .value_kind:     global_buffer
      - .offset:         112
        .size:           4
        .value_kind:     by_value
      - .offset:         116
        .size:           1
        .value_kind:     by_value
    .group_segment_fixed_size: 4096
    .kernarg_segment_align: 8
    .kernarg_segment_size: 120
    .language:       OpenCL C
    .language_version:
      - 2
      - 0
    .max_flat_workgroup_size: 256
    .name:           _ZN9rocsparseL18bsrxmvn_3x3_kernelILj256ELj16E21rocsparse_complex_numIdElldS2_S2_EEvT3_20rocsparse_direction_NS_24const_host_device_scalarIT1_EES3_PKS3_PKT2_SC_S9_PKT4_PKT5_S7_PT6_21rocsparse_index_base_b
    .private_segment_fixed_size: 0
    .sgpr_count:     30
    .sgpr_spill_count: 0
    .symbol:         _ZN9rocsparseL18bsrxmvn_3x3_kernelILj256ELj16E21rocsparse_complex_numIdElldS2_S2_EEvT3_20rocsparse_direction_NS_24const_host_device_scalarIT1_EES3_PKS3_PKT2_SC_S9_PKT4_PKT5_S7_PT6_21rocsparse_index_base_b.kd
    .uniform_work_group_size: 1
    .uses_dynamic_stack: false
    .vgpr_count:     68
    .vgpr_spill_count: 0
    .wavefront_size: 64
  - .agpr_count:     0
    .args:
      - .offset:         0
        .size:           8
        .value_kind:     by_value
      - .offset:         8
        .size:           4
        .value_kind:     by_value
      - .offset:         16
        .size:           16
        .value_kind:     by_value
      - .offset:         32
        .size:           8
        .value_kind:     by_value
      - .actual_access:  read_only
        .address_space:  global
        .offset:         40
        .size:           8
        .value_kind:     global_buffer
      - .actual_access:  read_only
        .address_space:  global
        .offset:         48
        .size:           8
        .value_kind:     global_buffer
      - .actual_access:  read_only
        .address_space:  global
        .offset:         56
        .size:           8
        .value_kind:     global_buffer
      - .actual_access:  read_only
        .address_space:  global
        .offset:         64
        .size:           8
        .value_kind:     global_buffer
      - .actual_access:  read_only
        .address_space:  global
        .offset:         72
        .size:           8
        .value_kind:     global_buffer
      - .actual_access:  read_only
        .address_space:  global
        .offset:         80
        .size:           8
        .value_kind:     global_buffer
      - .offset:         88
        .size:           16
        .value_kind:     by_value
      - .address_space:  global
        .offset:         104
        .size:           8
        .value_kind:     global_buffer
      - .offset:         112
        .size:           4
        .value_kind:     by_value
      - .offset:         116
        .size:           1
        .value_kind:     by_value
    .group_segment_fixed_size: 4096
    .kernarg_segment_align: 8
    .kernarg_segment_size: 120
    .language:       OpenCL C
    .language_version:
      - 2
      - 0
    .max_flat_workgroup_size: 256
    .name:           _ZN9rocsparseL18bsrxmvn_3x3_kernelILj256ELj32E21rocsparse_complex_numIdElldS2_S2_EEvT3_20rocsparse_direction_NS_24const_host_device_scalarIT1_EES3_PKS3_PKT2_SC_S9_PKT4_PKT5_S7_PT6_21rocsparse_index_base_b
    .private_segment_fixed_size: 0
    .sgpr_count:     30
    .sgpr_spill_count: 0
    .symbol:         _ZN9rocsparseL18bsrxmvn_3x3_kernelILj256ELj32E21rocsparse_complex_numIdElldS2_S2_EEvT3_20rocsparse_direction_NS_24const_host_device_scalarIT1_EES3_PKS3_PKT2_SC_S9_PKT4_PKT5_S7_PT6_21rocsparse_index_base_b.kd
    .uniform_work_group_size: 1
    .uses_dynamic_stack: false
    .vgpr_count:     68
    .vgpr_spill_count: 0
    .wavefront_size: 64
  - .agpr_count:     0
    .args:
      - .offset:         0
        .size:           8
        .value_kind:     by_value
      - .offset:         8
        .size:           4
        .value_kind:     by_value
      - .offset:         16
        .size:           16
        .value_kind:     by_value
      - .offset:         32
        .size:           8
        .value_kind:     by_value
      - .actual_access:  read_only
        .address_space:  global
        .offset:         40
        .size:           8
        .value_kind:     global_buffer
      - .actual_access:  read_only
        .address_space:  global
        .offset:         48
        .size:           8
        .value_kind:     global_buffer
      - .actual_access:  read_only
        .address_space:  global
        .offset:         56
        .size:           8
        .value_kind:     global_buffer
      - .actual_access:  read_only
        .address_space:  global
        .offset:         64
        .size:           8
        .value_kind:     global_buffer
      - .actual_access:  read_only
        .address_space:  global
        .offset:         72
        .size:           8
        .value_kind:     global_buffer
      - .actual_access:  read_only
        .address_space:  global
        .offset:         80
        .size:           8
        .value_kind:     global_buffer
      - .offset:         88
        .size:           16
        .value_kind:     by_value
      - .address_space:  global
        .offset:         104
        .size:           8
        .value_kind:     global_buffer
      - .offset:         112
        .size:           4
        .value_kind:     by_value
      - .offset:         116
        .size:           1
        .value_kind:     by_value
    .group_segment_fixed_size: 4096
    .kernarg_segment_align: 8
    .kernarg_segment_size: 120
    .language:       OpenCL C
    .language_version:
      - 2
      - 0
    .max_flat_workgroup_size: 256
    .name:           _ZN9rocsparseL18bsrxmvn_3x3_kernelILj256ELj64E21rocsparse_complex_numIdElldS2_S2_EEvT3_20rocsparse_direction_NS_24const_host_device_scalarIT1_EES3_PKS3_PKT2_SC_S9_PKT4_PKT5_S7_PT6_21rocsparse_index_base_b
    .private_segment_fixed_size: 0
    .sgpr_count:     30
    .sgpr_spill_count: 0
    .symbol:         _ZN9rocsparseL18bsrxmvn_3x3_kernelILj256ELj64E21rocsparse_complex_numIdElldS2_S2_EEvT3_20rocsparse_direction_NS_24const_host_device_scalarIT1_EES3_PKS3_PKT2_SC_S9_PKT4_PKT5_S7_PT6_21rocsparse_index_base_b.kd
    .uniform_work_group_size: 1
    .uses_dynamic_stack: false
    .vgpr_count:     68
    .vgpr_spill_count: 0
    .wavefront_size: 64
  - .agpr_count:     0
    .args:
      - .offset:         0
        .size:           4
        .value_kind:     by_value
      - .offset:         4
        .size:           4
        .value_kind:     by_value
      - .offset:         8
        .size:           8
        .value_kind:     by_value
      - .offset:         16
        .size:           4
        .value_kind:     by_value
      - .actual_access:  read_only
        .address_space:  global
        .offset:         24
        .size:           8
        .value_kind:     global_buffer
      - .actual_access:  read_only
        .address_space:  global
        .offset:         32
        .size:           8
        .value_kind:     global_buffer
      - .actual_access:  read_only
        .address_space:  global
        .offset:         40
        .size:           8
        .value_kind:     global_buffer
      - .actual_access:  read_only
        .address_space:  global
        .offset:         48
        .size:           8
        .value_kind:     global_buffer
      - .actual_access:  read_only
        .address_space:  global
        .offset:         56
        .size:           8
        .value_kind:     global_buffer
      - .actual_access:  read_only
        .address_space:  global
        .offset:         64
        .size:           8
        .value_kind:     global_buffer
      - .offset:         72
        .size:           8
        .value_kind:     by_value
      - .address_space:  global
        .offset:         80
        .size:           8
        .value_kind:     global_buffer
      - .offset:         88
        .size:           4
        .value_kind:     by_value
      - .offset:         92
        .size:           1
        .value_kind:     by_value
    .group_segment_fixed_size: 0
    .kernarg_segment_align: 8
    .kernarg_segment_size: 96
    .language:       OpenCL C
    .language_version:
      - 2
      - 0
    .max_flat_workgroup_size: 256
    .name:           _ZN9rocsparseL18bsrxmvn_3x3_kernelILj256ELj4EdiifddEEvT3_20rocsparse_direction_NS_24const_host_device_scalarIT1_EES1_PKS1_PKT2_SA_S7_PKT4_PKT5_S5_PT6_21rocsparse_index_base_b
    .private_segment_fixed_size: 0
    .sgpr_count:     24
    .sgpr_spill_count: 0
    .symbol:         _ZN9rocsparseL18bsrxmvn_3x3_kernelILj256ELj4EdiifddEEvT3_20rocsparse_direction_NS_24const_host_device_scalarIT1_EES1_PKS1_PKT2_SA_S7_PKT4_PKT5_S5_PT6_21rocsparse_index_base_b.kd
    .uniform_work_group_size: 1
    .uses_dynamic_stack: false
    .vgpr_count:     46
    .vgpr_spill_count: 0
    .wavefront_size: 64
  - .agpr_count:     0
    .args:
      - .offset:         0
        .size:           4
        .value_kind:     by_value
      - .offset:         4
        .size:           4
        .value_kind:     by_value
      - .offset:         8
        .size:           8
        .value_kind:     by_value
      - .offset:         16
        .size:           4
        .value_kind:     by_value
      - .actual_access:  read_only
        .address_space:  global
        .offset:         24
        .size:           8
        .value_kind:     global_buffer
      - .actual_access:  read_only
        .address_space:  global
        .offset:         32
        .size:           8
        .value_kind:     global_buffer
      - .actual_access:  read_only
        .address_space:  global
        .offset:         40
        .size:           8
        .value_kind:     global_buffer
      - .actual_access:  read_only
        .address_space:  global
        .offset:         48
        .size:           8
        .value_kind:     global_buffer
      - .actual_access:  read_only
        .address_space:  global
        .offset:         56
        .size:           8
        .value_kind:     global_buffer
      - .actual_access:  read_only
        .address_space:  global
        .offset:         64
        .size:           8
        .value_kind:     global_buffer
      - .offset:         72
        .size:           8
        .value_kind:     by_value
      - .address_space:  global
        .offset:         80
        .size:           8
        .value_kind:     global_buffer
      - .offset:         88
        .size:           4
        .value_kind:     by_value
      - .offset:         92
        .size:           1
        .value_kind:     by_value
    .group_segment_fixed_size: 0
    .kernarg_segment_align: 8
    .kernarg_segment_size: 96
    .language:       OpenCL C
    .language_version:
      - 2
      - 0
    .max_flat_workgroup_size: 256
    .name:           _ZN9rocsparseL18bsrxmvn_3x3_kernelILj256ELj8EdiifddEEvT3_20rocsparse_direction_NS_24const_host_device_scalarIT1_EES1_PKS1_PKT2_SA_S7_PKT4_PKT5_S5_PT6_21rocsparse_index_base_b
    .private_segment_fixed_size: 0
    .sgpr_count:     24
    .sgpr_spill_count: 0
    .symbol:         _ZN9rocsparseL18bsrxmvn_3x3_kernelILj256ELj8EdiifddEEvT3_20rocsparse_direction_NS_24const_host_device_scalarIT1_EES1_PKS1_PKT2_SA_S7_PKT4_PKT5_S5_PT6_21rocsparse_index_base_b.kd
    .uniform_work_group_size: 1
    .uses_dynamic_stack: false
    .vgpr_count:     46
    .vgpr_spill_count: 0
    .wavefront_size: 64
  - .agpr_count:     0
    .args:
      - .offset:         0
        .size:           4
        .value_kind:     by_value
      - .offset:         4
        .size:           4
        .value_kind:     by_value
      - .offset:         8
        .size:           8
        .value_kind:     by_value
      - .offset:         16
        .size:           4
        .value_kind:     by_value
      - .actual_access:  read_only
        .address_space:  global
        .offset:         24
        .size:           8
        .value_kind:     global_buffer
      - .actual_access:  read_only
        .address_space:  global
        .offset:         32
        .size:           8
        .value_kind:     global_buffer
      - .actual_access:  read_only
        .address_space:  global
        .offset:         40
        .size:           8
        .value_kind:     global_buffer
      - .actual_access:  read_only
        .address_space:  global
        .offset:         48
        .size:           8
        .value_kind:     global_buffer
      - .actual_access:  read_only
        .address_space:  global
        .offset:         56
        .size:           8
        .value_kind:     global_buffer
      - .actual_access:  read_only
        .address_space:  global
        .offset:         64
        .size:           8
        .value_kind:     global_buffer
      - .offset:         72
        .size:           8
        .value_kind:     by_value
      - .address_space:  global
        .offset:         80
        .size:           8
        .value_kind:     global_buffer
      - .offset:         88
        .size:           4
        .value_kind:     by_value
      - .offset:         92
        .size:           1
        .value_kind:     by_value
    .group_segment_fixed_size: 0
    .kernarg_segment_align: 8
    .kernarg_segment_size: 96
    .language:       OpenCL C
    .language_version:
      - 2
      - 0
    .max_flat_workgroup_size: 256
    .name:           _ZN9rocsparseL18bsrxmvn_3x3_kernelILj256ELj16EdiifddEEvT3_20rocsparse_direction_NS_24const_host_device_scalarIT1_EES1_PKS1_PKT2_SA_S7_PKT4_PKT5_S5_PT6_21rocsparse_index_base_b
    .private_segment_fixed_size: 0
    .sgpr_count:     24
    .sgpr_spill_count: 0
    .symbol:         _ZN9rocsparseL18bsrxmvn_3x3_kernelILj256ELj16EdiifddEEvT3_20rocsparse_direction_NS_24const_host_device_scalarIT1_EES1_PKS1_PKT2_SA_S7_PKT4_PKT5_S5_PT6_21rocsparse_index_base_b.kd
    .uniform_work_group_size: 1
    .uses_dynamic_stack: false
    .vgpr_count:     46
    .vgpr_spill_count: 0
    .wavefront_size: 64
  - .agpr_count:     0
    .args:
      - .offset:         0
        .size:           4
        .value_kind:     by_value
      - .offset:         4
        .size:           4
        .value_kind:     by_value
      - .offset:         8
        .size:           8
        .value_kind:     by_value
      - .offset:         16
        .size:           4
        .value_kind:     by_value
      - .actual_access:  read_only
        .address_space:  global
        .offset:         24
        .size:           8
        .value_kind:     global_buffer
      - .actual_access:  read_only
        .address_space:  global
        .offset:         32
        .size:           8
        .value_kind:     global_buffer
      - .actual_access:  read_only
        .address_space:  global
        .offset:         40
        .size:           8
        .value_kind:     global_buffer
      - .actual_access:  read_only
        .address_space:  global
        .offset:         48
        .size:           8
        .value_kind:     global_buffer
      - .actual_access:  read_only
        .address_space:  global
        .offset:         56
        .size:           8
        .value_kind:     global_buffer
      - .actual_access:  read_only
        .address_space:  global
        .offset:         64
        .size:           8
        .value_kind:     global_buffer
      - .offset:         72
        .size:           8
        .value_kind:     by_value
      - .address_space:  global
        .offset:         80
        .size:           8
        .value_kind:     global_buffer
      - .offset:         88
        .size:           4
        .value_kind:     by_value
      - .offset:         92
        .size:           1
        .value_kind:     by_value
    .group_segment_fixed_size: 0
    .kernarg_segment_align: 8
    .kernarg_segment_size: 96
    .language:       OpenCL C
    .language_version:
      - 2
      - 0
    .max_flat_workgroup_size: 256
    .name:           _ZN9rocsparseL18bsrxmvn_3x3_kernelILj256ELj32EdiifddEEvT3_20rocsparse_direction_NS_24const_host_device_scalarIT1_EES1_PKS1_PKT2_SA_S7_PKT4_PKT5_S5_PT6_21rocsparse_index_base_b
    .private_segment_fixed_size: 0
    .sgpr_count:     24
    .sgpr_spill_count: 0
    .symbol:         _ZN9rocsparseL18bsrxmvn_3x3_kernelILj256ELj32EdiifddEEvT3_20rocsparse_direction_NS_24const_host_device_scalarIT1_EES1_PKS1_PKT2_SA_S7_PKT4_PKT5_S5_PT6_21rocsparse_index_base_b.kd
    .uniform_work_group_size: 1
    .uses_dynamic_stack: false
    .vgpr_count:     46
    .vgpr_spill_count: 0
    .wavefront_size: 64
  - .agpr_count:     0
    .args:
      - .offset:         0
        .size:           4
        .value_kind:     by_value
      - .offset:         4
        .size:           4
        .value_kind:     by_value
      - .offset:         8
        .size:           8
        .value_kind:     by_value
      - .offset:         16
        .size:           4
        .value_kind:     by_value
      - .actual_access:  read_only
        .address_space:  global
        .offset:         24
        .size:           8
        .value_kind:     global_buffer
      - .actual_access:  read_only
        .address_space:  global
        .offset:         32
        .size:           8
        .value_kind:     global_buffer
      - .actual_access:  read_only
        .address_space:  global
        .offset:         40
        .size:           8
        .value_kind:     global_buffer
      - .actual_access:  read_only
        .address_space:  global
        .offset:         48
        .size:           8
        .value_kind:     global_buffer
      - .actual_access:  read_only
        .address_space:  global
        .offset:         56
        .size:           8
        .value_kind:     global_buffer
      - .actual_access:  read_only
        .address_space:  global
        .offset:         64
        .size:           8
        .value_kind:     global_buffer
      - .offset:         72
        .size:           8
        .value_kind:     by_value
      - .address_space:  global
        .offset:         80
        .size:           8
        .value_kind:     global_buffer
      - .offset:         88
        .size:           4
        .value_kind:     by_value
      - .offset:         92
        .size:           1
        .value_kind:     by_value
    .group_segment_fixed_size: 0
    .kernarg_segment_align: 8
    .kernarg_segment_size: 96
    .language:       OpenCL C
    .language_version:
      - 2
      - 0
    .max_flat_workgroup_size: 256
    .name:           _ZN9rocsparseL18bsrxmvn_3x3_kernelILj256ELj64EdiifddEEvT3_20rocsparse_direction_NS_24const_host_device_scalarIT1_EES1_PKS1_PKT2_SA_S7_PKT4_PKT5_S5_PT6_21rocsparse_index_base_b
    .private_segment_fixed_size: 0
    .sgpr_count:     24
    .sgpr_spill_count: 0
    .symbol:         _ZN9rocsparseL18bsrxmvn_3x3_kernelILj256ELj64EdiifddEEvT3_20rocsparse_direction_NS_24const_host_device_scalarIT1_EES1_PKS1_PKT2_SA_S7_PKT4_PKT5_S5_PT6_21rocsparse_index_base_b.kd
    .uniform_work_group_size: 1
    .uses_dynamic_stack: false
    .vgpr_count:     46
    .vgpr_spill_count: 0
    .wavefront_size: 64
  - .agpr_count:     0
    .args:
      - .offset:         0
        .size:           4
        .value_kind:     by_value
      - .offset:         4
        .size:           4
        .value_kind:     by_value
      - .offset:         8
        .size:           8
        .value_kind:     by_value
      - .offset:         16
        .size:           4
        .value_kind:     by_value
      - .actual_access:  read_only
        .address_space:  global
        .offset:         24
        .size:           8
        .value_kind:     global_buffer
      - .actual_access:  read_only
        .address_space:  global
        .offset:         32
        .size:           8
        .value_kind:     global_buffer
      - .actual_access:  read_only
        .address_space:  global
        .offset:         40
        .size:           8
        .value_kind:     global_buffer
      - .actual_access:  read_only
        .address_space:  global
        .offset:         48
        .size:           8
        .value_kind:     global_buffer
      - .actual_access:  read_only
        .address_space:  global
        .offset:         56
        .size:           8
        .value_kind:     global_buffer
      - .actual_access:  read_only
        .address_space:  global
        .offset:         64
        .size:           8
        .value_kind:     global_buffer
      - .offset:         72
        .size:           8
        .value_kind:     by_value
      - .address_space:  global
        .offset:         80
        .size:           8
        .value_kind:     global_buffer
      - .offset:         88
        .size:           4
        .value_kind:     by_value
      - .offset:         92
        .size:           1
        .value_kind:     by_value
    .group_segment_fixed_size: 0
    .kernarg_segment_align: 8
    .kernarg_segment_size: 96
    .language:       OpenCL C
    .language_version:
      - 2
      - 0
    .max_flat_workgroup_size: 256
    .name:           _ZN9rocsparseL18bsrxmvn_3x3_kernelILj256ELj4EdlifddEEvT3_20rocsparse_direction_NS_24const_host_device_scalarIT1_EES1_PKS1_PKT2_SA_S7_PKT4_PKT5_S5_PT6_21rocsparse_index_base_b
    .private_segment_fixed_size: 0
    .sgpr_count:     24
    .sgpr_spill_count: 0
    .symbol:         _ZN9rocsparseL18bsrxmvn_3x3_kernelILj256ELj4EdlifddEEvT3_20rocsparse_direction_NS_24const_host_device_scalarIT1_EES1_PKS1_PKT2_SA_S7_PKT4_PKT5_S5_PT6_21rocsparse_index_base_b.kd
    .uniform_work_group_size: 1
    .uses_dynamic_stack: false
    .vgpr_count:     50
    .vgpr_spill_count: 0
    .wavefront_size: 64
  - .agpr_count:     0
    .args:
      - .offset:         0
        .size:           4
        .value_kind:     by_value
      - .offset:         4
        .size:           4
        .value_kind:     by_value
      - .offset:         8
        .size:           8
        .value_kind:     by_value
      - .offset:         16
        .size:           4
        .value_kind:     by_value
      - .actual_access:  read_only
        .address_space:  global
        .offset:         24
        .size:           8
        .value_kind:     global_buffer
      - .actual_access:  read_only
        .address_space:  global
        .offset:         32
        .size:           8
        .value_kind:     global_buffer
      - .actual_access:  read_only
        .address_space:  global
        .offset:         40
        .size:           8
        .value_kind:     global_buffer
      - .actual_access:  read_only
        .address_space:  global
        .offset:         48
        .size:           8
        .value_kind:     global_buffer
      - .actual_access:  read_only
        .address_space:  global
        .offset:         56
        .size:           8
        .value_kind:     global_buffer
      - .actual_access:  read_only
        .address_space:  global
        .offset:         64
        .size:           8
        .value_kind:     global_buffer
      - .offset:         72
        .size:           8
        .value_kind:     by_value
      - .address_space:  global
        .offset:         80
        .size:           8
        .value_kind:     global_buffer
      - .offset:         88
        .size:           4
        .value_kind:     by_value
      - .offset:         92
        .size:           1
        .value_kind:     by_value
    .group_segment_fixed_size: 0
    .kernarg_segment_align: 8
    .kernarg_segment_size: 96
    .language:       OpenCL C
    .language_version:
      - 2
      - 0
    .max_flat_workgroup_size: 256
    .name:           _ZN9rocsparseL18bsrxmvn_3x3_kernelILj256ELj8EdlifddEEvT3_20rocsparse_direction_NS_24const_host_device_scalarIT1_EES1_PKS1_PKT2_SA_S7_PKT4_PKT5_S5_PT6_21rocsparse_index_base_b
    .private_segment_fixed_size: 0
    .sgpr_count:     24
    .sgpr_spill_count: 0
    .symbol:         _ZN9rocsparseL18bsrxmvn_3x3_kernelILj256ELj8EdlifddEEvT3_20rocsparse_direction_NS_24const_host_device_scalarIT1_EES1_PKS1_PKT2_SA_S7_PKT4_PKT5_S5_PT6_21rocsparse_index_base_b.kd
    .uniform_work_group_size: 1
    .uses_dynamic_stack: false
    .vgpr_count:     50
    .vgpr_spill_count: 0
    .wavefront_size: 64
  - .agpr_count:     0
    .args:
      - .offset:         0
        .size:           4
        .value_kind:     by_value
      - .offset:         4
        .size:           4
        .value_kind:     by_value
      - .offset:         8
        .size:           8
        .value_kind:     by_value
      - .offset:         16
        .size:           4
        .value_kind:     by_value
      - .actual_access:  read_only
        .address_space:  global
        .offset:         24
        .size:           8
        .value_kind:     global_buffer
      - .actual_access:  read_only
        .address_space:  global
        .offset:         32
        .size:           8
        .value_kind:     global_buffer
      - .actual_access:  read_only
        .address_space:  global
        .offset:         40
        .size:           8
        .value_kind:     global_buffer
      - .actual_access:  read_only
        .address_space:  global
        .offset:         48
        .size:           8
        .value_kind:     global_buffer
      - .actual_access:  read_only
        .address_space:  global
        .offset:         56
        .size:           8
        .value_kind:     global_buffer
      - .actual_access:  read_only
        .address_space:  global
        .offset:         64
        .size:           8
        .value_kind:     global_buffer
      - .offset:         72
        .size:           8
        .value_kind:     by_value
      - .address_space:  global
        .offset:         80
        .size:           8
        .value_kind:     global_buffer
      - .offset:         88
        .size:           4
        .value_kind:     by_value
      - .offset:         92
        .size:           1
        .value_kind:     by_value
    .group_segment_fixed_size: 0
    .kernarg_segment_align: 8
    .kernarg_segment_size: 96
    .language:       OpenCL C
    .language_version:
      - 2
      - 0
    .max_flat_workgroup_size: 256
    .name:           _ZN9rocsparseL18bsrxmvn_3x3_kernelILj256ELj16EdlifddEEvT3_20rocsparse_direction_NS_24const_host_device_scalarIT1_EES1_PKS1_PKT2_SA_S7_PKT4_PKT5_S5_PT6_21rocsparse_index_base_b
    .private_segment_fixed_size: 0
    .sgpr_count:     24
    .sgpr_spill_count: 0
    .symbol:         _ZN9rocsparseL18bsrxmvn_3x3_kernelILj256ELj16EdlifddEEvT3_20rocsparse_direction_NS_24const_host_device_scalarIT1_EES1_PKS1_PKT2_SA_S7_PKT4_PKT5_S5_PT6_21rocsparse_index_base_b.kd
    .uniform_work_group_size: 1
    .uses_dynamic_stack: false
    .vgpr_count:     50
    .vgpr_spill_count: 0
    .wavefront_size: 64
  - .agpr_count:     0
    .args:
      - .offset:         0
        .size:           4
        .value_kind:     by_value
      - .offset:         4
        .size:           4
        .value_kind:     by_value
      - .offset:         8
        .size:           8
        .value_kind:     by_value
      - .offset:         16
        .size:           4
        .value_kind:     by_value
      - .actual_access:  read_only
        .address_space:  global
        .offset:         24
        .size:           8
        .value_kind:     global_buffer
      - .actual_access:  read_only
        .address_space:  global
        .offset:         32
        .size:           8
        .value_kind:     global_buffer
      - .actual_access:  read_only
        .address_space:  global
        .offset:         40
        .size:           8
        .value_kind:     global_buffer
      - .actual_access:  read_only
        .address_space:  global
        .offset:         48
        .size:           8
        .value_kind:     global_buffer
      - .actual_access:  read_only
        .address_space:  global
        .offset:         56
        .size:           8
        .value_kind:     global_buffer
      - .actual_access:  read_only
        .address_space:  global
        .offset:         64
        .size:           8
        .value_kind:     global_buffer
      - .offset:         72
        .size:           8
        .value_kind:     by_value
      - .address_space:  global
        .offset:         80
        .size:           8
        .value_kind:     global_buffer
      - .offset:         88
        .size:           4
        .value_kind:     by_value
      - .offset:         92
        .size:           1
        .value_kind:     by_value
    .group_segment_fixed_size: 0
    .kernarg_segment_align: 8
    .kernarg_segment_size: 96
    .language:       OpenCL C
    .language_version:
      - 2
      - 0
    .max_flat_workgroup_size: 256
    .name:           _ZN9rocsparseL18bsrxmvn_3x3_kernelILj256ELj32EdlifddEEvT3_20rocsparse_direction_NS_24const_host_device_scalarIT1_EES1_PKS1_PKT2_SA_S7_PKT4_PKT5_S5_PT6_21rocsparse_index_base_b
    .private_segment_fixed_size: 0
    .sgpr_count:     26
    .sgpr_spill_count: 0
    .symbol:         _ZN9rocsparseL18bsrxmvn_3x3_kernelILj256ELj32EdlifddEEvT3_20rocsparse_direction_NS_24const_host_device_scalarIT1_EES1_PKS1_PKT2_SA_S7_PKT4_PKT5_S5_PT6_21rocsparse_index_base_b.kd
    .uniform_work_group_size: 1
    .uses_dynamic_stack: false
    .vgpr_count:     50
    .vgpr_spill_count: 0
    .wavefront_size: 64
  - .agpr_count:     0
    .args:
      - .offset:         0
        .size:           4
        .value_kind:     by_value
      - .offset:         4
        .size:           4
        .value_kind:     by_value
      - .offset:         8
        .size:           8
        .value_kind:     by_value
      - .offset:         16
        .size:           4
        .value_kind:     by_value
      - .actual_access:  read_only
        .address_space:  global
        .offset:         24
        .size:           8
        .value_kind:     global_buffer
      - .actual_access:  read_only
        .address_space:  global
        .offset:         32
        .size:           8
        .value_kind:     global_buffer
      - .actual_access:  read_only
        .address_space:  global
        .offset:         40
        .size:           8
        .value_kind:     global_buffer
      - .actual_access:  read_only
        .address_space:  global
        .offset:         48
        .size:           8
        .value_kind:     global_buffer
      - .actual_access:  read_only
        .address_space:  global
        .offset:         56
        .size:           8
        .value_kind:     global_buffer
      - .actual_access:  read_only
        .address_space:  global
        .offset:         64
        .size:           8
        .value_kind:     global_buffer
      - .offset:         72
        .size:           8
        .value_kind:     by_value
      - .address_space:  global
        .offset:         80
        .size:           8
        .value_kind:     global_buffer
      - .offset:         88
        .size:           4
        .value_kind:     by_value
      - .offset:         92
        .size:           1
        .value_kind:     by_value
    .group_segment_fixed_size: 0
    .kernarg_segment_align: 8
    .kernarg_segment_size: 96
    .language:       OpenCL C
    .language_version:
      - 2
      - 0
    .max_flat_workgroup_size: 256
    .name:           _ZN9rocsparseL18bsrxmvn_3x3_kernelILj256ELj64EdlifddEEvT3_20rocsparse_direction_NS_24const_host_device_scalarIT1_EES1_PKS1_PKT2_SA_S7_PKT4_PKT5_S5_PT6_21rocsparse_index_base_b
    .private_segment_fixed_size: 0
    .sgpr_count:     26
    .sgpr_spill_count: 0
    .symbol:         _ZN9rocsparseL18bsrxmvn_3x3_kernelILj256ELj64EdlifddEEvT3_20rocsparse_direction_NS_24const_host_device_scalarIT1_EES1_PKS1_PKT2_SA_S7_PKT4_PKT5_S5_PT6_21rocsparse_index_base_b.kd
    .uniform_work_group_size: 1
    .uses_dynamic_stack: false
    .vgpr_count:     50
    .vgpr_spill_count: 0
    .wavefront_size: 64
  - .agpr_count:     0
    .args:
      - .offset:         0
        .size:           8
        .value_kind:     by_value
      - .offset:         8
        .size:           4
        .value_kind:     by_value
      - .offset:         16
        .size:           8
        .value_kind:     by_value
      - .offset:         24
        .size:           8
        .value_kind:     by_value
      - .actual_access:  read_only
        .address_space:  global
        .offset:         32
        .size:           8
        .value_kind:     global_buffer
      - .actual_access:  read_only
        .address_space:  global
        .offset:         40
        .size:           8
        .value_kind:     global_buffer
      - .actual_access:  read_only
        .address_space:  global
        .offset:         48
        .size:           8
        .value_kind:     global_buffer
      - .actual_access:  read_only
        .address_space:  global
        .offset:         56
        .size:           8
        .value_kind:     global_buffer
      - .actual_access:  read_only
        .address_space:  global
        .offset:         64
        .size:           8
        .value_kind:     global_buffer
      - .actual_access:  read_only
        .address_space:  global
        .offset:         72
        .size:           8
        .value_kind:     global_buffer
      - .offset:         80
        .size:           8
        .value_kind:     by_value
      - .address_space:  global
        .offset:         88
        .size:           8
        .value_kind:     global_buffer
      - .offset:         96
        .size:           4
        .value_kind:     by_value
      - .offset:         100
        .size:           1
        .value_kind:     by_value
    .group_segment_fixed_size: 0
    .kernarg_segment_align: 8
    .kernarg_segment_size: 104
    .language:       OpenCL C
    .language_version:
      - 2
      - 0
    .max_flat_workgroup_size: 256
    .name:           _ZN9rocsparseL18bsrxmvn_3x3_kernelILj256ELj4EdllfddEEvT3_20rocsparse_direction_NS_24const_host_device_scalarIT1_EES1_PKS1_PKT2_SA_S7_PKT4_PKT5_S5_PT6_21rocsparse_index_base_b
    .private_segment_fixed_size: 0
    .sgpr_count:     28
    .sgpr_spill_count: 0
    .symbol:         _ZN9rocsparseL18bsrxmvn_3x3_kernelILj256ELj4EdllfddEEvT3_20rocsparse_direction_NS_24const_host_device_scalarIT1_EES1_PKS1_PKT2_SA_S7_PKT4_PKT5_S5_PT6_21rocsparse_index_base_b.kd
    .uniform_work_group_size: 1
    .uses_dynamic_stack: false
    .vgpr_count:     50
    .vgpr_spill_count: 0
    .wavefront_size: 64
  - .agpr_count:     0
    .args:
      - .offset:         0
        .size:           8
        .value_kind:     by_value
      - .offset:         8
        .size:           4
        .value_kind:     by_value
      - .offset:         16
        .size:           8
        .value_kind:     by_value
      - .offset:         24
        .size:           8
        .value_kind:     by_value
      - .actual_access:  read_only
        .address_space:  global
        .offset:         32
        .size:           8
        .value_kind:     global_buffer
      - .actual_access:  read_only
        .address_space:  global
        .offset:         40
        .size:           8
        .value_kind:     global_buffer
      - .actual_access:  read_only
        .address_space:  global
        .offset:         48
        .size:           8
        .value_kind:     global_buffer
      - .actual_access:  read_only
        .address_space:  global
        .offset:         56
        .size:           8
        .value_kind:     global_buffer
      - .actual_access:  read_only
        .address_space:  global
        .offset:         64
        .size:           8
        .value_kind:     global_buffer
      - .actual_access:  read_only
        .address_space:  global
        .offset:         72
        .size:           8
        .value_kind:     global_buffer
      - .offset:         80
        .size:           8
        .value_kind:     by_value
      - .address_space:  global
        .offset:         88
        .size:           8
        .value_kind:     global_buffer
      - .offset:         96
        .size:           4
        .value_kind:     by_value
      - .offset:         100
        .size:           1
        .value_kind:     by_value
    .group_segment_fixed_size: 0
    .kernarg_segment_align: 8
    .kernarg_segment_size: 104
    .language:       OpenCL C
    .language_version:
      - 2
      - 0
    .max_flat_workgroup_size: 256
    .name:           _ZN9rocsparseL18bsrxmvn_3x3_kernelILj256ELj8EdllfddEEvT3_20rocsparse_direction_NS_24const_host_device_scalarIT1_EES1_PKS1_PKT2_SA_S7_PKT4_PKT5_S5_PT6_21rocsparse_index_base_b
    .private_segment_fixed_size: 0
    .sgpr_count:     28
    .sgpr_spill_count: 0
    .symbol:         _ZN9rocsparseL18bsrxmvn_3x3_kernelILj256ELj8EdllfddEEvT3_20rocsparse_direction_NS_24const_host_device_scalarIT1_EES1_PKS1_PKT2_SA_S7_PKT4_PKT5_S5_PT6_21rocsparse_index_base_b.kd
    .uniform_work_group_size: 1
    .uses_dynamic_stack: false
    .vgpr_count:     50
    .vgpr_spill_count: 0
    .wavefront_size: 64
  - .agpr_count:     0
    .args:
      - .offset:         0
        .size:           8
        .value_kind:     by_value
      - .offset:         8
        .size:           4
        .value_kind:     by_value
      - .offset:         16
        .size:           8
        .value_kind:     by_value
      - .offset:         24
        .size:           8
        .value_kind:     by_value
      - .actual_access:  read_only
        .address_space:  global
        .offset:         32
        .size:           8
        .value_kind:     global_buffer
      - .actual_access:  read_only
        .address_space:  global
        .offset:         40
        .size:           8
        .value_kind:     global_buffer
      - .actual_access:  read_only
        .address_space:  global
        .offset:         48
        .size:           8
        .value_kind:     global_buffer
      - .actual_access:  read_only
        .address_space:  global
        .offset:         56
        .size:           8
        .value_kind:     global_buffer
      - .actual_access:  read_only
        .address_space:  global
        .offset:         64
        .size:           8
        .value_kind:     global_buffer
      - .actual_access:  read_only
        .address_space:  global
        .offset:         72
        .size:           8
        .value_kind:     global_buffer
      - .offset:         80
        .size:           8
        .value_kind:     by_value
      - .address_space:  global
        .offset:         88
        .size:           8
        .value_kind:     global_buffer
      - .offset:         96
        .size:           4
        .value_kind:     by_value
      - .offset:         100
        .size:           1
        .value_kind:     by_value
    .group_segment_fixed_size: 0
    .kernarg_segment_align: 8
    .kernarg_segment_size: 104
    .language:       OpenCL C
    .language_version:
      - 2
      - 0
    .max_flat_workgroup_size: 256
    .name:           _ZN9rocsparseL18bsrxmvn_3x3_kernelILj256ELj16EdllfddEEvT3_20rocsparse_direction_NS_24const_host_device_scalarIT1_EES1_PKS1_PKT2_SA_S7_PKT4_PKT5_S5_PT6_21rocsparse_index_base_b
    .private_segment_fixed_size: 0
    .sgpr_count:     30
    .sgpr_spill_count: 0
    .symbol:         _ZN9rocsparseL18bsrxmvn_3x3_kernelILj256ELj16EdllfddEEvT3_20rocsparse_direction_NS_24const_host_device_scalarIT1_EES1_PKS1_PKT2_SA_S7_PKT4_PKT5_S5_PT6_21rocsparse_index_base_b.kd
    .uniform_work_group_size: 1
    .uses_dynamic_stack: false
    .vgpr_count:     50
    .vgpr_spill_count: 0
    .wavefront_size: 64
  - .agpr_count:     0
    .args:
      - .offset:         0
        .size:           8
        .value_kind:     by_value
      - .offset:         8
        .size:           4
        .value_kind:     by_value
      - .offset:         16
        .size:           8
        .value_kind:     by_value
      - .offset:         24
        .size:           8
        .value_kind:     by_value
      - .actual_access:  read_only
        .address_space:  global
        .offset:         32
        .size:           8
        .value_kind:     global_buffer
      - .actual_access:  read_only
        .address_space:  global
        .offset:         40
        .size:           8
        .value_kind:     global_buffer
      - .actual_access:  read_only
        .address_space:  global
        .offset:         48
        .size:           8
        .value_kind:     global_buffer
      - .actual_access:  read_only
        .address_space:  global
        .offset:         56
        .size:           8
        .value_kind:     global_buffer
      - .actual_access:  read_only
        .address_space:  global
        .offset:         64
        .size:           8
        .value_kind:     global_buffer
      - .actual_access:  read_only
        .address_space:  global
        .offset:         72
        .size:           8
        .value_kind:     global_buffer
      - .offset:         80
        .size:           8
        .value_kind:     by_value
      - .address_space:  global
        .offset:         88
        .size:           8
        .value_kind:     global_buffer
      - .offset:         96
        .size:           4
        .value_kind:     by_value
      - .offset:         100
        .size:           1
        .value_kind:     by_value
    .group_segment_fixed_size: 0
    .kernarg_segment_align: 8
    .kernarg_segment_size: 104
    .language:       OpenCL C
    .language_version:
      - 2
      - 0
    .max_flat_workgroup_size: 256
    .name:           _ZN9rocsparseL18bsrxmvn_3x3_kernelILj256ELj32EdllfddEEvT3_20rocsparse_direction_NS_24const_host_device_scalarIT1_EES1_PKS1_PKT2_SA_S7_PKT4_PKT5_S5_PT6_21rocsparse_index_base_b
    .private_segment_fixed_size: 0
    .sgpr_count:     30
    .sgpr_spill_count: 0
    .symbol:         _ZN9rocsparseL18bsrxmvn_3x3_kernelILj256ELj32EdllfddEEvT3_20rocsparse_direction_NS_24const_host_device_scalarIT1_EES1_PKS1_PKT2_SA_S7_PKT4_PKT5_S5_PT6_21rocsparse_index_base_b.kd
    .uniform_work_group_size: 1
    .uses_dynamic_stack: false
    .vgpr_count:     50
    .vgpr_spill_count: 0
    .wavefront_size: 64
  - .agpr_count:     0
    .args:
      - .offset:         0
        .size:           8
        .value_kind:     by_value
      - .offset:         8
        .size:           4
        .value_kind:     by_value
      - .offset:         16
        .size:           8
        .value_kind:     by_value
      - .offset:         24
        .size:           8
        .value_kind:     by_value
      - .actual_access:  read_only
        .address_space:  global
        .offset:         32
        .size:           8
        .value_kind:     global_buffer
      - .actual_access:  read_only
        .address_space:  global
        .offset:         40
        .size:           8
        .value_kind:     global_buffer
      - .actual_access:  read_only
        .address_space:  global
        .offset:         48
        .size:           8
        .value_kind:     global_buffer
      - .actual_access:  read_only
        .address_space:  global
        .offset:         56
        .size:           8
        .value_kind:     global_buffer
      - .actual_access:  read_only
        .address_space:  global
        .offset:         64
        .size:           8
        .value_kind:     global_buffer
      - .actual_access:  read_only
        .address_space:  global
        .offset:         72
        .size:           8
        .value_kind:     global_buffer
      - .offset:         80
        .size:           8
        .value_kind:     by_value
      - .address_space:  global
        .offset:         88
        .size:           8
        .value_kind:     global_buffer
      - .offset:         96
        .size:           4
        .value_kind:     by_value
      - .offset:         100
        .size:           1
        .value_kind:     by_value
    .group_segment_fixed_size: 0
    .kernarg_segment_align: 8
    .kernarg_segment_size: 104
    .language:       OpenCL C
    .language_version:
      - 2
      - 0
    .max_flat_workgroup_size: 256
    .name:           _ZN9rocsparseL18bsrxmvn_3x3_kernelILj256ELj64EdllfddEEvT3_20rocsparse_direction_NS_24const_host_device_scalarIT1_EES1_PKS1_PKT2_SA_S7_PKT4_PKT5_S5_PT6_21rocsparse_index_base_b
    .private_segment_fixed_size: 0
    .sgpr_count:     30
    .sgpr_spill_count: 0
    .symbol:         _ZN9rocsparseL18bsrxmvn_3x3_kernelILj256ELj64EdllfddEEvT3_20rocsparse_direction_NS_24const_host_device_scalarIT1_EES1_PKS1_PKT2_SA_S7_PKT4_PKT5_S5_PT6_21rocsparse_index_base_b.kd
    .uniform_work_group_size: 1
    .uses_dynamic_stack: false
    .vgpr_count:     50
    .vgpr_spill_count: 0
    .wavefront_size: 64
  - .agpr_count:     0
    .args:
      - .offset:         0
        .size:           4
        .value_kind:     by_value
      - .offset:         4
        .size:           4
        .value_kind:     by_value
      - .offset:         8
        .size:           16
        .value_kind:     by_value
      - .offset:         24
        .size:           4
        .value_kind:     by_value
      - .actual_access:  read_only
        .address_space:  global
        .offset:         32
        .size:           8
        .value_kind:     global_buffer
      - .actual_access:  read_only
        .address_space:  global
        .offset:         40
        .size:           8
        .value_kind:     global_buffer
      - .actual_access:  read_only
        .address_space:  global
        .offset:         48
        .size:           8
        .value_kind:     global_buffer
      - .actual_access:  read_only
        .address_space:  global
        .offset:         56
        .size:           8
        .value_kind:     global_buffer
      - .actual_access:  read_only
        .address_space:  global
        .offset:         64
        .size:           8
        .value_kind:     global_buffer
      - .actual_access:  read_only
        .address_space:  global
        .offset:         72
        .size:           8
        .value_kind:     global_buffer
      - .offset:         80
        .size:           16
        .value_kind:     by_value
      - .address_space:  global
        .offset:         96
        .size:           8
        .value_kind:     global_buffer
      - .offset:         104
        .size:           4
        .value_kind:     by_value
      - .offset:         108
        .size:           1
        .value_kind:     by_value
    .group_segment_fixed_size: 4096
    .kernarg_segment_align: 8
    .kernarg_segment_size: 112
    .language:       OpenCL C
    .language_version:
      - 2
      - 0
    .max_flat_workgroup_size: 256
    .name:           _ZN9rocsparseL18bsrxmvn_3x3_kernelILj256ELj4E21rocsparse_complex_numIdEiiS1_IfES2_S2_EEvT3_20rocsparse_direction_NS_24const_host_device_scalarIT1_EES4_PKS4_PKT2_SD_SA_PKT4_PKT5_S8_PT6_21rocsparse_index_base_b
    .private_segment_fixed_size: 0
    .sgpr_count:     26
    .sgpr_spill_count: 0
    .symbol:         _ZN9rocsparseL18bsrxmvn_3x3_kernelILj256ELj4E21rocsparse_complex_numIdEiiS1_IfES2_S2_EEvT3_20rocsparse_direction_NS_24const_host_device_scalarIT1_EES4_PKS4_PKT2_SD_SA_PKT4_PKT5_S8_PT6_21rocsparse_index_base_b.kd
    .uniform_work_group_size: 1
    .uses_dynamic_stack: false
    .vgpr_count:     80
    .vgpr_spill_count: 0
    .wavefront_size: 64
  - .agpr_count:     0
    .args:
      - .offset:         0
        .size:           4
        .value_kind:     by_value
      - .offset:         4
        .size:           4
        .value_kind:     by_value
      - .offset:         8
        .size:           16
        .value_kind:     by_value
      - .offset:         24
        .size:           4
        .value_kind:     by_value
      - .actual_access:  read_only
        .address_space:  global
        .offset:         32
        .size:           8
        .value_kind:     global_buffer
      - .actual_access:  read_only
        .address_space:  global
        .offset:         40
        .size:           8
        .value_kind:     global_buffer
      - .actual_access:  read_only
        .address_space:  global
        .offset:         48
        .size:           8
        .value_kind:     global_buffer
      - .actual_access:  read_only
        .address_space:  global
        .offset:         56
        .size:           8
        .value_kind:     global_buffer
      - .actual_access:  read_only
        .address_space:  global
        .offset:         64
        .size:           8
        .value_kind:     global_buffer
      - .actual_access:  read_only
        .address_space:  global
        .offset:         72
        .size:           8
        .value_kind:     global_buffer
      - .offset:         80
        .size:           16
        .value_kind:     by_value
      - .address_space:  global
        .offset:         96
        .size:           8
        .value_kind:     global_buffer
      - .offset:         104
        .size:           4
        .value_kind:     by_value
      - .offset:         108
        .size:           1
        .value_kind:     by_value
    .group_segment_fixed_size: 4096
    .kernarg_segment_align: 8
    .kernarg_segment_size: 112
    .language:       OpenCL C
    .language_version:
      - 2
      - 0
    .max_flat_workgroup_size: 256
    .name:           _ZN9rocsparseL18bsrxmvn_3x3_kernelILj256ELj8E21rocsparse_complex_numIdEiiS1_IfES2_S2_EEvT3_20rocsparse_direction_NS_24const_host_device_scalarIT1_EES4_PKS4_PKT2_SD_SA_PKT4_PKT5_S8_PT6_21rocsparse_index_base_b
    .private_segment_fixed_size: 0
    .sgpr_count:     26
    .sgpr_spill_count: 0
    .symbol:         _ZN9rocsparseL18bsrxmvn_3x3_kernelILj256ELj8E21rocsparse_complex_numIdEiiS1_IfES2_S2_EEvT3_20rocsparse_direction_NS_24const_host_device_scalarIT1_EES4_PKS4_PKT2_SD_SA_PKT4_PKT5_S8_PT6_21rocsparse_index_base_b.kd
    .uniform_work_group_size: 1
    .uses_dynamic_stack: false
    .vgpr_count:     80
    .vgpr_spill_count: 0
    .wavefront_size: 64
  - .agpr_count:     0
    .args:
      - .offset:         0
        .size:           4
        .value_kind:     by_value
      - .offset:         4
        .size:           4
        .value_kind:     by_value
      - .offset:         8
        .size:           16
        .value_kind:     by_value
      - .offset:         24
        .size:           4
        .value_kind:     by_value
      - .actual_access:  read_only
        .address_space:  global
        .offset:         32
        .size:           8
        .value_kind:     global_buffer
      - .actual_access:  read_only
        .address_space:  global
        .offset:         40
        .size:           8
        .value_kind:     global_buffer
      - .actual_access:  read_only
        .address_space:  global
        .offset:         48
        .size:           8
        .value_kind:     global_buffer
      - .actual_access:  read_only
        .address_space:  global
        .offset:         56
        .size:           8
        .value_kind:     global_buffer
      - .actual_access:  read_only
        .address_space:  global
        .offset:         64
        .size:           8
        .value_kind:     global_buffer
      - .actual_access:  read_only
        .address_space:  global
        .offset:         72
        .size:           8
        .value_kind:     global_buffer
      - .offset:         80
        .size:           16
        .value_kind:     by_value
      - .address_space:  global
        .offset:         96
        .size:           8
        .value_kind:     global_buffer
      - .offset:         104
        .size:           4
        .value_kind:     by_value
      - .offset:         108
        .size:           1
        .value_kind:     by_value
    .group_segment_fixed_size: 4096
    .kernarg_segment_align: 8
    .kernarg_segment_size: 112
    .language:       OpenCL C
    .language_version:
      - 2
      - 0
    .max_flat_workgroup_size: 256
    .name:           _ZN9rocsparseL18bsrxmvn_3x3_kernelILj256ELj16E21rocsparse_complex_numIdEiiS1_IfES2_S2_EEvT3_20rocsparse_direction_NS_24const_host_device_scalarIT1_EES4_PKS4_PKT2_SD_SA_PKT4_PKT5_S8_PT6_21rocsparse_index_base_b
    .private_segment_fixed_size: 0
    .sgpr_count:     26
    .sgpr_spill_count: 0
    .symbol:         _ZN9rocsparseL18bsrxmvn_3x3_kernelILj256ELj16E21rocsparse_complex_numIdEiiS1_IfES2_S2_EEvT3_20rocsparse_direction_NS_24const_host_device_scalarIT1_EES4_PKS4_PKT2_SD_SA_PKT4_PKT5_S8_PT6_21rocsparse_index_base_b.kd
    .uniform_work_group_size: 1
    .uses_dynamic_stack: false
    .vgpr_count:     80
    .vgpr_spill_count: 0
    .wavefront_size: 64
  - .agpr_count:     0
    .args:
      - .offset:         0
        .size:           4
        .value_kind:     by_value
      - .offset:         4
        .size:           4
        .value_kind:     by_value
      - .offset:         8
        .size:           16
        .value_kind:     by_value
      - .offset:         24
        .size:           4
        .value_kind:     by_value
      - .actual_access:  read_only
        .address_space:  global
        .offset:         32
        .size:           8
        .value_kind:     global_buffer
      - .actual_access:  read_only
        .address_space:  global
        .offset:         40
        .size:           8
        .value_kind:     global_buffer
      - .actual_access:  read_only
        .address_space:  global
        .offset:         48
        .size:           8
        .value_kind:     global_buffer
      - .actual_access:  read_only
        .address_space:  global
        .offset:         56
        .size:           8
        .value_kind:     global_buffer
      - .actual_access:  read_only
        .address_space:  global
        .offset:         64
        .size:           8
        .value_kind:     global_buffer
      - .actual_access:  read_only
        .address_space:  global
        .offset:         72
        .size:           8
        .value_kind:     global_buffer
      - .offset:         80
        .size:           16
        .value_kind:     by_value
      - .address_space:  global
        .offset:         96
        .size:           8
        .value_kind:     global_buffer
      - .offset:         104
        .size:           4
        .value_kind:     by_value
      - .offset:         108
        .size:           1
        .value_kind:     by_value
    .group_segment_fixed_size: 4096
    .kernarg_segment_align: 8
    .kernarg_segment_size: 112
    .language:       OpenCL C
    .language_version:
      - 2
      - 0
    .max_flat_workgroup_size: 256
    .name:           _ZN9rocsparseL18bsrxmvn_3x3_kernelILj256ELj32E21rocsparse_complex_numIdEiiS1_IfES2_S2_EEvT3_20rocsparse_direction_NS_24const_host_device_scalarIT1_EES4_PKS4_PKT2_SD_SA_PKT4_PKT5_S8_PT6_21rocsparse_index_base_b
    .private_segment_fixed_size: 0
    .sgpr_count:     26
    .sgpr_spill_count: 0
    .symbol:         _ZN9rocsparseL18bsrxmvn_3x3_kernelILj256ELj32E21rocsparse_complex_numIdEiiS1_IfES2_S2_EEvT3_20rocsparse_direction_NS_24const_host_device_scalarIT1_EES4_PKS4_PKT2_SD_SA_PKT4_PKT5_S8_PT6_21rocsparse_index_base_b.kd
    .uniform_work_group_size: 1
    .uses_dynamic_stack: false
    .vgpr_count:     80
    .vgpr_spill_count: 0
    .wavefront_size: 64
  - .agpr_count:     0
    .args:
      - .offset:         0
        .size:           4
        .value_kind:     by_value
      - .offset:         4
        .size:           4
        .value_kind:     by_value
      - .offset:         8
        .size:           16
        .value_kind:     by_value
      - .offset:         24
        .size:           4
        .value_kind:     by_value
      - .actual_access:  read_only
        .address_space:  global
        .offset:         32
        .size:           8
        .value_kind:     global_buffer
      - .actual_access:  read_only
        .address_space:  global
        .offset:         40
        .size:           8
        .value_kind:     global_buffer
      - .actual_access:  read_only
        .address_space:  global
        .offset:         48
        .size:           8
        .value_kind:     global_buffer
      - .actual_access:  read_only
        .address_space:  global
        .offset:         56
        .size:           8
        .value_kind:     global_buffer
      - .actual_access:  read_only
        .address_space:  global
        .offset:         64
        .size:           8
        .value_kind:     global_buffer
      - .actual_access:  read_only
        .address_space:  global
        .offset:         72
        .size:           8
        .value_kind:     global_buffer
      - .offset:         80
        .size:           16
        .value_kind:     by_value
      - .address_space:  global
        .offset:         96
        .size:           8
        .value_kind:     global_buffer
      - .offset:         104
        .size:           4
        .value_kind:     by_value
      - .offset:         108
        .size:           1
        .value_kind:     by_value
    .group_segment_fixed_size: 4096
    .kernarg_segment_align: 8
    .kernarg_segment_size: 112
    .language:       OpenCL C
    .language_version:
      - 2
      - 0
    .max_flat_workgroup_size: 256
    .name:           _ZN9rocsparseL18bsrxmvn_3x3_kernelILj256ELj64E21rocsparse_complex_numIdEiiS1_IfES2_S2_EEvT3_20rocsparse_direction_NS_24const_host_device_scalarIT1_EES4_PKS4_PKT2_SD_SA_PKT4_PKT5_S8_PT6_21rocsparse_index_base_b
    .private_segment_fixed_size: 0
    .sgpr_count:     26
    .sgpr_spill_count: 0
    .symbol:         _ZN9rocsparseL18bsrxmvn_3x3_kernelILj256ELj64E21rocsparse_complex_numIdEiiS1_IfES2_S2_EEvT3_20rocsparse_direction_NS_24const_host_device_scalarIT1_EES4_PKS4_PKT2_SD_SA_PKT4_PKT5_S8_PT6_21rocsparse_index_base_b.kd
    .uniform_work_group_size: 1
    .uses_dynamic_stack: false
    .vgpr_count:     80
    .vgpr_spill_count: 0
    .wavefront_size: 64
  - .agpr_count:     0
    .args:
      - .offset:         0
        .size:           4
        .value_kind:     by_value
      - .offset:         4
        .size:           4
        .value_kind:     by_value
      - .offset:         8
        .size:           16
        .value_kind:     by_value
      - .offset:         24
        .size:           4
        .value_kind:     by_value
      - .actual_access:  read_only
        .address_space:  global
        .offset:         32
        .size:           8
        .value_kind:     global_buffer
      - .actual_access:  read_only
        .address_space:  global
        .offset:         40
        .size:           8
        .value_kind:     global_buffer
      - .actual_access:  read_only
        .address_space:  global
        .offset:         48
        .size:           8
        .value_kind:     global_buffer
      - .actual_access:  read_only
        .address_space:  global
        .offset:         56
        .size:           8
        .value_kind:     global_buffer
      - .actual_access:  read_only
        .address_space:  global
        .offset:         64
        .size:           8
        .value_kind:     global_buffer
      - .actual_access:  read_only
        .address_space:  global
        .offset:         72
        .size:           8
        .value_kind:     global_buffer
      - .offset:         80
        .size:           16
        .value_kind:     by_value
      - .address_space:  global
        .offset:         96
        .size:           8
        .value_kind:     global_buffer
      - .offset:         104
        .size:           4
        .value_kind:     by_value
      - .offset:         108
        .size:           1
        .value_kind:     by_value
    .group_segment_fixed_size: 4096
    .kernarg_segment_align: 8
    .kernarg_segment_size: 112
    .language:       OpenCL C
    .language_version:
      - 2
      - 0
    .max_flat_workgroup_size: 256
    .name:           _ZN9rocsparseL18bsrxmvn_3x3_kernelILj256ELj4E21rocsparse_complex_numIdEliS1_IfES2_S2_EEvT3_20rocsparse_direction_NS_24const_host_device_scalarIT1_EES4_PKS4_PKT2_SD_SA_PKT4_PKT5_S8_PT6_21rocsparse_index_base_b
    .private_segment_fixed_size: 0
    .sgpr_count:     26
    .sgpr_spill_count: 0
    .symbol:         _ZN9rocsparseL18bsrxmvn_3x3_kernelILj256ELj4E21rocsparse_complex_numIdEliS1_IfES2_S2_EEvT3_20rocsparse_direction_NS_24const_host_device_scalarIT1_EES4_PKS4_PKT2_SD_SA_PKT4_PKT5_S8_PT6_21rocsparse_index_base_b.kd
    .uniform_work_group_size: 1
    .uses_dynamic_stack: false
    .vgpr_count:     84
    .vgpr_spill_count: 0
    .wavefront_size: 64
  - .agpr_count:     0
    .args:
      - .offset:         0
        .size:           4
        .value_kind:     by_value
      - .offset:         4
        .size:           4
        .value_kind:     by_value
      - .offset:         8
        .size:           16
        .value_kind:     by_value
      - .offset:         24
        .size:           4
        .value_kind:     by_value
      - .actual_access:  read_only
        .address_space:  global
        .offset:         32
        .size:           8
        .value_kind:     global_buffer
      - .actual_access:  read_only
        .address_space:  global
        .offset:         40
        .size:           8
        .value_kind:     global_buffer
      - .actual_access:  read_only
        .address_space:  global
        .offset:         48
        .size:           8
        .value_kind:     global_buffer
      - .actual_access:  read_only
        .address_space:  global
        .offset:         56
        .size:           8
        .value_kind:     global_buffer
      - .actual_access:  read_only
        .address_space:  global
        .offset:         64
        .size:           8
        .value_kind:     global_buffer
      - .actual_access:  read_only
        .address_space:  global
        .offset:         72
        .size:           8
        .value_kind:     global_buffer
      - .offset:         80
        .size:           16
        .value_kind:     by_value
      - .address_space:  global
        .offset:         96
        .size:           8
        .value_kind:     global_buffer
      - .offset:         104
        .size:           4
        .value_kind:     by_value
      - .offset:         108
        .size:           1
        .value_kind:     by_value
    .group_segment_fixed_size: 4096
    .kernarg_segment_align: 8
    .kernarg_segment_size: 112
    .language:       OpenCL C
    .language_version:
      - 2
      - 0
    .max_flat_workgroup_size: 256
    .name:           _ZN9rocsparseL18bsrxmvn_3x3_kernelILj256ELj8E21rocsparse_complex_numIdEliS1_IfES2_S2_EEvT3_20rocsparse_direction_NS_24const_host_device_scalarIT1_EES4_PKS4_PKT2_SD_SA_PKT4_PKT5_S8_PT6_21rocsparse_index_base_b
    .private_segment_fixed_size: 0
    .sgpr_count:     26
    .sgpr_spill_count: 0
    .symbol:         _ZN9rocsparseL18bsrxmvn_3x3_kernelILj256ELj8E21rocsparse_complex_numIdEliS1_IfES2_S2_EEvT3_20rocsparse_direction_NS_24const_host_device_scalarIT1_EES4_PKS4_PKT2_SD_SA_PKT4_PKT5_S8_PT6_21rocsparse_index_base_b.kd
    .uniform_work_group_size: 1
    .uses_dynamic_stack: false
    .vgpr_count:     84
    .vgpr_spill_count: 0
    .wavefront_size: 64
  - .agpr_count:     0
    .args:
      - .offset:         0
        .size:           4
        .value_kind:     by_value
      - .offset:         4
        .size:           4
        .value_kind:     by_value
      - .offset:         8
        .size:           16
        .value_kind:     by_value
      - .offset:         24
        .size:           4
        .value_kind:     by_value
      - .actual_access:  read_only
        .address_space:  global
        .offset:         32
        .size:           8
        .value_kind:     global_buffer
      - .actual_access:  read_only
        .address_space:  global
        .offset:         40
        .size:           8
        .value_kind:     global_buffer
      - .actual_access:  read_only
        .address_space:  global
        .offset:         48
        .size:           8
        .value_kind:     global_buffer
      - .actual_access:  read_only
        .address_space:  global
        .offset:         56
        .size:           8
        .value_kind:     global_buffer
      - .actual_access:  read_only
        .address_space:  global
        .offset:         64
        .size:           8
        .value_kind:     global_buffer
      - .actual_access:  read_only
        .address_space:  global
        .offset:         72
        .size:           8
        .value_kind:     global_buffer
      - .offset:         80
        .size:           16
        .value_kind:     by_value
      - .address_space:  global
        .offset:         96
        .size:           8
        .value_kind:     global_buffer
      - .offset:         104
        .size:           4
        .value_kind:     by_value
      - .offset:         108
        .size:           1
        .value_kind:     by_value
    .group_segment_fixed_size: 4096
    .kernarg_segment_align: 8
    .kernarg_segment_size: 112
    .language:       OpenCL C
    .language_version:
      - 2
      - 0
    .max_flat_workgroup_size: 256
    .name:           _ZN9rocsparseL18bsrxmvn_3x3_kernelILj256ELj16E21rocsparse_complex_numIdEliS1_IfES2_S2_EEvT3_20rocsparse_direction_NS_24const_host_device_scalarIT1_EES4_PKS4_PKT2_SD_SA_PKT4_PKT5_S8_PT6_21rocsparse_index_base_b
    .private_segment_fixed_size: 0
    .sgpr_count:     26
    .sgpr_spill_count: 0
    .symbol:         _ZN9rocsparseL18bsrxmvn_3x3_kernelILj256ELj16E21rocsparse_complex_numIdEliS1_IfES2_S2_EEvT3_20rocsparse_direction_NS_24const_host_device_scalarIT1_EES4_PKS4_PKT2_SD_SA_PKT4_PKT5_S8_PT6_21rocsparse_index_base_b.kd
    .uniform_work_group_size: 1
    .uses_dynamic_stack: false
    .vgpr_count:     84
    .vgpr_spill_count: 0
    .wavefront_size: 64
  - .agpr_count:     0
    .args:
      - .offset:         0
        .size:           4
        .value_kind:     by_value
      - .offset:         4
        .size:           4
        .value_kind:     by_value
      - .offset:         8
        .size:           16
        .value_kind:     by_value
      - .offset:         24
        .size:           4
        .value_kind:     by_value
      - .actual_access:  read_only
        .address_space:  global
        .offset:         32
        .size:           8
        .value_kind:     global_buffer
      - .actual_access:  read_only
        .address_space:  global
        .offset:         40
        .size:           8
        .value_kind:     global_buffer
      - .actual_access:  read_only
        .address_space:  global
        .offset:         48
        .size:           8
        .value_kind:     global_buffer
      - .actual_access:  read_only
        .address_space:  global
        .offset:         56
        .size:           8
        .value_kind:     global_buffer
      - .actual_access:  read_only
        .address_space:  global
        .offset:         64
        .size:           8
        .value_kind:     global_buffer
      - .actual_access:  read_only
        .address_space:  global
        .offset:         72
        .size:           8
        .value_kind:     global_buffer
      - .offset:         80
        .size:           16
        .value_kind:     by_value
      - .address_space:  global
        .offset:         96
        .size:           8
        .value_kind:     global_buffer
      - .offset:         104
        .size:           4
        .value_kind:     by_value
      - .offset:         108
        .size:           1
        .value_kind:     by_value
    .group_segment_fixed_size: 4096
    .kernarg_segment_align: 8
    .kernarg_segment_size: 112
    .language:       OpenCL C
    .language_version:
      - 2
      - 0
    .max_flat_workgroup_size: 256
    .name:           _ZN9rocsparseL18bsrxmvn_3x3_kernelILj256ELj32E21rocsparse_complex_numIdEliS1_IfES2_S2_EEvT3_20rocsparse_direction_NS_24const_host_device_scalarIT1_EES4_PKS4_PKT2_SD_SA_PKT4_PKT5_S8_PT6_21rocsparse_index_base_b
    .private_segment_fixed_size: 0
    .sgpr_count:     26
    .sgpr_spill_count: 0
    .symbol:         _ZN9rocsparseL18bsrxmvn_3x3_kernelILj256ELj32E21rocsparse_complex_numIdEliS1_IfES2_S2_EEvT3_20rocsparse_direction_NS_24const_host_device_scalarIT1_EES4_PKS4_PKT2_SD_SA_PKT4_PKT5_S8_PT6_21rocsparse_index_base_b.kd
    .uniform_work_group_size: 1
    .uses_dynamic_stack: false
    .vgpr_count:     84
    .vgpr_spill_count: 0
    .wavefront_size: 64
  - .agpr_count:     0
    .args:
      - .offset:         0
        .size:           4
        .value_kind:     by_value
      - .offset:         4
        .size:           4
        .value_kind:     by_value
      - .offset:         8
        .size:           16
        .value_kind:     by_value
      - .offset:         24
        .size:           4
        .value_kind:     by_value
      - .actual_access:  read_only
        .address_space:  global
        .offset:         32
        .size:           8
        .value_kind:     global_buffer
      - .actual_access:  read_only
        .address_space:  global
        .offset:         40
        .size:           8
        .value_kind:     global_buffer
      - .actual_access:  read_only
        .address_space:  global
        .offset:         48
        .size:           8
        .value_kind:     global_buffer
      - .actual_access:  read_only
        .address_space:  global
        .offset:         56
        .size:           8
        .value_kind:     global_buffer
      - .actual_access:  read_only
        .address_space:  global
        .offset:         64
        .size:           8
        .value_kind:     global_buffer
      - .actual_access:  read_only
        .address_space:  global
        .offset:         72
        .size:           8
        .value_kind:     global_buffer
      - .offset:         80
        .size:           16
        .value_kind:     by_value
      - .address_space:  global
        .offset:         96
        .size:           8
        .value_kind:     global_buffer
      - .offset:         104
        .size:           4
        .value_kind:     by_value
      - .offset:         108
        .size:           1
        .value_kind:     by_value
    .group_segment_fixed_size: 4096
    .kernarg_segment_align: 8
    .kernarg_segment_size: 112
    .language:       OpenCL C
    .language_version:
      - 2
      - 0
    .max_flat_workgroup_size: 256
    .name:           _ZN9rocsparseL18bsrxmvn_3x3_kernelILj256ELj64E21rocsparse_complex_numIdEliS1_IfES2_S2_EEvT3_20rocsparse_direction_NS_24const_host_device_scalarIT1_EES4_PKS4_PKT2_SD_SA_PKT4_PKT5_S8_PT6_21rocsparse_index_base_b
    .private_segment_fixed_size: 0
    .sgpr_count:     26
    .sgpr_spill_count: 0
    .symbol:         _ZN9rocsparseL18bsrxmvn_3x3_kernelILj256ELj64E21rocsparse_complex_numIdEliS1_IfES2_S2_EEvT3_20rocsparse_direction_NS_24const_host_device_scalarIT1_EES4_PKS4_PKT2_SD_SA_PKT4_PKT5_S8_PT6_21rocsparse_index_base_b.kd
    .uniform_work_group_size: 1
    .uses_dynamic_stack: false
    .vgpr_count:     84
    .vgpr_spill_count: 0
    .wavefront_size: 64
  - .agpr_count:     0
    .args:
      - .offset:         0
        .size:           8
        .value_kind:     by_value
      - .offset:         8
        .size:           4
        .value_kind:     by_value
      - .offset:         16
        .size:           16
        .value_kind:     by_value
      - .offset:         32
        .size:           8
        .value_kind:     by_value
      - .actual_access:  read_only
        .address_space:  global
        .offset:         40
        .size:           8
        .value_kind:     global_buffer
      - .actual_access:  read_only
        .address_space:  global
        .offset:         48
        .size:           8
        .value_kind:     global_buffer
      - .actual_access:  read_only
        .address_space:  global
        .offset:         56
        .size:           8
        .value_kind:     global_buffer
      - .actual_access:  read_only
        .address_space:  global
        .offset:         64
        .size:           8
        .value_kind:     global_buffer
      - .actual_access:  read_only
        .address_space:  global
        .offset:         72
        .size:           8
        .value_kind:     global_buffer
      - .actual_access:  read_only
        .address_space:  global
        .offset:         80
        .size:           8
        .value_kind:     global_buffer
      - .offset:         88
        .size:           16
        .value_kind:     by_value
      - .address_space:  global
        .offset:         104
        .size:           8
        .value_kind:     global_buffer
      - .offset:         112
        .size:           4
        .value_kind:     by_value
      - .offset:         116
        .size:           1
        .value_kind:     by_value
    .group_segment_fixed_size: 4096
    .kernarg_segment_align: 8
    .kernarg_segment_size: 120
    .language:       OpenCL C
    .language_version:
      - 2
      - 0
    .max_flat_workgroup_size: 256
    .name:           _ZN9rocsparseL18bsrxmvn_3x3_kernelILj256ELj4E21rocsparse_complex_numIdEllS1_IfES2_S2_EEvT3_20rocsparse_direction_NS_24const_host_device_scalarIT1_EES4_PKS4_PKT2_SD_SA_PKT4_PKT5_S8_PT6_21rocsparse_index_base_b
    .private_segment_fixed_size: 0
    .sgpr_count:     28
    .sgpr_spill_count: 0
    .symbol:         _ZN9rocsparseL18bsrxmvn_3x3_kernelILj256ELj4E21rocsparse_complex_numIdEllS1_IfES2_S2_EEvT3_20rocsparse_direction_NS_24const_host_device_scalarIT1_EES4_PKS4_PKT2_SD_SA_PKT4_PKT5_S8_PT6_21rocsparse_index_base_b.kd
    .uniform_work_group_size: 1
    .uses_dynamic_stack: false
    .vgpr_count:     84
    .vgpr_spill_count: 0
    .wavefront_size: 64
  - .agpr_count:     0
    .args:
      - .offset:         0
        .size:           8
        .value_kind:     by_value
      - .offset:         8
        .size:           4
        .value_kind:     by_value
      - .offset:         16
        .size:           16
        .value_kind:     by_value
      - .offset:         32
        .size:           8
        .value_kind:     by_value
      - .actual_access:  read_only
        .address_space:  global
        .offset:         40
        .size:           8
        .value_kind:     global_buffer
      - .actual_access:  read_only
        .address_space:  global
        .offset:         48
        .size:           8
        .value_kind:     global_buffer
      - .actual_access:  read_only
        .address_space:  global
        .offset:         56
        .size:           8
        .value_kind:     global_buffer
      - .actual_access:  read_only
        .address_space:  global
        .offset:         64
        .size:           8
        .value_kind:     global_buffer
      - .actual_access:  read_only
        .address_space:  global
        .offset:         72
        .size:           8
        .value_kind:     global_buffer
      - .actual_access:  read_only
        .address_space:  global
        .offset:         80
        .size:           8
        .value_kind:     global_buffer
      - .offset:         88
        .size:           16
        .value_kind:     by_value
      - .address_space:  global
        .offset:         104
        .size:           8
        .value_kind:     global_buffer
      - .offset:         112
        .size:           4
        .value_kind:     by_value
      - .offset:         116
        .size:           1
        .value_kind:     by_value
    .group_segment_fixed_size: 4096
    .kernarg_segment_align: 8
    .kernarg_segment_size: 120
    .language:       OpenCL C
    .language_version:
      - 2
      - 0
    .max_flat_workgroup_size: 256
    .name:           _ZN9rocsparseL18bsrxmvn_3x3_kernelILj256ELj8E21rocsparse_complex_numIdEllS1_IfES2_S2_EEvT3_20rocsparse_direction_NS_24const_host_device_scalarIT1_EES4_PKS4_PKT2_SD_SA_PKT4_PKT5_S8_PT6_21rocsparse_index_base_b
    .private_segment_fixed_size: 0
    .sgpr_count:     28
    .sgpr_spill_count: 0
    .symbol:         _ZN9rocsparseL18bsrxmvn_3x3_kernelILj256ELj8E21rocsparse_complex_numIdEllS1_IfES2_S2_EEvT3_20rocsparse_direction_NS_24const_host_device_scalarIT1_EES4_PKS4_PKT2_SD_SA_PKT4_PKT5_S8_PT6_21rocsparse_index_base_b.kd
    .uniform_work_group_size: 1
    .uses_dynamic_stack: false
    .vgpr_count:     84
    .vgpr_spill_count: 0
    .wavefront_size: 64
  - .agpr_count:     0
    .args:
      - .offset:         0
        .size:           8
        .value_kind:     by_value
      - .offset:         8
        .size:           4
        .value_kind:     by_value
      - .offset:         16
        .size:           16
        .value_kind:     by_value
      - .offset:         32
        .size:           8
        .value_kind:     by_value
      - .actual_access:  read_only
        .address_space:  global
        .offset:         40
        .size:           8
        .value_kind:     global_buffer
      - .actual_access:  read_only
        .address_space:  global
        .offset:         48
        .size:           8
        .value_kind:     global_buffer
      - .actual_access:  read_only
        .address_space:  global
        .offset:         56
        .size:           8
        .value_kind:     global_buffer
      - .actual_access:  read_only
        .address_space:  global
        .offset:         64
        .size:           8
        .value_kind:     global_buffer
      - .actual_access:  read_only
        .address_space:  global
        .offset:         72
        .size:           8
        .value_kind:     global_buffer
      - .actual_access:  read_only
        .address_space:  global
        .offset:         80
        .size:           8
        .value_kind:     global_buffer
      - .offset:         88
        .size:           16
        .value_kind:     by_value
      - .address_space:  global
        .offset:         104
        .size:           8
        .value_kind:     global_buffer
      - .offset:         112
        .size:           4
        .value_kind:     by_value
      - .offset:         116
        .size:           1
        .value_kind:     by_value
    .group_segment_fixed_size: 4096
    .kernarg_segment_align: 8
    .kernarg_segment_size: 120
    .language:       OpenCL C
    .language_version:
      - 2
      - 0
    .max_flat_workgroup_size: 256
    .name:           _ZN9rocsparseL18bsrxmvn_3x3_kernelILj256ELj16E21rocsparse_complex_numIdEllS1_IfES2_S2_EEvT3_20rocsparse_direction_NS_24const_host_device_scalarIT1_EES4_PKS4_PKT2_SD_SA_PKT4_PKT5_S8_PT6_21rocsparse_index_base_b
    .private_segment_fixed_size: 0
    .sgpr_count:     30
    .sgpr_spill_count: 0
    .symbol:         _ZN9rocsparseL18bsrxmvn_3x3_kernelILj256ELj16E21rocsparse_complex_numIdEllS1_IfES2_S2_EEvT3_20rocsparse_direction_NS_24const_host_device_scalarIT1_EES4_PKS4_PKT2_SD_SA_PKT4_PKT5_S8_PT6_21rocsparse_index_base_b.kd
    .uniform_work_group_size: 1
    .uses_dynamic_stack: false
    .vgpr_count:     84
    .vgpr_spill_count: 0
    .wavefront_size: 64
  - .agpr_count:     0
    .args:
      - .offset:         0
        .size:           8
        .value_kind:     by_value
      - .offset:         8
        .size:           4
        .value_kind:     by_value
      - .offset:         16
        .size:           16
        .value_kind:     by_value
      - .offset:         32
        .size:           8
        .value_kind:     by_value
      - .actual_access:  read_only
        .address_space:  global
        .offset:         40
        .size:           8
        .value_kind:     global_buffer
      - .actual_access:  read_only
        .address_space:  global
        .offset:         48
        .size:           8
        .value_kind:     global_buffer
      - .actual_access:  read_only
        .address_space:  global
        .offset:         56
        .size:           8
        .value_kind:     global_buffer
      - .actual_access:  read_only
        .address_space:  global
        .offset:         64
        .size:           8
        .value_kind:     global_buffer
      - .actual_access:  read_only
        .address_space:  global
        .offset:         72
        .size:           8
        .value_kind:     global_buffer
      - .actual_access:  read_only
        .address_space:  global
        .offset:         80
        .size:           8
        .value_kind:     global_buffer
      - .offset:         88
        .size:           16
        .value_kind:     by_value
      - .address_space:  global
        .offset:         104
        .size:           8
        .value_kind:     global_buffer
      - .offset:         112
        .size:           4
        .value_kind:     by_value
      - .offset:         116
        .size:           1
        .value_kind:     by_value
    .group_segment_fixed_size: 4096
    .kernarg_segment_align: 8
    .kernarg_segment_size: 120
    .language:       OpenCL C
    .language_version:
      - 2
      - 0
    .max_flat_workgroup_size: 256
    .name:           _ZN9rocsparseL18bsrxmvn_3x3_kernelILj256ELj32E21rocsparse_complex_numIdEllS1_IfES2_S2_EEvT3_20rocsparse_direction_NS_24const_host_device_scalarIT1_EES4_PKS4_PKT2_SD_SA_PKT4_PKT5_S8_PT6_21rocsparse_index_base_b
    .private_segment_fixed_size: 0
    .sgpr_count:     30
    .sgpr_spill_count: 0
    .symbol:         _ZN9rocsparseL18bsrxmvn_3x3_kernelILj256ELj32E21rocsparse_complex_numIdEllS1_IfES2_S2_EEvT3_20rocsparse_direction_NS_24const_host_device_scalarIT1_EES4_PKS4_PKT2_SD_SA_PKT4_PKT5_S8_PT6_21rocsparse_index_base_b.kd
    .uniform_work_group_size: 1
    .uses_dynamic_stack: false
    .vgpr_count:     84
    .vgpr_spill_count: 0
    .wavefront_size: 64
  - .agpr_count:     0
    .args:
      - .offset:         0
        .size:           8
        .value_kind:     by_value
      - .offset:         8
        .size:           4
        .value_kind:     by_value
      - .offset:         16
        .size:           16
        .value_kind:     by_value
      - .offset:         32
        .size:           8
        .value_kind:     by_value
      - .actual_access:  read_only
        .address_space:  global
        .offset:         40
        .size:           8
        .value_kind:     global_buffer
      - .actual_access:  read_only
        .address_space:  global
        .offset:         48
        .size:           8
        .value_kind:     global_buffer
      - .actual_access:  read_only
        .address_space:  global
        .offset:         56
        .size:           8
        .value_kind:     global_buffer
      - .actual_access:  read_only
        .address_space:  global
        .offset:         64
        .size:           8
        .value_kind:     global_buffer
      - .actual_access:  read_only
        .address_space:  global
        .offset:         72
        .size:           8
        .value_kind:     global_buffer
      - .actual_access:  read_only
        .address_space:  global
        .offset:         80
        .size:           8
        .value_kind:     global_buffer
      - .offset:         88
        .size:           16
        .value_kind:     by_value
      - .address_space:  global
        .offset:         104
        .size:           8
        .value_kind:     global_buffer
      - .offset:         112
        .size:           4
        .value_kind:     by_value
      - .offset:         116
        .size:           1
        .value_kind:     by_value
    .group_segment_fixed_size: 4096
    .kernarg_segment_align: 8
    .kernarg_segment_size: 120
    .language:       OpenCL C
    .language_version:
      - 2
      - 0
    .max_flat_workgroup_size: 256
    .name:           _ZN9rocsparseL18bsrxmvn_3x3_kernelILj256ELj64E21rocsparse_complex_numIdEllS1_IfES2_S2_EEvT3_20rocsparse_direction_NS_24const_host_device_scalarIT1_EES4_PKS4_PKT2_SD_SA_PKT4_PKT5_S8_PT6_21rocsparse_index_base_b
    .private_segment_fixed_size: 0
    .sgpr_count:     30
    .sgpr_spill_count: 0
    .symbol:         _ZN9rocsparseL18bsrxmvn_3x3_kernelILj256ELj64E21rocsparse_complex_numIdEllS1_IfES2_S2_EEvT3_20rocsparse_direction_NS_24const_host_device_scalarIT1_EES4_PKS4_PKT2_SD_SA_PKT4_PKT5_S8_PT6_21rocsparse_index_base_b.kd
    .uniform_work_group_size: 1
    .uses_dynamic_stack: false
    .vgpr_count:     84
    .vgpr_spill_count: 0
    .wavefront_size: 64
amdhsa.target:   amdgcn-amd-amdhsa--gfx942
amdhsa.version:
  - 1
  - 2
...

	.end_amdgpu_metadata
